;; amdgpu-corpus repo=ggml-org/llama.cpp kind=compiled arch=gfx1201 opt=O3
	.amdgcn_target "amdgcn-amd-amdhsa--gfx1201"
	.amdhsa_code_object_version 6
	.section	.text._ZL15flash_attn_tileILi128ELi128ELi8ELi8ELb0EEvPKcS1_S1_S1_S1_PKiPfP15HIP_vector_typeIfLj2EEffffjfiS5_IjLj3EEiiiiiiiiiiiliiliiiiil,"axG",@progbits,_ZL15flash_attn_tileILi128ELi128ELi8ELi8ELb0EEvPKcS1_S1_S1_S1_PKiPfP15HIP_vector_typeIfLj2EEffffjfiS5_IjLj3EEiiiiiiiiiiiliiliiiiil,comdat
	.globl	_ZL15flash_attn_tileILi128ELi128ELi8ELi8ELb0EEvPKcS1_S1_S1_S1_PKiPfP15HIP_vector_typeIfLj2EEffffjfiS5_IjLj3EEiiiiiiiiiiiliiliiiiil ; -- Begin function _ZL15flash_attn_tileILi128ELi128ELi8ELi8ELb0EEvPKcS1_S1_S1_S1_PKiPfP15HIP_vector_typeIfLj2EEffffjfiS5_IjLj3EEiiiiiiiiiiiliiliiiiil
	.p2align	8
	.type	_ZL15flash_attn_tileILi128ELi128ELi8ELi8ELb0EEvPKcS1_S1_S1_S1_PKiPfP15HIP_vector_typeIfLj2EEffffjfiS5_IjLj3EEiiiiiiiiiiiliiliiiiil,@function
_ZL15flash_attn_tileILi128ELi128ELi8ELi8ELb0EEvPKcS1_S1_S1_S1_PKiPfP15HIP_vector_typeIfLj2EEffffjfiS5_IjLj3EEiiiiiiiiiiiliiliiiiil: ; @_ZL15flash_attn_tileILi128ELi128ELi8ELi8ELb0EEvPKcS1_S1_S1_S1_PKiPfP15HIP_vector_typeIfLj2EEffffjfiS5_IjLj3EEiiiiiiiiiiiliiliiiiil
; %bb.0:
	s_clause 0x1
	s_load_b128 s[28:31], s[0:1], 0x5c
	s_load_b64 s[38:39], s[0:1], 0x80
	s_lshr_b32 s5, ttmp7, 16
	s_clause 0x1
	s_load_b512 s[12:27], s[0:1], 0x0
	s_load_b64 s[8:9], s[0:1], 0xb8
	s_mov_b64 s[40:41], 0
	s_wait_kmcnt 0x0
	s_ashr_i32 s2, s31, 31
	s_delay_alu instid0(SALU_CYCLE_1) | instskip(NEXT) | instid1(SALU_CYCLE_1)
	s_lshr_b32 s2, s2, 29
	s_add_co_i32 s2, s31, s2
	s_delay_alu instid0(SALU_CYCLE_1) | instskip(NEXT) | instid1(SALU_CYCLE_1)
	s_ashr_i32 s2, s2, 3
	s_cvt_f32_u32 s3, s2
	s_sub_co_i32 s4, 0, s2
	s_delay_alu instid0(SALU_CYCLE_2) | instskip(NEXT) | instid1(TRANS32_DEP_1)
	v_rcp_iflag_f32_e32 v1, s3
	v_readfirstlane_b32 s3, v1
	s_mul_f32 s3, s3, 0x4f7ffffe
	s_wait_alu 0xfffe
	s_delay_alu instid0(SALU_CYCLE_2) | instskip(SKIP_1) | instid1(SALU_CYCLE_2)
	s_cvt_u32_f32 s3, s3
	s_wait_alu 0xfffe
	s_mul_i32 s4, s4, s3
	s_delay_alu instid0(SALU_CYCLE_1) | instskip(NEXT) | instid1(SALU_CYCLE_1)
	s_mul_hi_u32 s4, s3, s4
	s_add_co_i32 s3, s3, s4
	s_wait_alu 0xfffe
	s_mul_hi_u32 s3, s5, s3
	s_wait_alu 0xfffe
	s_mul_i32 s4, s3, s2
	s_add_co_i32 s6, s3, 1
	s_sub_co_i32 s4, s5, s4
	s_delay_alu instid0(SALU_CYCLE_1)
	s_sub_co_i32 s7, s4, s2
	s_cmp_ge_u32 s4, s2
	s_cselect_b32 s3, s6, s3
	s_cselect_b32 s4, s7, s4
	s_wait_alu 0xfffe
	s_add_co_i32 s6, s3, 1
	s_cmp_ge_u32 s4, s2
	s_cselect_b32 s34, s6, s3
	s_abs_i32 s2, s39
	s_abs_i32 s7, s31
	s_wait_alu 0xfffe
	s_cvt_f32_u32 s3, s2
	s_sub_co_i32 s4, 0, s2
	s_lshl_b32 s5, s5, 3
	s_mul_i32 s6, s34, s31
	s_wait_alu 0xfffe
	v_rcp_iflag_f32_e32 v1, s3
	s_sub_co_i32 s36, s5, s6
	s_delay_alu instid0(TRANS32_DEP_1) | instskip(SKIP_2) | instid1(SALU_CYCLE_2)
	v_readfirstlane_b32 s3, v1
	s_mul_f32 s3, s3, 0x4f7ffffe
	s_wait_alu 0xfffe
	s_cvt_u32_f32 s3, s3
	s_wait_alu 0xfffe
	s_delay_alu instid0(SALU_CYCLE_2) | instskip(NEXT) | instid1(SALU_CYCLE_1)
	s_mul_i32 s4, s4, s3
	s_mul_hi_u32 s4, s3, s4
	s_delay_alu instid0(SALU_CYCLE_1)
	s_add_co_i32 s3, s3, s4
	s_xor_b32 s4, s31, s39
	s_wait_alu 0xfffe
	s_mul_hi_u32 s3, s7, s3
	s_ashr_i32 s4, s4, 31
	s_wait_alu 0xfffe
	s_mul_i32 s5, s3, s2
	s_add_co_i32 s6, s3, 1
	s_sub_co_i32 s5, s7, s5
	s_delay_alu instid0(SALU_CYCLE_1)
	s_sub_co_i32 s7, s5, s2
	s_cmp_ge_u32 s5, s2
	s_cselect_b32 s3, s6, s3
	s_cselect_b32 s5, s7, s5
	s_wait_alu 0xfffe
	s_add_co_i32 s6, s3, 1
	s_cmp_ge_u32 s5, s2
	s_cselect_b32 s2, s6, s3
	s_mov_b32 s3, 0
	s_wait_alu 0xfffe
	s_xor_b32 s2, s2, s4
	s_wait_alu 0xfffe
	s_sub_co_i32 s11, s2, s4
	s_delay_alu instid0(SALU_CYCLE_1) | instskip(SKIP_3) | instid1(SALU_CYCLE_2)
	s_abs_i32 s10, s11
	s_cmp_eq_u64 s[18:19], 0
	s_cvt_f32_u32 s2, s10
	s_wait_alu 0xfffe
	v_rcp_iflag_f32_e32 v1, s2
	s_delay_alu instid0(TRANS32_DEP_1)
	v_readfirstlane_b32 s2, v1
	s_cbranch_scc1 .LBB0_2
; %bb.1:
	s_abs_i32 s6, s8
	s_delay_alu instid0(SALU_CYCLE_1) | instskip(NEXT) | instid1(SALU_CYCLE_3)
	s_cvt_f32_u32 s4, s6
	v_rcp_iflag_f32_e32 v1, s4
	s_delay_alu instid0(TRANS32_DEP_1) | instskip(SKIP_2) | instid1(SALU_CYCLE_2)
	v_readfirstlane_b32 s4, v1
	s_mul_f32 s4, s4, 0x4f7ffffe
	s_wait_alu 0xfffe
	s_cvt_u32_f32 s7, s4
	s_sub_co_i32 s4, 0, s6
	s_wait_alu 0xfffe
	s_delay_alu instid0(SALU_CYCLE_1) | instskip(SKIP_4) | instid1(SALU_CYCLE_1)
	s_mul_i32 s4, s4, s7
	s_wait_alu 0xfffe
	s_mul_hi_u32 s8, s7, s4
	s_load_b64 s[4:5], s[0:1], 0xc8
	s_add_co_i32 s7, s7, s8
	s_mul_hi_u32 s7, s34, s7
	s_delay_alu instid0(SALU_CYCLE_1) | instskip(NEXT) | instid1(SALU_CYCLE_1)
	s_mul_i32 s7, s7, s6
	s_sub_co_i32 s7, s34, s7
	s_delay_alu instid0(SALU_CYCLE_1) | instskip(SKIP_2) | instid1(SALU_CYCLE_1)
	s_sub_co_i32 s8, s7, s6
	s_cmp_ge_u32 s7, s6
	s_cselect_b32 s7, s8, s7
	s_sub_co_i32 s8, s7, s6
	s_cmp_ge_u32 s7, s6
	s_cselect_b32 s6, s8, s7
	s_delay_alu instid0(SALU_CYCLE_1)
	s_ashr_i32 s7, s6, 31
	s_wait_kmcnt 0x0
	s_mul_u64 s[4:5], s[4:5], s[6:7]
	s_wait_alu 0xfffe
	s_add_nc_u64 s[40:41], s[18:19], s[4:5]
.LBB0_2:
	v_bfe_u32 v1, v0, 10, 10
	s_load_b96 s[4:6], s[0:1], 0x70
	v_and_b32_e32 v25, 0x3ff, v0
	s_delay_alu instid0(VALU_DEP_2) | instskip(NEXT) | instid1(VALU_DEP_1)
	v_lshl_add_u32 v24, ttmp9, 3, v1
	v_mul_hi_u32 v2, s28, v24
	s_delay_alu instid0(VALU_DEP_1) | instskip(SKIP_3) | instid1(VALU_DEP_1)
	v_add_nc_u32_e32 v2, v24, v2
	s_wait_kmcnt 0x0
	s_ashr_i32 s19, s4, 31
	s_mov_b32 s18, s4
	v_lshrrev_b32_e32 v2, s29, v2
	s_lshr_b64 s[28:29], s[18:19], 2
	s_lshr_b32 s4, s19, 2
	s_mul_i32 s18, s34, s6
	s_ashr_i32 s7, s5, 31
	v_mul_lo_u32 v2, v2, s30
	s_ashr_i32 s19, s18, 31
	s_mov_b32 s6, s5
	s_add_nc_u64 s[12:13], s[12:13], s[18:19]
	s_delay_alu instid0(VALU_DEP_1) | instskip(SKIP_1) | instid1(VALU_DEP_1)
	v_sub_nc_u32_e32 v3, v24, v2
	s_wait_alu 0xfffe
	v_mad_co_u64_u32 v[4:5], null, s28, v3, 0
	s_mul_i32 s28, s36, s5
	s_wait_alu 0xfffe
	s_ashr_i32 s29, s28, 31
	s_wait_alu 0xfffe
	s_add_nc_u64 s[12:13], s[12:13], s[28:29]
	v_mov_b32_e32 v2, v5
	s_delay_alu instid0(VALU_DEP_1) | instskip(SKIP_1) | instid1(VALU_DEP_2)
	v_mad_co_u64_u32 v[5:6], null, s4, v3, v[2:3]
	v_lshlrev_b32_e32 v2, 4, v25
	v_lshlrev_b64_e32 v[4:5], 2, v[4:5]
	s_delay_alu instid0(VALU_DEP_1) | instskip(NEXT) | instid1(VALU_DEP_1)
	v_add_co_u32 v0, vcc_lo, s12, v4
	v_add_co_ci_u32_e64 v4, null, s13, v5, vcc_lo
	s_and_b32 s12, s5, -4
	v_add_co_u32 v20, vcc_lo, v0, v2
	s_wait_alu 0xfffd
	v_add_co_ci_u32_e64 v21, null, 0, v4, vcc_lo
	s_lshr_b64 s[4:5], s[6:7], 2
	s_wait_alu 0xfffe
	v_add_co_u32 v8, vcc_lo, v20, s12
	v_mad_co_u64_u32 v[22:23], null, s4, 12, v[20:21]
	v_mad_co_u64_u32 v[30:31], null, s4, 20, v[20:21]
	s_and_b32 s13, s7, 0x3fffffff
	s_lshl_b64 s[18:19], s[4:5], 3
	v_mad_co_u64_u32 v[34:35], null, s4, 24, v[20:21]
	s_wait_alu 0xfffd
	v_add_co_ci_u32_e64 v9, null, s7, v21, vcc_lo
	s_wait_alu 0xfffe
	s_lshl_b64 s[28:29], s[12:13], 2
	v_add_co_u32 v12, vcc_lo, v20, s18
	v_mov_b32_e32 v0, v23
	s_wait_alu 0xfffd
	v_add_co_ci_u32_e64 v13, null, s19, v21, vcc_lo
	s_wait_alu 0xfffe
	v_add_co_u32 v16, vcc_lo, v20, s28
	s_clause 0x1
	global_load_b128 v[4:7], v[20:21], off
	global_load_b128 v[8:11], v[8:9], off
	s_wait_alu 0xfffd
	v_add_co_ci_u32_e64 v17, null, s29, v21, vcc_lo
	s_lshr_b32 s5, s7, 2
	v_mad_co_u64_u32 v[20:21], null, s4, 28, v[20:21]
	v_mov_b32_e32 v23, v31
	s_wait_alu 0xfffe
	v_mad_co_u64_u32 v[26:27], null, s5, 12, v[0:1]
	v_mov_b32_e32 v0, v35
	s_clause 0x1
	global_load_b128 v[12:15], v[12:13], off
	global_load_b128 v[16:19], v[16:17], off
	v_mad_co_u64_u32 v[27:28], null, s5, 20, v[23:24]
	v_mad_co_u64_u32 v[36:37], null, s5, 28, v[21:22]
	;; [unrolled: 1-line block ×3, first 2 shown]
	v_dual_mov_b32 v23, v26 :: v_dual_lshlrev_b32 v0, 3, v25
	s_delay_alu instid0(VALU_DEP_4) | instskip(SKIP_1) | instid1(VALU_DEP_4)
	v_mov_b32_e32 v31, v27
	s_load_b32 s4, s[0:1], 0x40
	v_mov_b32_e32 v21, v36
	global_load_b128 v[26:29], v[22:23], off
	v_mov_b32_e32 v35, v32
	s_clause 0x2
	global_load_b128 v[30:33], v[30:31], off
	global_load_b128 v[34:37], v[34:35], off
	;; [unrolled: 1-line block ×3, first 2 shown]
	v_lshlrev_b32_e32 v21, 11, v1
	s_cmp_eq_u64 s[22:23], 0
	s_delay_alu instid0(VALU_DEP_1)
	v_add_nc_u32_e32 v20, v21, v0
	s_wait_loadcnt 0x7
	s_wait_kmcnt 0x0
	v_fma_mixlo_f16 v5, s4, v5, 0
	v_fma_mixlo_f16 v4, s4, v4, 0
	;; [unrolled: 1-line block ×4, first 2 shown]
	s_wait_loadcnt 0x6
	v_fma_mixlo_f16 v8, s4, v8, 0
	v_lshlrev_b32_e32 v5, 16, v5
	v_and_b32_e32 v4, 0xffff, v4
	v_lshlrev_b32_e32 v7, 16, v7
	v_and_b32_e32 v6, 0xffff, v6
	v_fma_mixlo_f16 v9, s4, v9, 0
	v_fma_mixlo_f16 v10, s4, v10, 0
	;; [unrolled: 1-line block ×3, first 2 shown]
	s_wait_loadcnt 0x5
	v_fma_mixlo_f16 v12, s4, v12, 0
	v_fma_mixlo_f16 v13, s4, v13, 0
	;; [unrolled: 1-line block ×4, first 2 shown]
	s_wait_loadcnt 0x4
	v_fma_mixlo_f16 v16, s4, v16, 0
	v_fma_mixlo_f16 v17, s4, v17, 0
	v_fma_mixlo_f16 v18, s4, v18, 0
	v_fma_mixlo_f16 v19, s4, v19, 0
	v_or_b32_e32 v4, v5, v4
	v_or3_b32 v5, v7, v6, 0
	v_lshlrev_b32_e32 v6, 16, v9
	v_and_b32_e32 v7, 0xffff, v8
	v_lshlrev_b32_e32 v8, 16, v11
	v_and_b32_e32 v9, 0xffff, v10
	;; [unrolled: 2-line block ×6, first 2 shown]
	v_or_b32_e32 v6, v6, v7
	v_or3_b32 v7, v8, v9, 0
	v_or3_b32 v9, v12, v13, 0
	s_wait_loadcnt 0x3
	v_fma_mixlo_f16 v12, s4, v26, 0
	v_fma_mixlo_f16 v13, s4, v27, 0
	v_or_b32_e32 v8, v10, v11
	v_or_b32_e32 v10, v14, v15
	v_or3_b32 v11, v16, v17, 0
	v_fma_mixlo_f16 v14, s4, v28, 0
	v_fma_mixlo_f16 v15, s4, v29, 0
	s_wait_loadcnt 0x2
	v_fma_mixlo_f16 v16, s4, v30, 0
	v_fma_mixlo_f16 v17, s4, v31, 0
	;; [unrolled: 1-line block ×4, first 2 shown]
	s_wait_loadcnt 0x1
	v_fma_mixlo_f16 v22, s4, v34, 0
	v_fma_mixlo_f16 v23, s4, v35, 0
	s_wait_loadcnt 0x0
	v_fma_mixlo_f16 v28, s4, v38, 0
	v_fma_mixlo_f16 v29, s4, v39, 0
	v_lshlrev_b32_e32 v13, 16, v13
	v_and_b32_e32 v12, 0xffff, v12
	v_lshlrev_b32_e32 v15, 16, v15
	v_and_b32_e32 v14, 0xffff, v14
	;; [unrolled: 2-line block ×3, first 2 shown]
	v_fma_mixlo_f16 v26, s4, v36, 0
	v_fma_mixlo_f16 v27, s4, v37, 0
	;; [unrolled: 1-line block ×4, first 2 shown]
	v_lshlrev_b32_e32 v19, 16, v19
	v_and_b32_e32 v18, 0xffff, v18
	v_lshlrev_b32_e32 v23, 16, v23
	v_and_b32_e32 v22, 0xffff, v22
	v_lshlrev_b32_e32 v29, 16, v29
	v_and_b32_e32 v28, 0xffff, v28
	v_or_b32_e32 v12, v13, v12
	v_or3_b32 v13, v15, v14, 0
	v_or_b32_e32 v14, v17, v16
	v_lshlrev_b32_e32 v27, 16, v27
	v_and_b32_e32 v26, 0xffff, v26
	v_lshlrev_b32_e32 v31, 16, v31
	v_and_b32_e32 v30, 0xffff, v30
	v_or3_b32 v15, v19, v18, 0
	v_or_b32_e32 v16, v23, v22
	v_or_b32_e32 v18, v29, v28
	v_or3_b32 v4, 0, 0, v4
	v_or3_b32 v6, 0, 0, v6
	;; [unrolled: 1-line block ×10, first 2 shown]
	ds_store_2addr_b64 v20, v[4:5], v[6:7] offset1:32
	ds_store_2addr_b64 v20, v[8:9], v[12:13] offset0:64 offset1:96
	ds_store_2addr_b64 v20, v[10:11], v[14:15] offset0:128 offset1:160
	;; [unrolled: 1-line block ×3, first 2 shown]
	s_wait_dscnt 0x0
	s_barrier_signal -1
	s_barrier_wait -1
	global_inv scope:SCOPE_SE
	s_cbranch_scc1 .LBB0_4
; %bb.3:
	s_load_b32 s4, s[0:1], 0xd0
	s_mov_b32 s5, 0
	s_wait_kmcnt 0x0
	s_mul_i32 s4, s4, s34
	s_wait_alu 0xfffe
	s_add_co_i32 s4, s4, ttmp9
	s_wait_alu 0xfffe
	s_lshl_b64 s[4:5], s[4:5], 2
	s_wait_alu 0xfffe
	s_add_nc_u64 s[4:5], s[22:23], s[4:5]
	s_load_b32 s38, s[4:5], 0x0
.LBB0_4:
	s_and_b32 s18, ttmp7, 0xffff
	v_mbcnt_lo_u32_b32 v29, -1, 0
	s_wait_alu 0xfffe
	s_lshl_b32 s22, s18, 6
	s_wait_kmcnt 0x0
	s_cmp_lt_i32 s22, s38
	s_cbranch_scc1 .LBB0_7
; %bb.5:
	v_mbcnt_lo_u32_b32 v9, -1, 0
	v_mov_b32_e32 v8, 32
	s_delay_alu instid0(VALU_DEP_2)
	v_xor_b32_e32 v31, 16, v9
	v_xor_b32_e32 v27, 8, v9
	;; [unrolled: 1-line block ×5, first 2 shown]
	v_lshlrev_b32_e32 v28, 2, v25
	s_mov_b32 s35, 0
	s_cbranch_execz .LBB0_8
; %bb.6:
	v_dual_mov_b32 v66, 0 :: v_dual_mov_b32 v7, 0xfeffffff
	v_dual_mov_b32 v30, 0 :: v_dual_mov_b32 v5, 0xfeffffff
	;; [unrolled: 1-line block ×15, first 2 shown]
	v_mov_b32_e32 v54, 0
	v_mov_b32_e32 v52, 0
	s_branch .LBB0_11
.LBB0_7:
                                        ; implicit-def: $vgpr9
                                        ; implicit-def: $vgpr8
                                        ; implicit-def: $vgpr31
                                        ; implicit-def: $vgpr27
                                        ; implicit-def: $vgpr26
                                        ; implicit-def: $vgpr23
                                        ; implicit-def: $vgpr22
	v_lshlrev_b32_e32 v28, 2, v25
	s_mov_b32 s35, 0
.LBB0_8:
	s_clause 0x1
	s_load_b128 s[4:7], s[0:1], 0x98
	s_load_b64 s[12:13], s[0:1], 0x8c
	s_mul_f32 s2, s2, 0x4f7ffffe
	s_sub_co_i32 s19, 0, s10
	v_lshrrev_b32_e32 v4, 3, v25
	v_lshrrev_b32_e32 v7, 4, v25
	s_wait_alu 0xfffe
	s_cvt_u32_f32 s8, s2
	s_abs_i32 s2, s36
	s_mov_b32 s29, s3
	v_lshl_add_u32 v5, v1, 2, v4
	s_mul_i32 s19, s19, s8
	v_lshl_add_u32 v10, v1, 1, v7
	s_wait_alu 0xfffe
	s_mul_hi_u32 s19, s8, s19
	s_ashr_i32 s23, s36, 31
	s_wait_alu 0xfffe
	s_add_co_i32 s28, s8, s19
	s_ashr_i32 s11, s11, 31
	s_wait_alu 0xfffe
	s_mul_u64 s[28:29], s[2:3], s[28:29]
	s_load_b64 s[44:45], s[0:1], 0xa8
	s_mul_i32 s3, s29, s10
	v_dual_mov_b32 v52, 0 :: v_dual_and_b32 v15, 28, v28
	s_wait_alu 0xfffe
	s_sub_co_i32 s2, s2, s3
	s_wait_kmcnt 0x0
	s_ashr_i32 s28, s6, 2
	s_ashr_i32 s42, s12, 2
	v_and_b32_e32 v19, 60, v28
	s_ashr_i32 s19, s9, 1
	s_xor_b32 s8, s23, s11
	s_add_co_i32 s9, s29, 1
	s_wait_alu 0xfffe
	s_sub_co_i32 s3, s2, s10
	s_cmp_ge_u32 s2, s10
	v_mul_lo_u32 v4, s42, v5
	v_mul_lo_u32 v8, s28, v10
	s_cselect_b32 s6, s9, s29
	s_wait_alu 0xfffe
	s_cselect_b32 s2, s3, s2
	v_dual_mov_b32 v53, 0 :: v_dual_lshlrev_b32 v6, 2, v15
	v_or_b32_e32 v45, 0x4000, v0
	v_dual_mov_b32 v0, 0xfeffffff :: v_dual_lshlrev_b32 v11, 2, v19
	v_mov_b32_e32 v56, 0
	s_add_co_i32 s3, s6, 1
	s_wait_alu 0xfffe
	s_cmp_ge_u32 s2, s10
	v_mad_u32_u24 v9, 0x90, v5, v6
	s_cselect_b32 s6, s3, s6
	v_lshl_add_u32 v6, s42, 5, v4
	v_lshl_or_b32 v11, v10, 8, v11
	v_lshl_add_u32 v10, s28, 4, v8
	s_wait_alu 0xfffe
	s_xor_b32 s6, s6, s8
	s_mul_u64 s[2:3], s[4:5], s[34:35]
	s_wait_alu 0xfffe
	s_sub_co_i32 s6, s6, s8
	v_dual_mov_b32 v54, 0 :: v_dual_add_nc_u32 v39, 0x4000, v9
	s_wait_alu 0xfffe
	s_mul_i32 s8, s6, s13
	v_ashrrev_i32_e32 v5, 31, v4
	v_dual_mov_b32 v55, 0 :: v_dual_add_nc_u32 v40, 0x5200, v9
	v_ashrrev_i32_e32 v7, 31, v6
	v_dual_mov_b32 v58, 0 :: v_dual_add_nc_u32 v43, 0x4000, v11
	;; [unrolled: 2-line block ×3, first 2 shown]
	v_ashrrev_i32_e32 v11, 31, v10
	v_lshl_add_u32 v42, v1, 10, 0x6400
	s_add_nc_u64 s[2:3], s[14:15], s[2:3]
	s_ashr_i32 s9, s8, 31
	v_mad_co_u64_u32 v[12:13], null, v3, s19, v[25:26]
	s_mul_u64 s[4:5], s[44:45], s[34:35]
	s_wait_alu 0xfffe
	s_add_nc_u64 s[44:45], s[2:3], s[8:9]
	s_movk_i32 s2, 0x4000
	s_mul_i32 s6, s6, s7
	v_lshlrev_b64_e32 v[13:14], 2, v[4:5]
	v_dual_mov_b32 v59, 0 :: v_dual_lshlrev_b32 v46, 2, v15
	v_lshlrev_b64_e32 v[15:16], 2, v[6:7]
	v_lshlrev_b64_e32 v[17:18], 2, v[8:9]
	v_dual_mov_b32 v61, 0 :: v_dual_lshlrev_b32 v48, 2, v19
	v_lshlrev_b64_e32 v[19:20], 2, v[10:11]
	s_wait_alu 0xfffe
	v_mad_u32_u24 v41, 0x90, v25, s2
	v_xor_b32_e32 v31, 16, v29
	v_xor_b32_e32 v27, 8, v29
	;; [unrolled: 1-line block ×5, first 2 shown]
	v_dual_mov_b32 v60, 0 :: v_dual_add_nc_u32 v47, v42, v2
	v_dual_mov_b32 v62, 0 :: v_dual_add_nc_u32 v49, 0x800, v45
	;; [unrolled: 1-line block ×4, first 2 shown]
	v_dual_mov_b32 v65, 0 :: v_dual_mov_b32 v66, 0
	v_dual_mov_b32 v67, 0 :: v_dual_mov_b32 v2, 0xfeffffff
	;; [unrolled: 1-line block ×9, first 2 shown]
	s_add_nc_u64 s[4:5], s[16:17], s[4:5]
	s_ashr_i32 s7, s6, 31
	s_ashr_i32 s43, s42, 31
	s_wait_alu 0xfffe
	s_add_nc_u64 s[46:47], s[4:5], s[6:7]
	s_ashr_i32 s29, s28, 31
	s_add_nc_u64 s[48:49], s[0:1], 0xd0
.LBB0_9:                                ; =>This Inner Loop Header: Depth=1
	s_ashr_i32 s23, s22, 31
	v_mov_b32_e32 v82, 0
	s_wait_alu 0xfffe
	s_mul_u64 s[2:3], s[22:23], s[42:43]
	v_mov_b32_e32 v78, 0
	s_wait_alu 0xfffe
	s_lshl_b64 s[2:3], s[2:3], 2
	v_dual_mov_b32 v76, 0 :: v_dual_mov_b32 v81, 0
	s_wait_alu 0xfffe
	s_add_nc_u64 s[2:3], s[44:45], s[2:3]
	v_dual_mov_b32 v74, 0 :: v_dual_mov_b32 v79, 0
	s_wait_alu 0xfffe
	v_add_co_u32 v8, vcc_lo, s2, v13
	s_wait_alu 0xfffd
	v_add_co_ci_u32_e64 v9, null, s3, v14, vcc_lo
	v_dual_mov_b32 v72, 0 :: v_dual_mov_b32 v77, 0
	s_delay_alu instid0(VALU_DEP_3) | instskip(SKIP_1) | instid1(VALU_DEP_3)
	v_add_co_u32 v8, vcc_lo, v8, v46
	s_wait_alu 0xfffd
	v_add_co_ci_u32_e64 v9, null, 0, v9, vcc_lo
	v_add_co_u32 v10, vcc_lo, s2, v15
	s_wait_alu 0xfffd
	v_add_co_ci_u32_e64 v11, null, s3, v16, vcc_lo
	global_load_b128 v[68:71], v[8:9], off
	v_add_co_u32 v10, vcc_lo, v10, v46
	s_wait_alu 0xfffd
	v_add_co_ci_u32_e64 v11, null, 0, v11, vcc_lo
	v_dual_mov_b32 v80, 0 :: v_dual_mov_b32 v75, 0
	v_mov_b32_e32 v73, 0
	s_wait_loadcnt 0x0
	ds_store_b128 v39, v[68:71]
	global_load_b128 v[68:71], v[10:11], off
	s_wait_loadcnt 0x0
	ds_store_b128 v40, v[68:71]
	s_wait_dscnt 0x0
	s_barrier_signal -1
	s_barrier_wait -1
	global_inv scope:SCOPE_SE
	ds_load_b128 v[83:86], v41
	ds_load_b128 v[87:90], v21
	ds_load_b128 v[91:94], v21 offset:256
	ds_load_b128 v[95:98], v21 offset:512
	ds_load_b128 v[99:102], v21 offset:768
	ds_load_b128 v[103:106], v41 offset:4608
	ds_load_b128 v[107:110], v21 offset:1024
	ds_load_b128 v[111:114], v21 offset:1280
	ds_load_b128 v[115:118], v21 offset:1536
	ds_load_b128 v[119:122], v21 offset:1792
	v_mov_b32_e32 v69, 0
	s_wait_dscnt 0x8
	;;#ASMSTART
	v_dot2_f32_f16 v82, v83, v87, v82
	;;#ASMEND
	;;#ASMSTART
	v_dot2_f32_f16 v82, v84, v88, v82
	;;#ASMEND
	;;#ASMSTART
	v_dot2_f32_f16 v82, v85, v89, v82
	;;#ASMEND
	;;#ASMSTART
	v_dot2_f32_f16 v82, v86, v90, v82
	;;#ASMEND
	s_wait_dscnt 0x7
	;;#ASMSTART
	v_dot2_f32_f16 v78, v83, v91, v78
	;;#ASMEND
	;;#ASMSTART
	v_dot2_f32_f16 v78, v84, v92, v78
	;;#ASMEND
	;;#ASMSTART
	v_dot2_f32_f16 v78, v85, v93, v78
	;;#ASMEND
	;;#ASMSTART
	v_dot2_f32_f16 v78, v86, v94, v78
	;;#ASMEND
	;; [unrolled: 13-line block ×4, first 2 shown]
	s_wait_dscnt 0x3
	;;#ASMSTART
	v_dot2_f32_f16 v72, v83, v107, v72
	;;#ASMEND
	;;#ASMSTART
	v_dot2_f32_f16 v72, v84, v108, v72
	;;#ASMEND
	;; [unrolled: 3-line block ×3, first 2 shown]
	v_mov_b32_e32 v70, 0
	;;#ASMSTART
	v_dot2_f32_f16 v72, v86, v110, v72
	;;#ASMEND
	s_wait_dscnt 0x2
	;;#ASMSTART
	v_dot2_f32_f16 v70, v83, v111, v70
	;;#ASMEND
	;;#ASMSTART
	v_dot2_f32_f16 v70, v84, v112, v70
	;;#ASMEND
	;; [unrolled: 3-line block ×4, first 2 shown]
	s_wait_dscnt 0x1
	;;#ASMSTART
	v_dot2_f32_f16 v69, v83, v115, v69
	;;#ASMEND
	;;#ASMSTART
	v_dot2_f32_f16 v69, v84, v116, v69
	;;#ASMEND
	;; [unrolled: 3-line block ×3, first 2 shown]
	v_mov_b32_e32 v68, 0
	;;#ASMSTART
	v_dot2_f32_f16 v69, v86, v118, v69
	;;#ASMEND
	s_wait_dscnt 0x0
	;;#ASMSTART
	v_dot2_f32_f16 v68, v83, v119, v68
	;;#ASMEND
	;;#ASMSTART
	v_dot2_f32_f16 v68, v84, v120, v68
	;;#ASMEND
	;; [unrolled: 3-line block ×3, first 2 shown]
	v_mov_b32_e32 v83, 0
	;;#ASMSTART
	v_dot2_f32_f16 v68, v86, v122, v68
	;;#ASMEND
	;;#ASMSTART
	v_dot2_f32_f16 v83, v103, v87, v83
	;;#ASMEND
	;; [unrolled: 3-line block ×9, first 2 shown]
	v_mov_b32_e32 v71, 0
	;;#ASMSTART
	v_dot2_f32_f16 v80, v103, v95, v80
	;;#ASMEND
	;;#ASMSTART
	v_dot2_f32_f16 v80, v104, v96, v80
	;;#ASMEND
	;; [unrolled: 3-line block ×24, first 2 shown]
	ds_load_b128 v[84:87], v41 offset:16
	ds_load_b128 v[88:91], v21 offset:16
	;; [unrolled: 1-line block ×10, first 2 shown]
	s_wait_dscnt 0x8
	;;#ASMSTART
	v_dot2_f32_f16 v82, v84, v88, v82
	;;#ASMEND
	;;#ASMSTART
	v_dot2_f32_f16 v82, v85, v89, v82
	;;#ASMEND
	;;#ASMSTART
	v_dot2_f32_f16 v82, v86, v90, v82
	;;#ASMEND
	;;#ASMSTART
	v_dot2_f32_f16 v82, v87, v91, v82
	;;#ASMEND
	s_wait_dscnt 0x7
	;;#ASMSTART
	v_dot2_f32_f16 v78, v84, v92, v78
	;;#ASMEND
	;;#ASMSTART
	v_dot2_f32_f16 v78, v85, v93, v78
	;;#ASMEND
	;;#ASMSTART
	v_dot2_f32_f16 v78, v86, v94, v78
	;;#ASMEND
	;;#ASMSTART
	v_dot2_f32_f16 v78, v87, v95, v78
	;;#ASMEND
	;; [unrolled: 13-line block ×8, first 2 shown]
	;;#ASMSTART
	v_dot2_f32_f16 v83, v104, v88, v83
	;;#ASMEND
	;;#ASMSTART
	v_dot2_f32_f16 v83, v105, v89, v83
	;;#ASMEND
	;; [unrolled: 3-line block ×32, first 2 shown]
	ds_load_b128 v[84:87], v41 offset:32
	ds_load_b128 v[88:91], v21 offset:32
	;; [unrolled: 1-line block ×10, first 2 shown]
	s_wait_dscnt 0x8
	;;#ASMSTART
	v_dot2_f32_f16 v82, v84, v88, v82
	;;#ASMEND
	;;#ASMSTART
	v_dot2_f32_f16 v82, v85, v89, v82
	;;#ASMEND
	;;#ASMSTART
	v_dot2_f32_f16 v82, v86, v90, v82
	;;#ASMEND
	;;#ASMSTART
	v_dot2_f32_f16 v82, v87, v91, v82
	;;#ASMEND
	s_wait_dscnt 0x7
	;;#ASMSTART
	v_dot2_f32_f16 v78, v84, v92, v78
	;;#ASMEND
	;;#ASMSTART
	v_dot2_f32_f16 v78, v85, v93, v78
	;;#ASMEND
	;;#ASMSTART
	v_dot2_f32_f16 v78, v86, v94, v78
	;;#ASMEND
	;;#ASMSTART
	v_dot2_f32_f16 v78, v87, v95, v78
	;;#ASMEND
	;; [unrolled: 13-line block ×8, first 2 shown]
	;;#ASMSTART
	v_dot2_f32_f16 v83, v104, v88, v83
	;;#ASMEND
	;;#ASMSTART
	v_dot2_f32_f16 v83, v105, v89, v83
	;;#ASMEND
	;;#ASMSTART
	v_dot2_f32_f16 v83, v106, v90, v83
	;;#ASMEND
	;;#ASMSTART
	v_dot2_f32_f16 v83, v107, v91, v83
	;;#ASMEND
	;;#ASMSTART
	v_dot2_f32_f16 v81, v104, v92, v81
	;;#ASMEND
	;;#ASMSTART
	v_dot2_f32_f16 v81, v105, v93, v81
	;;#ASMEND
	;;#ASMSTART
	v_dot2_f32_f16 v81, v106, v94, v81
	;;#ASMEND
	;;#ASMSTART
	v_dot2_f32_f16 v81, v107, v95, v81
	;;#ASMEND
	;;#ASMSTART
	v_dot2_f32_f16 v80, v104, v96, v80
	;;#ASMEND
	;;#ASMSTART
	v_dot2_f32_f16 v80, v105, v97, v80
	;;#ASMEND
	;;#ASMSTART
	v_dot2_f32_f16 v80, v106, v98, v80
	;;#ASMEND
	;;#ASMSTART
	v_dot2_f32_f16 v80, v107, v99, v80
	;;#ASMEND
	;;#ASMSTART
	v_dot2_f32_f16 v79, v104, v100, v79
	;;#ASMEND
	;;#ASMSTART
	v_dot2_f32_f16 v79, v105, v101, v79
	;;#ASMEND
	;;#ASMSTART
	v_dot2_f32_f16 v79, v106, v102, v79
	;;#ASMEND
	;;#ASMSTART
	v_dot2_f32_f16 v79, v107, v103, v79
	;;#ASMEND
	;;#ASMSTART
	v_dot2_f32_f16 v77, v104, v108, v77
	;;#ASMEND
	;;#ASMSTART
	v_dot2_f32_f16 v77, v105, v109, v77
	;;#ASMEND
	;;#ASMSTART
	v_dot2_f32_f16 v77, v106, v110, v77
	;;#ASMEND
	;;#ASMSTART
	v_dot2_f32_f16 v77, v107, v111, v77
	;;#ASMEND
	;;#ASMSTART
	v_dot2_f32_f16 v75, v104, v112, v75
	;;#ASMEND
	;;#ASMSTART
	v_dot2_f32_f16 v75, v105, v113, v75
	;;#ASMEND
	;;#ASMSTART
	v_dot2_f32_f16 v75, v106, v114, v75
	;;#ASMEND
	;;#ASMSTART
	v_dot2_f32_f16 v75, v107, v115, v75
	;;#ASMEND
	;;#ASMSTART
	v_dot2_f32_f16 v73, v104, v116, v73
	;;#ASMEND
	;;#ASMSTART
	v_dot2_f32_f16 v73, v105, v117, v73
	;;#ASMEND
	;;#ASMSTART
	v_dot2_f32_f16 v73, v106, v118, v73
	;;#ASMEND
	;;#ASMSTART
	v_dot2_f32_f16 v73, v107, v119, v73
	;;#ASMEND
	;;#ASMSTART
	v_dot2_f32_f16 v71, v104, v120, v71
	;;#ASMEND
	;;#ASMSTART
	v_dot2_f32_f16 v71, v105, v121, v71
	;;#ASMEND
	;;#ASMSTART
	v_dot2_f32_f16 v71, v106, v122, v71
	;;#ASMEND
	;;#ASMSTART
	v_dot2_f32_f16 v71, v107, v123, v71
	;;#ASMEND
	ds_load_b128 v[84:87], v41 offset:48
	ds_load_b128 v[88:91], v21 offset:48
	;; [unrolled: 1-line block ×10, first 2 shown]
	s_wait_dscnt 0x8
	;;#ASMSTART
	v_dot2_f32_f16 v82, v84, v88, v82
	;;#ASMEND
	;;#ASMSTART
	v_dot2_f32_f16 v82, v85, v89, v82
	;;#ASMEND
	;;#ASMSTART
	v_dot2_f32_f16 v82, v86, v90, v82
	;;#ASMEND
	;;#ASMSTART
	v_dot2_f32_f16 v82, v87, v91, v82
	;;#ASMEND
	s_wait_dscnt 0x7
	;;#ASMSTART
	v_dot2_f32_f16 v78, v84, v92, v78
	;;#ASMEND
	;;#ASMSTART
	v_dot2_f32_f16 v78, v85, v93, v78
	;;#ASMEND
	;;#ASMSTART
	v_dot2_f32_f16 v78, v86, v94, v78
	;;#ASMEND
	;;#ASMSTART
	v_dot2_f32_f16 v78, v87, v95, v78
	;;#ASMEND
	;; [unrolled: 13-line block ×8, first 2 shown]
	;;#ASMSTART
	v_dot2_f32_f16 v83, v104, v88, v83
	;;#ASMEND
	;;#ASMSTART
	v_dot2_f32_f16 v83, v105, v89, v83
	;;#ASMEND
	;;#ASMSTART
	v_dot2_f32_f16 v83, v106, v90, v83
	;;#ASMEND
	;;#ASMSTART
	v_dot2_f32_f16 v83, v107, v91, v83
	;;#ASMEND
	;;#ASMSTART
	v_dot2_f32_f16 v81, v104, v92, v81
	;;#ASMEND
	;;#ASMSTART
	v_dot2_f32_f16 v81, v105, v93, v81
	;;#ASMEND
	;;#ASMSTART
	v_dot2_f32_f16 v81, v106, v94, v81
	;;#ASMEND
	;;#ASMSTART
	v_dot2_f32_f16 v81, v107, v95, v81
	;;#ASMEND
	;;#ASMSTART
	v_dot2_f32_f16 v80, v104, v96, v80
	;;#ASMEND
	;;#ASMSTART
	v_dot2_f32_f16 v80, v105, v97, v80
	;;#ASMEND
	;;#ASMSTART
	v_dot2_f32_f16 v80, v106, v98, v80
	;;#ASMEND
	;;#ASMSTART
	v_dot2_f32_f16 v80, v107, v99, v80
	;;#ASMEND
	;;#ASMSTART
	v_dot2_f32_f16 v79, v104, v100, v79
	;;#ASMEND
	;;#ASMSTART
	v_dot2_f32_f16 v79, v105, v101, v79
	;;#ASMEND
	;;#ASMSTART
	v_dot2_f32_f16 v79, v106, v102, v79
	;;#ASMEND
	;;#ASMSTART
	v_dot2_f32_f16 v79, v107, v103, v79
	;;#ASMEND
	;;#ASMSTART
	v_dot2_f32_f16 v77, v104, v108, v77
	;;#ASMEND
	;;#ASMSTART
	v_dot2_f32_f16 v77, v105, v109, v77
	;;#ASMEND
	;;#ASMSTART
	v_dot2_f32_f16 v77, v106, v110, v77
	;;#ASMEND
	;;#ASMSTART
	v_dot2_f32_f16 v77, v107, v111, v77
	;;#ASMEND
	;;#ASMSTART
	v_dot2_f32_f16 v75, v104, v112, v75
	;;#ASMEND
	;;#ASMSTART
	v_dot2_f32_f16 v75, v105, v113, v75
	;;#ASMEND
	;;#ASMSTART
	v_dot2_f32_f16 v75, v106, v114, v75
	;;#ASMEND
	;;#ASMSTART
	v_dot2_f32_f16 v75, v107, v115, v75
	;;#ASMEND
	;;#ASMSTART
	v_dot2_f32_f16 v73, v104, v116, v73
	;;#ASMEND
	;;#ASMSTART
	v_dot2_f32_f16 v73, v105, v117, v73
	;;#ASMEND
	;;#ASMSTART
	v_dot2_f32_f16 v73, v106, v118, v73
	;;#ASMEND
	;;#ASMSTART
	v_dot2_f32_f16 v73, v107, v119, v73
	;;#ASMEND
	;;#ASMSTART
	v_dot2_f32_f16 v71, v104, v120, v71
	;;#ASMEND
	;;#ASMSTART
	v_dot2_f32_f16 v71, v105, v121, v71
	;;#ASMEND
	;;#ASMSTART
	v_dot2_f32_f16 v71, v106, v122, v71
	;;#ASMEND
	;;#ASMSTART
	v_dot2_f32_f16 v71, v107, v123, v71
	;;#ASMEND
	ds_load_b128 v[84:87], v41 offset:64
	ds_load_b128 v[88:91], v21 offset:64
	ds_load_b128 v[92:95], v21 offset:320
	ds_load_b128 v[96:99], v21 offset:576
	ds_load_b128 v[100:103], v21 offset:832
	ds_load_b128 v[104:107], v41 offset:4672
	ds_load_b128 v[108:111], v21 offset:1088
	ds_load_b128 v[112:115], v21 offset:1344
	ds_load_b128 v[116:119], v21 offset:1600
	ds_load_b128 v[120:123], v21 offset:1856
	s_wait_dscnt 0x8
	;;#ASMSTART
	v_dot2_f32_f16 v82, v84, v88, v82
	;;#ASMEND
	;;#ASMSTART
	v_dot2_f32_f16 v82, v85, v89, v82
	;;#ASMEND
	;;#ASMSTART
	v_dot2_f32_f16 v82, v86, v90, v82
	;;#ASMEND
	;;#ASMSTART
	v_dot2_f32_f16 v82, v87, v91, v82
	;;#ASMEND
	s_wait_dscnt 0x7
	;;#ASMSTART
	v_dot2_f32_f16 v78, v84, v92, v78
	;;#ASMEND
	;;#ASMSTART
	v_dot2_f32_f16 v78, v85, v93, v78
	;;#ASMEND
	;;#ASMSTART
	v_dot2_f32_f16 v78, v86, v94, v78
	;;#ASMEND
	;;#ASMSTART
	v_dot2_f32_f16 v78, v87, v95, v78
	;;#ASMEND
	;; [unrolled: 13-line block ×8, first 2 shown]
	;;#ASMSTART
	v_dot2_f32_f16 v83, v104, v88, v83
	;;#ASMEND
	;;#ASMSTART
	v_dot2_f32_f16 v83, v105, v89, v83
	;;#ASMEND
	;; [unrolled: 3-line block ×32, first 2 shown]
	ds_load_b128 v[84:87], v41 offset:80
	ds_load_b128 v[88:91], v21 offset:80
	;; [unrolled: 1-line block ×10, first 2 shown]
	s_wait_dscnt 0x8
	;;#ASMSTART
	v_dot2_f32_f16 v82, v84, v88, v82
	;;#ASMEND
	;;#ASMSTART
	v_dot2_f32_f16 v82, v85, v89, v82
	;;#ASMEND
	;;#ASMSTART
	v_dot2_f32_f16 v82, v86, v90, v82
	;;#ASMEND
	;;#ASMSTART
	v_dot2_f32_f16 v82, v87, v91, v82
	;;#ASMEND
	s_wait_dscnt 0x7
	;;#ASMSTART
	v_dot2_f32_f16 v78, v84, v92, v78
	;;#ASMEND
	;;#ASMSTART
	v_dot2_f32_f16 v78, v85, v93, v78
	;;#ASMEND
	;;#ASMSTART
	v_dot2_f32_f16 v78, v86, v94, v78
	;;#ASMEND
	;;#ASMSTART
	v_dot2_f32_f16 v78, v87, v95, v78
	;;#ASMEND
	s_wait_dscnt 0x6
	;;#ASMSTART
	v_dot2_f32_f16 v76, v84, v96, v76
	;;#ASMEND
	;;#ASMSTART
	v_dot2_f32_f16 v76, v85, v97, v76
	;;#ASMEND
	;;#ASMSTART
	v_dot2_f32_f16 v76, v86, v98, v76
	;;#ASMEND
	;;#ASMSTART
	v_dot2_f32_f16 v76, v87, v99, v76
	;;#ASMEND
	s_wait_dscnt 0x5
	;;#ASMSTART
	v_dot2_f32_f16 v74, v84, v100, v74
	;;#ASMEND
	;;#ASMSTART
	v_dot2_f32_f16 v74, v85, v101, v74
	;;#ASMEND
	;;#ASMSTART
	v_dot2_f32_f16 v74, v86, v102, v74
	;;#ASMEND
	;;#ASMSTART
	v_dot2_f32_f16 v74, v87, v103, v74
	;;#ASMEND
	s_wait_dscnt 0x3
	;;#ASMSTART
	v_dot2_f32_f16 v72, v84, v108, v72
	;;#ASMEND
	;;#ASMSTART
	v_dot2_f32_f16 v72, v85, v109, v72
	;;#ASMEND
	;;#ASMSTART
	v_dot2_f32_f16 v72, v86, v110, v72
	;;#ASMEND
	;;#ASMSTART
	v_dot2_f32_f16 v72, v87, v111, v72
	;;#ASMEND
	s_wait_dscnt 0x2
	;;#ASMSTART
	v_dot2_f32_f16 v70, v84, v112, v70
	;;#ASMEND
	;;#ASMSTART
	v_dot2_f32_f16 v70, v85, v113, v70
	;;#ASMEND
	;;#ASMSTART
	v_dot2_f32_f16 v70, v86, v114, v70
	;;#ASMEND
	;;#ASMSTART
	v_dot2_f32_f16 v70, v87, v115, v70
	;;#ASMEND
	s_wait_dscnt 0x1
	;;#ASMSTART
	v_dot2_f32_f16 v69, v84, v116, v69
	;;#ASMEND
	;;#ASMSTART
	v_dot2_f32_f16 v69, v85, v117, v69
	;;#ASMEND
	;;#ASMSTART
	v_dot2_f32_f16 v69, v86, v118, v69
	;;#ASMEND
	;;#ASMSTART
	v_dot2_f32_f16 v69, v87, v119, v69
	;;#ASMEND
	s_wait_dscnt 0x0
	;;#ASMSTART
	v_dot2_f32_f16 v68, v84, v120, v68
	;;#ASMEND
	;;#ASMSTART
	v_dot2_f32_f16 v68, v85, v121, v68
	;;#ASMEND
	;;#ASMSTART
	v_dot2_f32_f16 v68, v86, v122, v68
	;;#ASMEND
	;;#ASMSTART
	v_dot2_f32_f16 v68, v87, v123, v68
	;;#ASMEND
	;;#ASMSTART
	v_dot2_f32_f16 v83, v104, v88, v83
	;;#ASMEND
	;;#ASMSTART
	v_dot2_f32_f16 v83, v105, v89, v83
	;;#ASMEND
	;; [unrolled: 3-line block ×32, first 2 shown]
	ds_load_b128 v[84:87], v41 offset:96
	ds_load_b128 v[88:91], v21 offset:96
	;; [unrolled: 1-line block ×10, first 2 shown]
	s_wait_dscnt 0x8
	;;#ASMSTART
	v_dot2_f32_f16 v82, v84, v88, v82
	;;#ASMEND
	;;#ASMSTART
	v_dot2_f32_f16 v82, v85, v89, v82
	;;#ASMEND
	;;#ASMSTART
	v_dot2_f32_f16 v82, v86, v90, v82
	;;#ASMEND
	;;#ASMSTART
	v_dot2_f32_f16 v82, v87, v91, v82
	;;#ASMEND
	s_wait_dscnt 0x7
	;;#ASMSTART
	v_dot2_f32_f16 v78, v84, v92, v78
	;;#ASMEND
	;;#ASMSTART
	v_dot2_f32_f16 v78, v85, v93, v78
	;;#ASMEND
	;;#ASMSTART
	v_dot2_f32_f16 v78, v86, v94, v78
	;;#ASMEND
	;;#ASMSTART
	v_dot2_f32_f16 v78, v87, v95, v78
	;;#ASMEND
	;; [unrolled: 13-line block ×8, first 2 shown]
	;;#ASMSTART
	v_dot2_f32_f16 v83, v104, v88, v83
	;;#ASMEND
	;;#ASMSTART
	v_dot2_f32_f16 v83, v105, v89, v83
	;;#ASMEND
	;; [unrolled: 3-line block ×32, first 2 shown]
	ds_load_b128 v[84:87], v41 offset:112
	ds_load_b128 v[88:91], v21 offset:112
	;; [unrolled: 1-line block ×10, first 2 shown]
	s_wait_dscnt 0x8
	;;#ASMSTART
	v_dot2_f32_f16 v82, v84, v88, v82
	;;#ASMEND
	;;#ASMSTART
	v_dot2_f32_f16 v82, v85, v89, v82
	;;#ASMEND
	;;#ASMSTART
	v_dot2_f32_f16 v82, v86, v90, v82
	;;#ASMEND
	;;#ASMSTART
	v_dot2_f32_f16 v82, v87, v91, v82
	;;#ASMEND
	s_wait_dscnt 0x7
	;;#ASMSTART
	v_dot2_f32_f16 v78, v84, v92, v78
	;;#ASMEND
	;;#ASMSTART
	v_dot2_f32_f16 v78, v85, v93, v78
	;;#ASMEND
	;;#ASMSTART
	v_dot2_f32_f16 v78, v86, v94, v78
	;;#ASMEND
	;;#ASMSTART
	v_dot2_f32_f16 v78, v87, v95, v78
	;;#ASMEND
	;; [unrolled: 13-line block ×8, first 2 shown]
	;;#ASMSTART
	v_dot2_f32_f16 v83, v104, v88, v83
	;;#ASMEND
	;;#ASMSTART
	v_dot2_f32_f16 v83, v105, v89, v83
	;;#ASMEND
	;; [unrolled: 3-line block ×32, first 2 shown]
	s_wait_loadcnt 0x0
	s_barrier_signal -1
	s_barrier_wait -1
	global_inv scope:SCOPE_SE
	s_clause 0x1
	global_load_b128 v[84:87], v[8:9], off offset:128
	global_load_b128 v[8:11], v[10:11], off offset:128
	s_wait_loadcnt 0x1
	ds_store_b128 v39, v[84:87]
	s_wait_loadcnt 0x0
	ds_store_b128 v40, v[8:11]
	s_wait_dscnt 0x0
	s_barrier_signal -1
	s_barrier_wait -1
	global_inv scope:SCOPE_SE
	ds_load_b128 v[8:11], v41
	ds_load_b128 v[84:87], v21 offset:128
	ds_load_b128 v[88:91], v21 offset:384
	ds_load_b128 v[92:95], v21 offset:640
	ds_load_b128 v[96:99], v21 offset:896
	ds_load_b128 v[100:103], v41 offset:4608
	ds_load_b128 v[104:107], v21 offset:1152
	ds_load_b128 v[108:111], v21 offset:1408
	ds_load_b128 v[112:115], v21 offset:1664
	ds_load_b128 v[116:119], v21 offset:1920
	s_wait_dscnt 0x8
	;;#ASMSTART
	v_dot2_f32_f16 v82, v8, v84, v82
	;;#ASMEND
	;;#ASMSTART
	v_dot2_f32_f16 v82, v9, v85, v82
	;;#ASMEND
	;;#ASMSTART
	v_dot2_f32_f16 v82, v10, v86, v82
	;;#ASMEND
	;;#ASMSTART
	v_dot2_f32_f16 v82, v11, v87, v82
	;;#ASMEND
	s_wait_dscnt 0x7
	;;#ASMSTART
	v_dot2_f32_f16 v78, v8, v88, v78
	;;#ASMEND
	;;#ASMSTART
	v_dot2_f32_f16 v78, v9, v89, v78
	;;#ASMEND
	;;#ASMSTART
	v_dot2_f32_f16 v78, v10, v90, v78
	;;#ASMEND
	;;#ASMSTART
	v_dot2_f32_f16 v78, v11, v91, v78
	;;#ASMEND
	;; [unrolled: 13-line block ×8, first 2 shown]
	;;#ASMSTART
	v_dot2_f32_f16 v83, v100, v84, v83
	;;#ASMEND
	;;#ASMSTART
	v_dot2_f32_f16 v83, v101, v85, v83
	;;#ASMEND
	;; [unrolled: 3-line block ×32, first 2 shown]
	ds_load_b128 v[8:11], v41 offset:16
	ds_load_b128 v[84:87], v21 offset:144
	;; [unrolled: 1-line block ×10, first 2 shown]
	s_wait_dscnt 0x8
	;;#ASMSTART
	v_dot2_f32_f16 v82, v8, v84, v82
	;;#ASMEND
	;;#ASMSTART
	v_dot2_f32_f16 v82, v9, v85, v82
	;;#ASMEND
	;;#ASMSTART
	v_dot2_f32_f16 v82, v10, v86, v82
	;;#ASMEND
	;;#ASMSTART
	v_dot2_f32_f16 v82, v11, v87, v82
	;;#ASMEND
	s_wait_dscnt 0x7
	;;#ASMSTART
	v_dot2_f32_f16 v78, v8, v88, v78
	;;#ASMEND
	;;#ASMSTART
	v_dot2_f32_f16 v78, v9, v89, v78
	;;#ASMEND
	;;#ASMSTART
	v_dot2_f32_f16 v78, v10, v90, v78
	;;#ASMEND
	;;#ASMSTART
	v_dot2_f32_f16 v78, v11, v91, v78
	;;#ASMEND
	;; [unrolled: 13-line block ×8, first 2 shown]
	;;#ASMSTART
	v_dot2_f32_f16 v83, v100, v84, v83
	;;#ASMEND
	;;#ASMSTART
	v_dot2_f32_f16 v83, v101, v85, v83
	;;#ASMEND
	;; [unrolled: 3-line block ×32, first 2 shown]
	ds_load_b128 v[8:11], v41 offset:32
	ds_load_b128 v[84:87], v21 offset:160
	;; [unrolled: 1-line block ×10, first 2 shown]
	s_wait_dscnt 0x8
	;;#ASMSTART
	v_dot2_f32_f16 v82, v8, v84, v82
	;;#ASMEND
	;;#ASMSTART
	v_dot2_f32_f16 v82, v9, v85, v82
	;;#ASMEND
	;;#ASMSTART
	v_dot2_f32_f16 v82, v10, v86, v82
	;;#ASMEND
	;;#ASMSTART
	v_dot2_f32_f16 v82, v11, v87, v82
	;;#ASMEND
	s_wait_dscnt 0x7
	;;#ASMSTART
	v_dot2_f32_f16 v78, v8, v88, v78
	;;#ASMEND
	;;#ASMSTART
	v_dot2_f32_f16 v78, v9, v89, v78
	;;#ASMEND
	;;#ASMSTART
	v_dot2_f32_f16 v78, v10, v90, v78
	;;#ASMEND
	;;#ASMSTART
	v_dot2_f32_f16 v78, v11, v91, v78
	;;#ASMEND
	;; [unrolled: 13-line block ×8, first 2 shown]
	;;#ASMSTART
	v_dot2_f32_f16 v83, v100, v84, v83
	;;#ASMEND
	;;#ASMSTART
	v_dot2_f32_f16 v83, v101, v85, v83
	;;#ASMEND
	;; [unrolled: 3-line block ×32, first 2 shown]
	ds_load_b128 v[8:11], v41 offset:48
	ds_load_b128 v[84:87], v21 offset:176
	;; [unrolled: 1-line block ×10, first 2 shown]
	s_wait_dscnt 0x8
	;;#ASMSTART
	v_dot2_f32_f16 v82, v8, v84, v82
	;;#ASMEND
	;;#ASMSTART
	v_dot2_f32_f16 v82, v9, v85, v82
	;;#ASMEND
	;;#ASMSTART
	v_dot2_f32_f16 v82, v10, v86, v82
	;;#ASMEND
	;;#ASMSTART
	v_dot2_f32_f16 v82, v11, v87, v82
	;;#ASMEND
	s_wait_dscnt 0x7
	;;#ASMSTART
	v_dot2_f32_f16 v78, v8, v88, v78
	;;#ASMEND
	;;#ASMSTART
	v_dot2_f32_f16 v78, v9, v89, v78
	;;#ASMEND
	;;#ASMSTART
	v_dot2_f32_f16 v78, v10, v90, v78
	;;#ASMEND
	;;#ASMSTART
	v_dot2_f32_f16 v78, v11, v91, v78
	;;#ASMEND
	;; [unrolled: 13-line block ×8, first 2 shown]
	;;#ASMSTART
	v_dot2_f32_f16 v83, v100, v84, v83
	;;#ASMEND
	;;#ASMSTART
	v_dot2_f32_f16 v83, v101, v85, v83
	;;#ASMEND
	;; [unrolled: 3-line block ×32, first 2 shown]
	ds_load_b128 v[8:11], v41 offset:64
	ds_load_b128 v[84:87], v21 offset:192
	;; [unrolled: 1-line block ×10, first 2 shown]
	s_wait_dscnt 0x8
	;;#ASMSTART
	v_dot2_f32_f16 v82, v8, v84, v82
	;;#ASMEND
	;;#ASMSTART
	v_dot2_f32_f16 v82, v9, v85, v82
	;;#ASMEND
	;;#ASMSTART
	v_dot2_f32_f16 v82, v10, v86, v82
	;;#ASMEND
	;;#ASMSTART
	v_dot2_f32_f16 v82, v11, v87, v82
	;;#ASMEND
	s_wait_dscnt 0x7
	;;#ASMSTART
	v_dot2_f32_f16 v78, v8, v88, v78
	;;#ASMEND
	;;#ASMSTART
	v_dot2_f32_f16 v78, v9, v89, v78
	;;#ASMEND
	;;#ASMSTART
	v_dot2_f32_f16 v78, v10, v90, v78
	;;#ASMEND
	;;#ASMSTART
	v_dot2_f32_f16 v78, v11, v91, v78
	;;#ASMEND
	;; [unrolled: 13-line block ×8, first 2 shown]
	;;#ASMSTART
	v_dot2_f32_f16 v83, v100, v84, v83
	;;#ASMEND
	;;#ASMSTART
	v_dot2_f32_f16 v83, v101, v85, v83
	;;#ASMEND
	;; [unrolled: 3-line block ×32, first 2 shown]
	ds_load_b128 v[8:11], v41 offset:80
	ds_load_b128 v[84:87], v21 offset:208
	;; [unrolled: 1-line block ×10, first 2 shown]
	s_wait_dscnt 0x8
	;;#ASMSTART
	v_dot2_f32_f16 v82, v8, v84, v82
	;;#ASMEND
	;;#ASMSTART
	v_dot2_f32_f16 v82, v9, v85, v82
	;;#ASMEND
	;;#ASMSTART
	v_dot2_f32_f16 v82, v10, v86, v82
	;;#ASMEND
	;;#ASMSTART
	v_dot2_f32_f16 v82, v11, v87, v82
	;;#ASMEND
	s_wait_dscnt 0x7
	;;#ASMSTART
	v_dot2_f32_f16 v78, v8, v88, v78
	;;#ASMEND
	;;#ASMSTART
	v_dot2_f32_f16 v78, v9, v89, v78
	;;#ASMEND
	;;#ASMSTART
	v_dot2_f32_f16 v78, v10, v90, v78
	;;#ASMEND
	;;#ASMSTART
	v_dot2_f32_f16 v78, v11, v91, v78
	;;#ASMEND
	;; [unrolled: 13-line block ×8, first 2 shown]
	;;#ASMSTART
	v_dot2_f32_f16 v83, v100, v84, v83
	;;#ASMEND
	;;#ASMSTART
	v_dot2_f32_f16 v83, v101, v85, v83
	;;#ASMEND
	;; [unrolled: 3-line block ×32, first 2 shown]
	ds_load_b128 v[8:11], v41 offset:96
	ds_load_b128 v[84:87], v21 offset:224
	ds_load_b128 v[88:91], v21 offset:480
	ds_load_b128 v[92:95], v21 offset:736
	ds_load_b128 v[96:99], v21 offset:992
	ds_load_b128 v[100:103], v41 offset:4704
	ds_load_b128 v[104:107], v21 offset:1248
	ds_load_b128 v[108:111], v21 offset:1504
	ds_load_b128 v[112:115], v21 offset:1760
	ds_load_b128 v[116:119], v21 offset:2016
	s_wait_dscnt 0x8
	;;#ASMSTART
	v_dot2_f32_f16 v82, v8, v84, v82
	;;#ASMEND
	;;#ASMSTART
	v_dot2_f32_f16 v82, v9, v85, v82
	;;#ASMEND
	;;#ASMSTART
	v_dot2_f32_f16 v82, v10, v86, v82
	;;#ASMEND
	;;#ASMSTART
	v_dot2_f32_f16 v82, v11, v87, v82
	;;#ASMEND
	s_wait_dscnt 0x7
	;;#ASMSTART
	v_dot2_f32_f16 v78, v8, v88, v78
	;;#ASMEND
	;;#ASMSTART
	v_dot2_f32_f16 v78, v9, v89, v78
	;;#ASMEND
	;;#ASMSTART
	v_dot2_f32_f16 v78, v10, v90, v78
	;;#ASMEND
	;;#ASMSTART
	v_dot2_f32_f16 v78, v11, v91, v78
	;;#ASMEND
	;; [unrolled: 13-line block ×8, first 2 shown]
	;;#ASMSTART
	v_dot2_f32_f16 v83, v100, v84, v83
	;;#ASMEND
	;;#ASMSTART
	v_dot2_f32_f16 v83, v101, v85, v83
	;;#ASMEND
	;; [unrolled: 3-line block ×32, first 2 shown]
	ds_load_b128 v[8:11], v41 offset:112
	ds_load_b128 v[84:87], v21 offset:240
	;; [unrolled: 1-line block ×10, first 2 shown]
	s_wait_dscnt 0x8
	;;#ASMSTART
	v_dot2_f32_f16 v82, v8, v84, v82
	;;#ASMEND
	;;#ASMSTART
	v_dot2_f32_f16 v82, v9, v85, v82
	;;#ASMEND
	;;#ASMSTART
	v_dot2_f32_f16 v82, v10, v86, v82
	;;#ASMEND
	;;#ASMSTART
	v_dot2_f32_f16 v82, v11, v87, v82
	;;#ASMEND
	s_wait_dscnt 0x7
	;;#ASMSTART
	v_dot2_f32_f16 v78, v8, v88, v78
	;;#ASMEND
	;;#ASMSTART
	v_dot2_f32_f16 v78, v9, v89, v78
	;;#ASMEND
	;;#ASMSTART
	v_dot2_f32_f16 v78, v10, v90, v78
	;;#ASMEND
	;;#ASMSTART
	v_dot2_f32_f16 v78, v11, v91, v78
	;;#ASMEND
	;; [unrolled: 13-line block ×8, first 2 shown]
	;;#ASMSTART
	v_dot2_f32_f16 v83, v100, v84, v83
	;;#ASMEND
	;;#ASMSTART
	v_dot2_f32_f16 v83, v101, v85, v83
	;;#ASMEND
	v_add_nc_u32_e32 v8, s22, v12
	;;#ASMSTART
	v_dot2_f32_f16 v83, v102, v86, v83
	;;#ASMEND
	;;#ASMSTART
	v_dot2_f32_f16 v83, v103, v87, v83
	;;#ASMEND
	;; [unrolled: 3-line block ×7, first 2 shown]
	v_ashrrev_i32_e32 v9, 31, v8
	;;#ASMSTART
	v_dot2_f32_f16 v80, v101, v93, v80
	;;#ASMEND
	;;#ASMSTART
	v_dot2_f32_f16 v80, v102, v94, v80
	;;#ASMEND
	;; [unrolled: 3-line block ×6, first 2 shown]
	v_lshlrev_b64_e32 v[8:9], 1, v[8:9]
	;;#ASMSTART
	v_dot2_f32_f16 v79, v103, v99, v79
	;;#ASMEND
	;;#ASMSTART
	v_dot2_f32_f16 v77, v100, v104, v77
	;;#ASMEND
	;; [unrolled: 3-line block ×8, first 2 shown]
	v_add_co_u32 v8, vcc_lo, s40, v8
	;;#ASMSTART
	v_dot2_f32_f16 v75, v103, v111, v75
	;;#ASMEND
	;;#ASMSTART
	v_dot2_f32_f16 v73, v100, v112, v73
	;;#ASMEND
	;; [unrolled: 3-line block ×3, first 2 shown]
	s_wait_alu 0xfffd
	v_add_co_ci_u32_e64 v9, null, s41, v9, vcc_lo
	;;#ASMSTART
	v_dot2_f32_f16 v73, v102, v114, v73
	;;#ASMEND
	;;#ASMSTART
	v_dot2_f32_f16 v73, v103, v115, v73
	;;#ASMEND
	;; [unrolled: 3-line block ×6, first 2 shown]
	s_clause 0x1
	global_load_u16 v10, v[8:9], off
	global_load_u16 v8, v[8:9], off offset:64
	v_mov_b32_e32 v84, v0
	v_cmp_gt_i32_e32 vcc_lo, 32, v31
	v_mov_b32_e32 v88, v4
	v_mov_b32_e32 v86, v2
	;; [unrolled: 1-line block ×3, first 2 shown]
	s_wait_loadcnt 0x0
	s_barrier_signal -1
	s_barrier_wait -1
	global_inv scope:SCOPE_SE
	v_mov_b32_e32 v85, v1
	v_mov_b32_e32 v87, v3
	;; [unrolled: 1-line block ×3, first 2 shown]
	v_cvt_f32_f16_e32 v91, v10
	v_cvt_f32_f16_e32 v92, v8
	s_delay_alu instid0(VALU_DEP_1) | instskip(SKIP_3) | instid1(VALU_DEP_4)
	v_dual_add_f32 v9, v82, v91 :: v_dual_add_f32 v8, v83, v92
	v_add_f32_e32 v96, v78, v91
	v_add_f32_e32 v74, v74, v91
	;; [unrolled: 1-line block ×6, first 2 shown]
	v_dual_add_f32 v3, 0x40051340, v74 :: v_dual_add_f32 v72, v72, v91
	v_add_f32_e32 v73, 0x40051340, v98
	s_delay_alu instid0(VALU_DEP_4)
	v_max3_num_f32 v0, v84, v0, v10
	s_wait_alu 0xfffd
	v_cndmask_b32_e32 v10, v29, v31, vcc_lo
	v_cmp_gt_i32_e32 vcc_lo, 32, v27
	v_add_f32_e32 v4, 0x40051340, v72
	v_add_f32_e32 v68, v68, v91
	;; [unrolled: 1-line block ×3, first 2 shown]
	v_dual_add_f32 v97, v75, v92 :: v_dual_lshlrev_b32 v82, 2, v10
	v_add_f32_e32 v70, v70, v91
	s_delay_alu instid0(VALU_DEP_3)
	v_dual_add_f32 v69, v69, v91 :: v_dual_add_f32 v2, 0x40051340, v76
	ds_bpermute_b32 v10, v82, v0
	v_add_f32_e32 v75, 0x40051340, v97
	v_add_f32_e32 v5, 0x40051340, v70
	v_mov_b32_e32 v91, v7
	v_add_f32_e32 v7, 0x40051340, v68
	s_delay_alu instid0(VALU_DEP_3) | instskip(SKIP_2) | instid1(VALU_DEP_1)
	v_max3_num_f32 v5, v89, v5, v75
	s_wait_dscnt 0x0
	v_max_num_f32_e32 v10, v10, v10
	v_max_num_f32_e32 v0, v0, v10
	s_wait_alu 0xfffd
	v_cndmask_b32_e32 v10, v29, v27, vcc_lo
	v_cmp_gt_i32_e32 vcc_lo, 32, v26
	s_delay_alu instid0(VALU_DEP_2) | instskip(SKIP_3) | instid1(VALU_DEP_1)
	v_lshlrev_b32_e32 v83, 2, v10
	ds_bpermute_b32 v10, v83, v0
	s_wait_dscnt 0x0
	v_max_num_f32_e32 v10, v10, v10
	v_max_num_f32_e32 v0, v0, v10
	s_wait_alu 0xfffd
	v_cndmask_b32_e32 v10, v29, v26, vcc_lo
	v_cmp_gt_i32_e32 vcc_lo, 32, v23
	s_delay_alu instid0(VALU_DEP_2) | instskip(SKIP_3) | instid1(VALU_DEP_1)
	v_lshlrev_b32_e32 v93, 2, v10
	ds_bpermute_b32 v10, v93, v0
	;; [unrolled: 9-line block ×3, first 2 shown]
	s_wait_dscnt 0x0
	v_max_num_f32_e32 v10, v10, v10
	v_max_num_f32_e32 v0, v0, v10
	s_wait_alu 0xfffd
	v_cndmask_b32_e32 v10, v29, v22, vcc_lo
	s_delay_alu instid0(VALU_DEP_1) | instskip(SKIP_3) | instid1(VALU_DEP_1)
	v_lshlrev_b32_e32 v95, 2, v10
	ds_bpermute_b32 v10, v95, v0
	s_wait_dscnt 0x0
	v_max_num_f32_e32 v10, v10, v10
	v_max_num_f32_e32 v0, v0, v10
	v_add_f32_e32 v10, v81, v92
	v_add_f32_e32 v81, v77, v92
	s_delay_alu instid0(VALU_DEP_2) | instskip(NEXT) | instid1(VALU_DEP_2)
	v_add_f32_e32 v11, 0x40051340, v10
	v_add_f32_e32 v77, 0x40051340, v81
	s_delay_alu instid0(VALU_DEP_2) | instskip(NEXT) | instid1(VALU_DEP_2)
	v_max3_num_f32 v1, v85, v1, v11
	v_max3_num_f32 v4, v88, v4, v77
	ds_bpermute_b32 v11, v82, v1
	s_wait_dscnt 0x0
	v_max_num_f32_e32 v11, v11, v11
	ds_bpermute_b32 v77, v82, v4
	ds_bpermute_b32 v75, v82, v5
	v_max_num_f32_e32 v1, v1, v11
	ds_bpermute_b32 v11, v83, v1
	s_wait_dscnt 0x2
	v_max_num_f32_e32 v77, v77, v77
	s_wait_dscnt 0x1
	s_delay_alu instid0(VALU_DEP_1) | instskip(NEXT) | instid1(VALU_DEP_1)
	v_dual_max_num_f32 v75, v75, v75 :: v_dual_max_num_f32 v4, v4, v77
	v_max_num_f32_e32 v5, v5, v75
	s_wait_dscnt 0x0
	v_max_num_f32_e32 v11, v11, v11
	ds_bpermute_b32 v77, v83, v4
	ds_bpermute_b32 v75, v83, v5
	v_max_num_f32_e32 v1, v1, v11
	ds_bpermute_b32 v11, v93, v1
	s_wait_dscnt 0x2
	v_max_num_f32_e32 v77, v77, v77
	s_wait_dscnt 0x1
	v_max_num_f32_e32 v75, v75, v75
	v_sub_f32_e32 v9, v9, v0
	v_sub_f32_e32 v8, v8, v0
	;; [unrolled: 1-line block ×3, first 2 shown]
	s_delay_alu instid0(VALU_DEP_4)
	v_dual_max_num_f32 v4, v4, v77 :: v_dual_max_num_f32 v5, v5, v75
	s_wait_dscnt 0x0
	v_max_num_f32_e32 v11, v11, v11
	ds_bpermute_b32 v77, v93, v4
	ds_bpermute_b32 v75, v93, v5
	v_dual_mul_f32 v104, 0x3fb8aa3b, v84 :: v_dual_max_num_f32 v1, v1, v11
	s_delay_alu instid0(VALU_DEP_1) | instskip(SKIP_4) | instid1(VALU_DEP_1)
	v_fma_f32 v105, 0x3fb8aa3b, v84, -v104
	ds_bpermute_b32 v11, v94, v1
	s_wait_dscnt 0x2
	v_max_num_f32_e32 v77, v77, v77
	s_wait_dscnt 0x1
	v_dual_max_num_f32 v75, v75, v75 :: v_dual_max_num_f32 v4, v4, v77
	s_delay_alu instid0(VALU_DEP_1) | instskip(SKIP_2) | instid1(VALU_DEP_1)
	v_max_num_f32_e32 v5, v5, v75
	s_wait_dscnt 0x0
	v_max_num_f32_e32 v11, v11, v11
	v_max_num_f32_e32 v1, v1, v11
	ds_bpermute_b32 v11, v95, v1
	s_wait_dscnt 0x0
	v_max_num_f32_e32 v11, v11, v11
	ds_bpermute_b32 v77, v94, v4
	ds_bpermute_b32 v75, v94, v5
	v_max_num_f32_e32 v1, v1, v11
	v_add_f32_e32 v11, v80, v92
	v_add_f32_e32 v80, v79, v92
	;; [unrolled: 1-line block ×3, first 2 shown]
	s_delay_alu instid0(VALU_DEP_1) | instskip(NEXT) | instid1(VALU_DEP_1)
	v_dual_add_f32 v78, 0x40051340, v11 :: v_dual_add_f32 v71, 0x40051340, v92
	v_max3_num_f32 v2, v86, v2, v78
	s_delay_alu instid0(VALU_DEP_2)
	v_max3_num_f32 v7, v91, v7, v71
	ds_bpermute_b32 v78, v82, v2
	s_wait_dscnt 0x2
	v_max_num_f32_e32 v77, v77, v77
	s_wait_dscnt 0x1
	v_max_num_f32_e32 v75, v75, v75
	ds_bpermute_b32 v71, v82, v7
	v_dual_max_num_f32 v4, v4, v77 :: v_dual_max_num_f32 v5, v5, v75
	ds_bpermute_b32 v77, v95, v4
	ds_bpermute_b32 v75, v95, v5
	s_wait_dscnt 0x2
	v_dual_max_num_f32 v78, v78, v78 :: v_dual_max_num_f32 v71, v71, v71
	s_delay_alu instid0(VALU_DEP_1)
	v_dual_max_num_f32 v2, v2, v78 :: v_dual_max_num_f32 v7, v7, v71
	s_wait_dscnt 0x1
	v_max_num_f32_e32 v77, v77, v77
	ds_bpermute_b32 v78, v83, v2
	s_wait_dscnt 0x1
	v_max_num_f32_e32 v75, v75, v75
	ds_bpermute_b32 v71, v83, v7
	v_add_f32_e32 v6, 0x40051340, v69
	v_dual_max_num_f32 v4, v4, v77 :: v_dual_max_num_f32 v5, v5, v75
	s_wait_dscnt 0x0
	v_dual_max_num_f32 v78, v78, v78 :: v_dual_max_num_f32 v71, v71, v71
	s_delay_alu instid0(VALU_DEP_3) | instskip(NEXT) | instid1(VALU_DEP_2)
	v_max3_num_f32 v6, v90, v6, v73
	v_dual_max_num_f32 v2, v2, v78 :: v_dual_max_num_f32 v7, v7, v71
	ds_bpermute_b32 v73, v82, v6
	ds_bpermute_b32 v78, v93, v2
	ds_bpermute_b32 v71, v93, v7
	s_wait_dscnt 0x1
	v_dual_max_num_f32 v73, v73, v73 :: v_dual_max_num_f32 v78, v78, v78
	s_wait_dscnt 0x0
	s_delay_alu instid0(VALU_DEP_1) | instskip(NEXT) | instid1(VALU_DEP_1)
	v_dual_max_num_f32 v71, v71, v71 :: v_dual_max_num_f32 v6, v6, v73
	v_dual_max_num_f32 v2, v2, v78 :: v_dual_max_num_f32 v7, v7, v71
	ds_bpermute_b32 v73, v83, v6
	ds_bpermute_b32 v78, v94, v2
	;; [unrolled: 1-line block ×3, first 2 shown]
	s_wait_dscnt 0x1
	v_dual_max_num_f32 v73, v73, v73 :: v_dual_max_num_f32 v78, v78, v78
	s_wait_dscnt 0x0
	s_delay_alu instid0(VALU_DEP_1) | instskip(NEXT) | instid1(VALU_DEP_2)
	v_dual_max_num_f32 v71, v71, v71 :: v_dual_max_num_f32 v6, v6, v73
	v_max_num_f32_e32 v2, v2, v78
	ds_bpermute_b32 v73, v93, v6
	ds_bpermute_b32 v78, v95, v2
	s_wait_dscnt 0x1
	v_max_num_f32_e32 v73, v73, v73
	v_dual_max_num_f32 v7, v7, v71 :: v_dual_sub_f32 v70, v70, v5
	s_wait_dscnt 0x0
	v_max_num_f32_e32 v78, v78, v78
	s_delay_alu instid0(VALU_DEP_3)
	v_max_num_f32_e32 v6, v6, v73
	ds_bpermute_b32 v71, v95, v7
	v_cmp_ngt_f32_e64 s3, 0xc2ce8ed0, v70
	v_max_num_f32_e32 v2, v2, v78
	v_add_f32_e32 v78, 0x40051340, v80
	ds_bpermute_b32 v73, v94, v6
	v_cmp_nlt_f32_e64 s4, 0x42b17218, v70
	v_max3_num_f32 v3, v87, v3, v78
	ds_bpermute_b32 v78, v82, v3
	s_wait_dscnt 0x2
	v_max_num_f32_e32 v71, v71, v71
	s_wait_dscnt 0x1
	v_max_num_f32_e32 v73, v73, v73
	s_delay_alu instid0(VALU_DEP_2) | instskip(NEXT) | instid1(VALU_DEP_2)
	v_max_num_f32_e32 v7, v7, v71
	v_dual_sub_f32 v71, v72, v4 :: v_dual_max_num_f32 v6, v6, v73
	s_delay_alu instid0(VALU_DEP_1)
	v_mul_f32_e32 v72, 0x3fb8aa3b, v71
	v_cmp_ngt_f32_e32 vcc_lo, 0xc2ce8ed0, v71
	s_wait_dscnt 0x0
	v_max_num_f32_e32 v78, v78, v78
	ds_bpermute_b32 v73, v95, v6
	v_cmp_nlt_f32_e64 s2, 0x42b17218, v71
	v_max_num_f32_e32 v3, v3, v78
	ds_bpermute_b32 v78, v83, v3
	s_wait_dscnt 0x1
	v_max_num_f32_e32 v73, v73, v73
	s_delay_alu instid0(VALU_DEP_1) | instskip(SKIP_2) | instid1(VALU_DEP_1)
	v_max_num_f32_e32 v6, v6, v73
	v_fma_f32 v73, 0x3fb8aa3b, v71, -v72
	s_wait_dscnt 0x0
	v_dual_max_num_f32 v78, v78, v78 :: v_dual_fmac_f32 v73, 0x32a5705f, v71
	v_mul_f32_e32 v71, 0x3fb8aa3b, v70
	v_dual_sub_f32 v69, v69, v6 :: v_dual_sub_f32 v68, v68, v7
	s_delay_alu instid0(VALU_DEP_3) | instskip(NEXT) | instid1(VALU_DEP_3)
	v_max_num_f32_e32 v3, v3, v78
	v_fma_f32 v75, 0x3fb8aa3b, v70, -v71
	s_delay_alu instid0(VALU_DEP_3)
	v_cmp_ngt_f32_e64 s5, 0xc2ce8ed0, v69
	v_cmp_nlt_f32_e64 s6, 0x42b17218, v69
	ds_bpermute_b32 v78, v93, v3
	v_cmp_ngt_f32_e64 s7, 0xc2ce8ed0, v68
	v_fmac_f32_e32 v75, 0x32a5705f, v70
	v_mul_f32_e32 v70, 0x3fb8aa3b, v69
	v_cmp_nlt_f32_e64 s8, 0x42b17218, v68
	s_delay_alu instid0(VALU_DEP_2) | instskip(NEXT) | instid1(VALU_DEP_1)
	v_fma_f32 v77, 0x3fb8aa3b, v69, -v70
	v_fmac_f32_e32 v77, 0x32a5705f, v69
	s_wait_dscnt 0x0
	v_dual_mul_f32 v69, 0x3fb8aa3b, v68 :: v_dual_max_num_f32 v78, v78, v78
	s_delay_alu instid0(VALU_DEP_1) | instskip(SKIP_3) | instid1(VALU_DEP_1)
	v_max_num_f32_e32 v3, v3, v78
	ds_bpermute_b32 v78, v94, v3
	s_wait_dscnt 0x0
	v_max_num_f32_e32 v78, v78, v78
	v_max_num_f32_e32 v3, v3, v78
	ds_bpermute_b32 v78, v95, v3
	s_wait_dscnt 0x0
	v_max_num_f32_e32 v78, v78, v78
	s_delay_alu instid0(VALU_DEP_1) | instskip(SKIP_2) | instid1(VALU_DEP_2)
	v_max_num_f32_e32 v3, v3, v78
	v_fma_f32 v78, 0x3fb8aa3b, v68, -v69
	v_fmac_f32_e32 v105, 0x32a5705f, v84
	v_fmac_f32_e32 v78, 0x32a5705f, v68
	v_rndne_f32_e32 v68, v72
	s_delay_alu instid0(VALU_DEP_1) | instskip(SKIP_1) | instid1(VALU_DEP_2)
	v_sub_f32_e32 v72, v72, v68
	v_cvt_i32_f32_e32 v68, v68
	v_add_f32_e32 v72, v72, v73
	v_rndne_f32_e32 v73, v71
	s_delay_alu instid0(VALU_DEP_2) | instskip(NEXT) | instid1(TRANS32_DEP_1)
	v_exp_f32_e32 v72, v72
	v_ldexp_f32 v68, v72, v68
	s_wait_alu 0xfffd
	s_delay_alu instid0(VALU_DEP_1) | instskip(NEXT) | instid1(VALU_DEP_1)
	v_dual_sub_f32 v71, v71, v73 :: v_dual_cndmask_b32 v68, 0, v68
	v_add_f32_e32 v71, v71, v75
	v_rndne_f32_e32 v75, v70
	s_delay_alu instid0(VALU_DEP_1) | instskip(SKIP_1) | instid1(VALU_DEP_2)
	v_sub_f32_e32 v70, v70, v75
	v_cvt_i32_f32_e32 v72, v75
	v_add_f32_e32 v70, v70, v77
	v_rndne_f32_e32 v77, v69
	v_exp_f32_e32 v71, v71
	s_delay_alu instid0(VALU_DEP_2) | instskip(NEXT) | instid1(VALU_DEP_1)
	v_exp_f32_e32 v70, v70
	v_sub_f32_e32 v69, v69, v77
	s_delay_alu instid0(VALU_DEP_1) | instskip(NEXT) | instid1(TRANS32_DEP_1)
	v_add_f32_e32 v69, v69, v78
	v_ldexp_f32 v70, v70, v72
	s_delay_alu instid0(VALU_DEP_2)
	v_exp_f32_e32 v69, v69
	v_cvt_i32_f32_e32 v72, v77
	s_delay_alu instid0(TRANS32_DEP_1) | instid1(VALU_DEP_1)
	v_ldexp_f32 v69, v69, v72
	v_cvt_i32_f32_e32 v72, v73
	s_wait_alu 0xf1ff
	s_delay_alu instid0(VALU_DEP_2) | instskip(NEXT) | instid1(VALU_DEP_2)
	v_cndmask_b32_e64 v69, 0, v69, s7
	v_ldexp_f32 v71, v71, v72
	v_cndmask_b32_e64 v72, 0, v70, s5
	v_cndmask_b32_e64 v70, 0x7f800000, v68, s2
	s_delay_alu instid0(VALU_DEP_4) | instskip(NEXT) | instid1(VALU_DEP_4)
	v_cndmask_b32_e64 v69, 0x7f800000, v69, s8
	v_cndmask_b32_e64 v71, 0, v71, s3
	s_delay_alu instid0(VALU_DEP_4) | instskip(NEXT) | instid1(VALU_DEP_4)
	v_cndmask_b32_e64 v68, 0x7f800000, v72, s6
	v_cvt_f16_f32_e32 v72, v70
	s_delay_alu instid0(VALU_DEP_4) | instskip(NEXT) | instid1(VALU_DEP_4)
	v_cvt_f16_f32_e32 v75, v69
	v_cndmask_b32_e64 v71, 0x7f800000, v71, s4
	s_delay_alu instid0(VALU_DEP_4) | instskip(NEXT) | instid1(VALU_DEP_2)
	v_cvt_f16_f32_e32 v73, v68
	v_cvt_f16_f32_e32 v77, v71
	s_delay_alu instid0(VALU_DEP_2) | instskip(NEXT) | instid1(VALU_DEP_2)
	v_pack_b32_f16 v79, v73, v75
	v_pack_b32_f16 v78, v72, v77
	v_sub_f32_e32 v72, v76, v2
	s_delay_alu instid0(VALU_DEP_1) | instskip(SKIP_2) | instid1(VALU_DEP_3)
	v_mul_f32_e32 v73, 0x3fb8aa3b, v72
	v_cmp_ngt_f32_e32 vcc_lo, 0xc2ce8ed0, v72
	v_cmp_nlt_f32_e64 s2, 0x42b17218, v72
	v_fma_f32 v75, 0x3fb8aa3b, v72, -v73
	s_delay_alu instid0(VALU_DEP_1) | instskip(NEXT) | instid1(VALU_DEP_1)
	v_dual_fmac_f32 v75, 0x32a5705f, v72 :: v_dual_sub_f32 v72, v74, v3
	v_mul_f32_e32 v74, 0x3fb8aa3b, v72
	v_cmp_ngt_f32_e64 s3, 0xc2ce8ed0, v72
	v_cmp_nlt_f32_e64 s4, 0x42b17218, v72
	s_delay_alu instid0(VALU_DEP_3) | instskip(NEXT) | instid1(VALU_DEP_1)
	v_fma_f32 v76, 0x3fb8aa3b, v72, -v74
	v_fmac_f32_e32 v76, 0x32a5705f, v72
	v_rndne_f32_e32 v72, v73
	s_delay_alu instid0(VALU_DEP_1) | instskip(SKIP_1) | instid1(VALU_DEP_2)
	v_sub_f32_e32 v73, v73, v72
	v_cvt_i32_f32_e32 v72, v72
	v_add_f32_e32 v73, v73, v75
	v_rndne_f32_e32 v75, v74
	s_delay_alu instid0(VALU_DEP_2) | instskip(NEXT) | instid1(VALU_DEP_1)
	v_exp_f32_e32 v73, v73
	v_sub_f32_e32 v74, v74, v75
	s_delay_alu instid0(VALU_DEP_1) | instskip(NEXT) | instid1(TRANS32_DEP_1)
	v_add_f32_e32 v74, v74, v76
	v_ldexp_f32 v72, v73, v72
	s_delay_alu instid0(VALU_DEP_2) | instskip(SKIP_2) | instid1(VALU_DEP_2)
	v_exp_f32_e32 v74, v74
	v_cvt_i32_f32_e32 v73, v75
	s_wait_alu 0xfffd
	v_cndmask_b32_e32 v72, 0, v72, vcc_lo
	v_cmp_ngt_f32_e32 vcc_lo, 0xc2ce8ed0, v9
	s_delay_alu instid0(TRANS32_DEP_1) | instid1(VALU_DEP_3)
	v_ldexp_f32 v73, v74, v73
	s_wait_alu 0xf1ff
	s_delay_alu instid0(VALU_DEP_1) | instskip(SKIP_2) | instid1(VALU_DEP_3)
	v_cndmask_b32_e64 v74, 0, v73, s3
	v_cndmask_b32_e64 v73, 0x7f800000, v72, s2
	v_cmp_nlt_f32_e64 s2, 0x42b17218, v9
	v_cndmask_b32_e64 v72, 0x7f800000, v74, s4
	s_delay_alu instid0(VALU_DEP_3) | instskip(NEXT) | instid1(VALU_DEP_2)
	v_cvt_f16_f32_e32 v74, v73
	v_cvt_f16_f32_e32 v75, v72
	s_delay_alu instid0(VALU_DEP_1) | instskip(SKIP_1) | instid1(VALU_DEP_1)
	v_pack_b32_f16 v77, v74, v75
	v_mul_f32_e32 v74, 0x3fb8aa3b, v9
	v_fma_f32 v75, 0x3fb8aa3b, v9, -v74
	s_delay_alu instid0(VALU_DEP_1) | instskip(SKIP_1) | instid1(VALU_DEP_1)
	v_fmac_f32_e32 v75, 0x32a5705f, v9
	v_sub_f32_e32 v9, v96, v1
	v_mul_f32_e32 v76, 0x3fb8aa3b, v9
	v_cmp_ngt_f32_e64 s3, 0xc2ce8ed0, v9
	v_cmp_nlt_f32_e64 s4, 0x42b17218, v9
	s_delay_alu instid0(VALU_DEP_3) | instskip(NEXT) | instid1(VALU_DEP_1)
	v_fma_f32 v82, 0x3fb8aa3b, v9, -v76
	v_fmac_f32_e32 v82, 0x32a5705f, v9
	v_rndne_f32_e32 v9, v74
	s_delay_alu instid0(VALU_DEP_1) | instskip(SKIP_1) | instid1(VALU_DEP_2)
	v_sub_f32_e32 v74, v74, v9
	v_cvt_i32_f32_e32 v9, v9
	v_add_f32_e32 v74, v74, v75
	v_rndne_f32_e32 v75, v76
	s_delay_alu instid0(VALU_DEP_2) | instskip(NEXT) | instid1(VALU_DEP_1)
	v_exp_f32_e32 v74, v74
	v_sub_f32_e32 v76, v76, v75
	s_delay_alu instid0(VALU_DEP_1) | instskip(NEXT) | instid1(TRANS32_DEP_1)
	v_add_f32_e32 v76, v76, v82
	v_ldexp_f32 v9, v74, v9
	v_cvt_i32_f32_e32 v74, v75
	s_delay_alu instid0(VALU_DEP_3) | instskip(SKIP_1) | instid1(VALU_DEP_2)
	v_exp_f32_e32 v75, v76
	s_wait_alu 0xfffd
	v_cndmask_b32_e32 v9, 0, v9, vcc_lo
	s_delay_alu instid0(TRANS32_DEP_1) | instskip(SKIP_1) | instid1(VALU_DEP_2)
	v_ldexp_f32 v74, v75, v74
	s_wait_alu 0xf1ff
	v_cndmask_b32_e64 v75, 0x7f800000, v9, s2
	s_delay_alu instid0(VALU_DEP_2) | instskip(NEXT) | instid1(VALU_DEP_2)
	v_cndmask_b32_e64 v74, 0, v74, s3
	v_cvt_f16_f32_e32 v9, v75
	s_delay_alu instid0(VALU_DEP_2) | instskip(NEXT) | instid1(VALU_DEP_1)
	v_cndmask_b32_e64 v74, 0x7f800000, v74, s4
	v_cvt_f16_f32_e32 v76, v74
	s_delay_alu instid0(VALU_DEP_1)
	v_pack_b32_f16 v76, v9, v76
	v_sub_f32_e32 v9, v81, v4
	ds_store_b128 v47, v[76:79]
	v_mul_f32_e32 v76, 0x3fb8aa3b, v9
	v_cmp_ngt_f32_e32 vcc_lo, 0xc2ce8ed0, v9
	v_cmp_nlt_f32_e64 s2, 0x42b17218, v9
	s_delay_alu instid0(VALU_DEP_3) | instskip(NEXT) | instid1(VALU_DEP_1)
	v_fma_f32 v77, 0x3fb8aa3b, v9, -v76
	v_fmac_f32_e32 v77, 0x32a5705f, v9
	v_sub_f32_e32 v9, v97, v5
	s_delay_alu instid0(VALU_DEP_1) | instskip(SKIP_2) | instid1(VALU_DEP_3)
	v_mul_f32_e32 v78, 0x3fb8aa3b, v9
	v_cmp_ngt_f32_e64 s3, 0xc2ce8ed0, v9
	v_cmp_nlt_f32_e64 s4, 0x42b17218, v9
	v_fma_f32 v79, 0x3fb8aa3b, v9, -v78
	s_delay_alu instid0(VALU_DEP_1) | instskip(SKIP_1) | instid1(VALU_DEP_1)
	v_fmac_f32_e32 v79, 0x32a5705f, v9
	v_sub_f32_e32 v9, v98, v6
	v_mul_f32_e32 v81, 0x3fb8aa3b, v9
	v_cmp_ngt_f32_e64 s5, 0xc2ce8ed0, v9
	v_cmp_nlt_f32_e64 s6, 0x42b17218, v9
	s_delay_alu instid0(VALU_DEP_3) | instskip(NEXT) | instid1(VALU_DEP_1)
	v_fma_f32 v82, 0x3fb8aa3b, v9, -v81
	v_dual_fmac_f32 v82, 0x32a5705f, v9 :: v_dual_sub_f32 v9, v92, v7
	s_delay_alu instid0(VALU_DEP_1) | instskip(SKIP_2) | instid1(VALU_DEP_3)
	v_mul_f32_e32 v83, 0x3fb8aa3b, v9
	v_cmp_ngt_f32_e64 s7, 0xc2ce8ed0, v9
	v_cmp_nlt_f32_e64 s8, 0x42b17218, v9
	v_fma_f32 v92, 0x3fb8aa3b, v9, -v83
	s_delay_alu instid0(VALU_DEP_1) | instskip(SKIP_1) | instid1(VALU_DEP_1)
	v_fmac_f32_e32 v92, 0x32a5705f, v9
	v_rndne_f32_e32 v9, v76
	v_sub_f32_e32 v76, v76, v9
	v_cvt_i32_f32_e32 v9, v9
	s_delay_alu instid0(VALU_DEP_2) | instskip(SKIP_1) | instid1(VALU_DEP_2)
	v_add_f32_e32 v76, v76, v77
	v_rndne_f32_e32 v77, v78
	v_exp_f32_e32 v76, v76
	s_delay_alu instid0(VALU_DEP_1) | instskip(SKIP_1) | instid1(VALU_DEP_2)
	v_sub_f32_e32 v78, v78, v77
	v_cvt_i32_f32_e32 v77, v77
	v_add_f32_e32 v78, v78, v79
	v_rndne_f32_e32 v79, v81
	s_delay_alu instid0(TRANS32_DEP_1) | instskip(NEXT) | instid1(VALU_DEP_3)
	v_ldexp_f32 v9, v76, v9
	v_exp_f32_e32 v78, v78
	s_delay_alu instid0(VALU_DEP_2) | instskip(SKIP_3) | instid1(VALU_DEP_3)
	v_sub_f32_e32 v81, v81, v79
	v_cvt_i32_f32_e32 v76, v79
	s_wait_alu 0xfffd
	v_cndmask_b32_e32 v9, 0, v9, vcc_lo
	v_add_f32_e32 v81, v81, v82
	v_rndne_f32_e32 v82, v83
	s_delay_alu instid0(TRANS32_DEP_1) | instskip(NEXT) | instid1(VALU_DEP_3)
	v_ldexp_f32 v77, v78, v77
	v_exp_f32_e32 v79, v81
	s_delay_alu instid0(VALU_DEP_2) | instskip(SKIP_2) | instid1(VALU_DEP_2)
	v_sub_f32_e32 v83, v83, v82
	s_wait_alu 0xf1ff
	v_cndmask_b32_e64 v78, 0x7f800000, v9, s2
	v_add_f32_e32 v83, v83, v92
	s_delay_alu instid0(VALU_DEP_2) | instskip(NEXT) | instid1(TRANS32_DEP_1)
	v_cvt_f16_f32_e32 v9, v78
	v_ldexp_f32 v76, v79, v76
	s_delay_alu instid0(VALU_DEP_3) | instskip(SKIP_1) | instid1(VALU_DEP_2)
	v_exp_f32_e32 v81, v83
	v_cvt_i32_f32_e32 v79, v82
	v_cndmask_b32_e64 v76, 0, v76, s5
	s_delay_alu instid0(TRANS32_DEP_1) | instid1(VALU_DEP_2)
	v_ldexp_f32 v79, v81, v79
	v_cndmask_b32_e64 v81, 0, v77, s3
	s_delay_alu instid0(VALU_DEP_3) | instskip(NEXT) | instid1(VALU_DEP_3)
	v_cndmask_b32_e64 v77, 0x7f800000, v76, s6
	v_cndmask_b32_e64 v79, 0, v79, s7
	s_delay_alu instid0(VALU_DEP_1) | instskip(NEXT) | instid1(VALU_DEP_4)
	v_cndmask_b32_e64 v76, 0x7f800000, v79, s8
	v_cndmask_b32_e64 v79, 0x7f800000, v81, s4
	s_delay_alu instid0(VALU_DEP_4) | instskip(NEXT) | instid1(VALU_DEP_3)
	v_cvt_f16_f32_e32 v81, v77
	v_cvt_f16_f32_e32 v82, v76
	s_delay_alu instid0(VALU_DEP_3) | instskip(NEXT) | instid1(VALU_DEP_2)
	v_cvt_f16_f32_e32 v83, v79
	v_pack_b32_f16 v95, v81, v82
	s_delay_alu instid0(VALU_DEP_2) | instskip(SKIP_1) | instid1(VALU_DEP_1)
	v_pack_b32_f16 v94, v9, v83
	v_sub_f32_e32 v9, v11, v2
	v_mul_f32_e32 v11, 0x3fb8aa3b, v9
	v_cmp_ngt_f32_e32 vcc_lo, 0xc2ce8ed0, v9
	v_cmp_nlt_f32_e64 s2, 0x42b17218, v9
	s_delay_alu instid0(VALU_DEP_3) | instskip(NEXT) | instid1(VALU_DEP_1)
	v_fma_f32 v81, 0x3fb8aa3b, v9, -v11
	v_fmac_f32_e32 v81, 0x32a5705f, v9
	v_sub_f32_e32 v9, v80, v3
	s_delay_alu instid0(VALU_DEP_1) | instskip(SKIP_2) | instid1(VALU_DEP_3)
	v_mul_f32_e32 v80, 0x3fb8aa3b, v9
	v_cmp_ngt_f32_e64 s3, 0xc2ce8ed0, v9
	v_cmp_nlt_f32_e64 s4, 0x42b17218, v9
	v_fma_f32 v82, 0x3fb8aa3b, v9, -v80
	s_delay_alu instid0(VALU_DEP_1) | instskip(SKIP_1) | instid1(VALU_DEP_1)
	v_fmac_f32_e32 v82, 0x32a5705f, v9
	v_rndne_f32_e32 v9, v11
	v_sub_f32_e32 v11, v11, v9
	v_cvt_i32_f32_e32 v9, v9
	s_delay_alu instid0(VALU_DEP_2) | instskip(SKIP_1) | instid1(VALU_DEP_2)
	v_add_f32_e32 v11, v11, v81
	v_rndne_f32_e32 v81, v80
	v_exp_f32_e32 v11, v11
	s_delay_alu instid0(VALU_DEP_1) | instskip(NEXT) | instid1(VALU_DEP_1)
	v_sub_f32_e32 v80, v80, v81
	v_add_f32_e32 v80, v80, v82
	s_delay_alu instid0(TRANS32_DEP_1) | instskip(NEXT) | instid1(VALU_DEP_2)
	v_ldexp_f32 v9, v11, v9
	v_exp_f32_e32 v80, v80
	v_cvt_i32_f32_e32 v11, v81
	s_wait_alu 0xfffd
	s_delay_alu instid0(VALU_DEP_2) | instskip(SKIP_2) | instid1(VALU_DEP_2)
	v_cndmask_b32_e32 v9, 0, v9, vcc_lo
	v_cmp_ngt_f32_e32 vcc_lo, 0xc2ce8ed0, v8
	s_wait_alu 0xf1ff
	v_cndmask_b32_e64 v81, 0x7f800000, v9, s2
	s_delay_alu instid0(TRANS32_DEP_1) | instskip(SKIP_1) | instid1(VALU_DEP_3)
	v_ldexp_f32 v11, v80, v11
	v_cmp_nlt_f32_e64 s2, 0x42b17218, v8
	v_cvt_f16_f32_e32 v9, v81
	s_delay_alu instid0(VALU_DEP_3) | instskip(NEXT) | instid1(VALU_DEP_1)
	v_cndmask_b32_e64 v11, 0, v11, s3
	v_cndmask_b32_e64 v80, 0x7f800000, v11, s4
	s_delay_alu instid0(VALU_DEP_1) | instskip(NEXT) | instid1(VALU_DEP_1)
	v_cvt_f16_f32_e32 v11, v80
	v_pack_b32_f16 v93, v9, v11
	v_mul_f32_e32 v9, 0x3fb8aa3b, v8
	s_delay_alu instid0(VALU_DEP_1) | instskip(NEXT) | instid1(VALU_DEP_1)
	v_fma_f32 v11, 0x3fb8aa3b, v8, -v9
	v_dual_fmac_f32 v11, 0x32a5705f, v8 :: v_dual_sub_f32 v8, v10, v1
	s_delay_alu instid0(VALU_DEP_1) | instskip(SKIP_2) | instid1(VALU_DEP_3)
	v_mul_f32_e32 v10, 0x3fb8aa3b, v8
	v_cmp_ngt_f32_e64 s3, 0xc2ce8ed0, v8
	v_cmp_nlt_f32_e64 s4, 0x42b17218, v8
	v_fma_f32 v82, 0x3fb8aa3b, v8, -v10
	s_delay_alu instid0(VALU_DEP_1) | instskip(SKIP_1) | instid1(VALU_DEP_1)
	v_fmac_f32_e32 v82, 0x32a5705f, v8
	v_rndne_f32_e32 v8, v9
	v_sub_f32_e32 v9, v9, v8
	v_cvt_i32_f32_e32 v8, v8
	s_delay_alu instid0(VALU_DEP_2) | instskip(SKIP_1) | instid1(VALU_DEP_2)
	v_add_f32_e32 v9, v9, v11
	v_rndne_f32_e32 v11, v10
	v_exp_f32_e32 v9, v9
	s_delay_alu instid0(VALU_DEP_1) | instskip(NEXT) | instid1(VALU_DEP_1)
	v_sub_f32_e32 v10, v10, v11
	v_add_f32_e32 v10, v10, v82
	s_delay_alu instid0(TRANS32_DEP_1) | instskip(NEXT) | instid1(VALU_DEP_2)
	v_ldexp_f32 v8, v9, v8
	v_exp_f32_e32 v10, v10
	v_cvt_i32_f32_e32 v9, v11
	s_wait_alu 0xfffd
	s_delay_alu instid0(VALU_DEP_2) | instskip(SKIP_1) | instid1(VALU_DEP_1)
	v_cndmask_b32_e32 v8, 0, v8, vcc_lo
	s_wait_alu 0xf1ff
	v_cndmask_b32_e64 v83, 0x7f800000, v8, s2
	s_delay_alu instid0(TRANS32_DEP_1) | instskip(NEXT) | instid1(VALU_DEP_2)
	v_ldexp_f32 v9, v10, v9
	v_cvt_f16_f32_e32 v8, v83
	s_delay_alu instid0(VALU_DEP_2) | instskip(SKIP_3) | instid1(VALU_DEP_1)
	v_cndmask_b32_e64 v9, 0, v9, s3
	s_mul_u64 s[2:3], s[22:23], s[28:29]
	s_wait_alu 0xfffe
	s_lshl_b64 s[2:3], s[2:3], 2
	v_cndmask_b32_e64 v82, 0x7f800000, v9, s4
	s_wait_alu 0xfffe
	s_add_nc_u64 s[2:3], s[46:47], s[2:3]
	s_delay_alu instid0(VALU_DEP_1) | instskip(NEXT) | instid1(VALU_DEP_1)
	v_cvt_f16_f32_e32 v9, v82
	v_pack_b32_f16 v92, v8, v9
	s_wait_alu 0xfffe
	v_add_co_u32 v8, vcc_lo, s2, v17
	s_wait_alu 0xfffd
	v_add_co_ci_u32_e64 v9, null, s3, v18, vcc_lo
	ds_store_b128 v47, v[92:95] offset:512
	v_add_co_u32 v8, vcc_lo, v8, v48
	s_wait_alu 0xfffd
	v_add_co_ci_u32_e64 v9, null, 0, v9, vcc_lo
	global_load_b128 v[8:11], v[8:9], off
	s_wait_loadcnt 0x0
	ds_store_b128 v43, v[8:11]
	v_add_co_u32 v8, vcc_lo, s2, v19
	s_wait_alu 0xfffd
	v_add_co_ci_u32_e64 v9, null, s3, v20, vcc_lo
	v_cmp_nlt_f32_e64 s2, 0x42b17218, v84
	s_delay_alu instid0(VALU_DEP_3) | instskip(SKIP_1) | instid1(VALU_DEP_3)
	v_add_co_u32 v8, vcc_lo, v8, v48
	s_wait_alu 0xfffd
	v_add_co_ci_u32_e64 v9, null, 0, v9, vcc_lo
	v_cmp_ngt_f32_e32 vcc_lo, 0xc2ce8ed0, v84
	v_sub_f32_e32 v84, v85, v1
	global_load_b128 v[8:11], v[8:9], off
	v_mul_f32_e32 v85, 0x3fb8aa3b, v84
	v_cmp_ngt_f32_e64 s3, 0xc2ce8ed0, v84
	v_cmp_nlt_f32_e64 s4, 0x42b17218, v84
	s_delay_alu instid0(VALU_DEP_3) | instskip(NEXT) | instid1(VALU_DEP_1)
	v_fma_f32 v106, 0x3fb8aa3b, v84, -v85
	v_fmac_f32_e32 v106, 0x32a5705f, v84
	v_sub_f32_e32 v84, v86, v2
	s_delay_alu instid0(VALU_DEP_1) | instskip(SKIP_2) | instid1(VALU_DEP_3)
	v_mul_f32_e32 v86, 0x3fb8aa3b, v84
	v_cmp_ngt_f32_e64 s5, 0xc2ce8ed0, v84
	v_cmp_nlt_f32_e64 s6, 0x42b17218, v84
	v_fma_f32 v107, 0x3fb8aa3b, v84, -v86
	s_delay_alu instid0(VALU_DEP_1) | instskip(NEXT) | instid1(VALU_DEP_1)
	v_dual_fmac_f32 v107, 0x32a5705f, v84 :: v_dual_sub_f32 v84, v87, v3
	v_mul_f32_e32 v87, 0x3fb8aa3b, v84
	v_cmp_ngt_f32_e64 s7, 0xc2ce8ed0, v84
	v_cmp_nlt_f32_e64 s8, 0x42b17218, v84
	s_delay_alu instid0(VALU_DEP_3) | instskip(NEXT) | instid1(VALU_DEP_1)
	v_fma_f32 v108, 0x3fb8aa3b, v84, -v87
	v_fmac_f32_e32 v108, 0x32a5705f, v84
	v_sub_f32_e32 v84, v88, v4
	s_delay_alu instid0(VALU_DEP_1) | instskip(SKIP_2) | instid1(VALU_DEP_3)
	v_mul_f32_e32 v88, 0x3fb8aa3b, v84
	v_cmp_ngt_f32_e64 s9, 0xc2ce8ed0, v84
	v_cmp_nlt_f32_e64 s10, 0x42b17218, v84
	v_fma_f32 v109, 0x3fb8aa3b, v84, -v88
	s_delay_alu instid0(VALU_DEP_1) | instskip(NEXT) | instid1(VALU_DEP_1)
	v_dual_fmac_f32 v109, 0x32a5705f, v84 :: v_dual_sub_f32 v84, v89, v5
	;; [unrolled: 14-line block ×3, first 2 shown]
	v_mul_f32_e32 v91, 0x3fb8aa3b, v84
	v_cmp_ngt_f32_e64 s15, 0xc2ce8ed0, v84
	v_cmp_nlt_f32_e64 s16, 0x42b17218, v84
	s_delay_alu instid0(VALU_DEP_3) | instskip(NEXT) | instid1(VALU_DEP_1)
	v_fma_f32 v112, 0x3fb8aa3b, v84, -v91
	v_fmac_f32_e32 v112, 0x32a5705f, v84
	v_rndne_f32_e32 v84, v104
	s_delay_alu instid0(VALU_DEP_1) | instskip(SKIP_1) | instid1(VALU_DEP_2)
	v_sub_f32_e32 v104, v104, v84
	v_cvt_i32_f32_e32 v84, v84
	v_add_f32_e32 v104, v104, v105
	v_rndne_f32_e32 v105, v85
	s_delay_alu instid0(VALU_DEP_2) | instskip(NEXT) | instid1(VALU_DEP_1)
	v_exp_f32_e32 v104, v104
	v_sub_f32_e32 v85, v85, v105
	s_delay_alu instid0(VALU_DEP_1) | instskip(SKIP_1) | instid1(TRANS32_DEP_1)
	v_add_f32_e32 v85, v85, v106
	v_rndne_f32_e32 v106, v86
	v_ldexp_f32 v84, v104, v84
	s_delay_alu instid0(VALU_DEP_3) | instskip(NEXT) | instid1(VALU_DEP_2)
	v_exp_f32_e32 v85, v85
	v_sub_f32_e32 v86, v86, v106
	v_cvt_i32_f32_e32 v104, v105
	s_wait_alu 0xfffd
	v_cndmask_b32_e32 v84, 0, v84, vcc_lo
	s_delay_alu instid0(VALU_DEP_3) | instskip(SKIP_2) | instid1(VALU_DEP_3)
	v_add_f32_e32 v86, v86, v107
	v_rndne_f32_e32 v107, v87
	s_wait_alu 0xf1ff
	v_cndmask_b32_e64 v84, 0x7f800000, v84, s2
	s_delay_alu instid0(TRANS32_DEP_1)
	v_ldexp_f32 v85, v85, v104
	v_exp_f32_e32 v86, v86
	v_sub_f32_e32 v87, v87, v107
	v_cvt_i32_f32_e32 v104, v106
	s_or_b32 s2, s22, 32
	v_cndmask_b32_e64 v85, 0, v85, s3
	s_wait_alu 0xfffe
	s_ashr_i32 s3, s2, 31
	v_add_f32_e32 v87, v87, v108
	v_rndne_f32_e32 v108, v88
	s_wait_alu 0xfffe
	s_mul_u64 s[2:3], s[2:3], s[28:29]
	v_cndmask_b32_e64 v85, 0x7f800000, v85, s4
	v_ldexp_f32 v86, v86, v104
	v_cvt_i32_f32_e32 v104, v107
	v_sub_f32_e32 v88, v88, v108
	s_wait_alu 0xfffe
	s_lshl_b64 s[2:3], s[2:3], 2
	s_wait_alu 0xfffe
	s_add_nc_u64 s[2:3], s[46:47], s[2:3]
	v_cndmask_b32_e64 v86, 0, v86, s5
	v_add_f32_e32 v88, v88, v109
	v_rndne_f32_e32 v109, v89
	s_delay_alu instid0(VALU_DEP_3) | instskip(NEXT) | instid1(VALU_DEP_3)
	v_cndmask_b32_e64 v86, 0x7f800000, v86, s6
	v_exp_f32_e32 v88, v88
	s_delay_alu instid0(VALU_DEP_2) | instskip(NEXT) | instid1(VALU_DEP_1)
	v_sub_f32_e32 v89, v89, v109
	v_add_f32_e32 v89, v89, v110
	v_rndne_f32_e32 v110, v90
	s_delay_alu instid0(VALU_DEP_2) | instskip(NEXT) | instid1(VALU_DEP_1)
	v_exp_f32_e32 v89, v89
	v_sub_f32_e32 v90, v90, v110
	v_exp_f32_e32 v87, v87
	s_delay_alu instid0(VALU_DEP_1) | instskip(SKIP_1) | instid1(VALU_DEP_1)
	v_add_f32_e32 v90, v90, v111
	v_rndne_f32_e32 v111, v91
	v_sub_f32_e32 v91, v91, v111
	s_delay_alu instid0(TRANS32_DEP_1) | instskip(SKIP_1) | instid1(VALU_DEP_3)
	v_ldexp_f32 v87, v87, v104
	v_cvt_i32_f32_e32 v104, v108
	v_add_f32_e32 v91, v91, v112
	v_exp_f32_e32 v90, v90
	s_delay_alu instid0(VALU_DEP_2) | instskip(SKIP_3) | instid1(VALU_DEP_3)
	v_ldexp_f32 v88, v88, v104
	v_cvt_i32_f32_e32 v104, v109
	v_cndmask_b32_e64 v87, 0, v87, s7
	v_exp_f32_e32 v91, v91
	v_cndmask_b32_e64 v88, 0, v88, s9
	s_delay_alu instid0(VALU_DEP_3) | instskip(SKIP_2) | instid1(VALU_DEP_4)
	v_ldexp_f32 v89, v89, v104
	v_cvt_i32_f32_e32 v104, v110
	v_cndmask_b32_e64 v87, 0x7f800000, v87, s8
	v_cndmask_b32_e64 v88, 0x7f800000, v88, s10
	s_delay_alu instid0(VALU_DEP_4) | instskip(NEXT) | instid1(VALU_DEP_4)
	v_cndmask_b32_e64 v89, 0, v89, s11
	v_ldexp_f32 v90, v90, v104
	v_cvt_i32_f32_e32 v104, v111
	s_delay_alu instid0(VALU_DEP_3) | instskip(NEXT) | instid1(VALU_DEP_3)
	v_cndmask_b32_e64 v89, 0x7f800000, v89, s12
	v_cndmask_b32_e64 v90, 0, v90, s13
	s_delay_alu instid0(VALU_DEP_3) | instskip(SKIP_1) | instid1(VALU_DEP_3)
	v_ldexp_f32 v91, v91, v104
	v_cvt_f16_f32_e32 v104, v84
	v_cndmask_b32_e64 v90, 0x7f800000, v90, s14
	s_delay_alu instid0(VALU_DEP_2) | instskip(NEXT) | instid1(VALU_DEP_1)
	v_and_b32_e32 v104, 0xffff, v104
	v_mul_u32_u24_e32 v104, 0x10001, v104
	s_delay_alu instid0(VALU_DEP_1) | instskip(SKIP_2) | instid1(VALU_DEP_1)
	v_pk_mul_f16 v66, v66, v104
	v_pk_mul_f16 v67, v67, v104
	v_cvt_f16_f32_e32 v104, v85
	v_and_b32_e32 v104, 0xffff, v104
	s_delay_alu instid0(VALU_DEP_1) | instskip(NEXT) | instid1(VALU_DEP_1)
	v_mul_u32_u24_e32 v104, 0x10001, v104
	v_pk_mul_f16 v65, v65, v104
	v_pk_mul_f16 v64, v64, v104
	v_cvt_f16_f32_e32 v104, v86
	s_delay_alu instid0(VALU_DEP_1) | instskip(NEXT) | instid1(VALU_DEP_1)
	v_and_b32_e32 v104, 0xffff, v104
	v_mul_u32_u24_e32 v104, 0x10001, v104
	s_delay_alu instid0(VALU_DEP_1) | instskip(SKIP_2) | instid1(VALU_DEP_1)
	v_pk_mul_f16 v63, v63, v104
	v_pk_mul_f16 v62, v62, v104
	v_cvt_f16_f32_e32 v104, v87
	v_and_b32_e32 v104, 0xffff, v104
	s_delay_alu instid0(VALU_DEP_1) | instskip(NEXT) | instid1(VALU_DEP_1)
	v_mul_u32_u24_e32 v104, 0x10001, v104
	v_pk_mul_f16 v61, v61, v104
	v_pk_mul_f16 v60, v60, v104
	v_cvt_f16_f32_e32 v104, v88
	s_delay_alu instid0(VALU_DEP_1) | instskip(NEXT) | instid1(VALU_DEP_1)
	v_and_b32_e32 v104, 0xffff, v104
	v_mul_u32_u24_e32 v104, 0x10001, v104
	s_delay_alu instid0(VALU_DEP_1) | instskip(SKIP_2) | instid1(VALU_DEP_1)
	v_pk_mul_f16 v59, v59, v104
	v_pk_mul_f16 v58, v58, v104
	v_cvt_f16_f32_e32 v104, v89
	v_and_b32_e32 v104, 0xffff, v104
	s_delay_alu instid0(VALU_DEP_1) | instskip(NEXT) | instid1(VALU_DEP_1)
	v_mul_u32_u24_e32 v104, 0x10001, v104
	v_pk_mul_f16 v57, v57, v104
	v_pk_mul_f16 v56, v56, v104
	s_wait_loadcnt 0x0
	ds_store_b128 v44, v[8:11]
	s_wait_dscnt 0x0
	s_barrier_signal -1
	s_barrier_wait -1
	global_inv scope:SCOPE_SE
	ds_load_b128 v[8:11], v42
	ds_load_b128 v[92:95], v42 offset:16
	v_cvt_f16_f32_e32 v104, v90
	s_delay_alu instid0(VALU_DEP_1) | instskip(NEXT) | instid1(VALU_DEP_1)
	v_and_b32_e32 v104, 0xffff, v104
	v_mul_u32_u24_e32 v104, 0x10001, v104
	s_delay_alu instid0(VALU_DEP_1)
	v_pk_mul_f16 v105, v55, v104
	v_pk_mul_f16 v104, v54, v104
	v_cndmask_b32_e64 v54, 0, v91, s15
	s_wait_dscnt 0x1
	v_lshrrev_b32_e32 v97, 16, v9
	v_and_b32_e32 v9, 0xffff, v9
	v_lshrrev_b32_e32 v99, 16, v11
	v_and_b32_e32 v11, 0xffff, v11
	s_wait_dscnt 0x0
	v_lshrrev_b32_e32 v102, 16, v93
	v_and_b32_e32 v93, 0xffff, v93
	v_lshrrev_b32_e32 v96, 16, v8
	v_and_b32_e32 v100, 0xffff, v8
	;; [unrolled: 2-line block ×6, first 2 shown]
	v_mul_u32_u24_e32 v9, 0x10001, v9
	v_mul_u32_u24_e32 v10, 0x10001, v10
	;; [unrolled: 1-line block ×6, first 2 shown]
	v_cndmask_b32_e64 v91, 0x7f800000, v54, s16
	s_delay_alu instid0(VALU_DEP_1) | instskip(NEXT) | instid1(VALU_DEP_1)
	v_cvt_f16_f32_e32 v54, v91
	v_and_b32_e32 v54, 0xffff, v54
	s_delay_alu instid0(VALU_DEP_1) | instskip(NEXT) | instid1(VALU_DEP_1)
	v_mul_u32_u24_e32 v54, 0x10001, v54
	v_pk_mul_f16 v106, v53, v54
	v_pk_mul_f16 v107, v52, v54
	ds_load_2addr_b64 v[52:55], v45 offset1:32
	s_wait_dscnt 0x0
	v_pk_fma_f16 v63, v52, v9, v63
	v_pk_fma_f16 v9, v53, v9, v62
	v_mul_u32_u24_e32 v62, 0x10001, v97
	v_pk_fma_f16 v59, v52, v10, v59
	v_pk_fma_f16 v10, v53, v10, v58
	v_mul_u32_u24_e32 v58, 0x10001, v98
	v_pk_fma_f16 v66, v52, v100, v66
	v_pk_fma_f16 v67, v53, v100, v67
	;; [unrolled: 1-line block ×6, first 2 shown]
	v_mul_u32_u24_e32 v62, 0x10001, v99
	v_pk_fma_f16 v57, v52, v58, v57
	v_pk_fma_f16 v56, v53, v58, v56
	;; [unrolled: 1-line block ×6, first 2 shown]
	v_mul_u32_u24_e32 v62, 0x10001, v92
	s_delay_alu instid0(VALU_DEP_3) | instskip(NEXT) | instid1(VALU_DEP_3)
	v_pk_fma_f16 v52, v54, v8, v52
	v_pk_fma_f16 v53, v55, v8, v53
	s_delay_alu instid0(VALU_DEP_3) | instskip(SKIP_2) | instid1(VALU_DEP_1)
	v_pk_fma_f16 v66, v54, v62, v66
	v_pk_fma_f16 v62, v55, v62, v67
	v_mul_u32_u24_e32 v67, 0x10001, v101
	v_pk_fma_f16 v65, v54, v67, v65
	v_pk_fma_f16 v64, v55, v67, v64
	v_mul_u32_u24_e32 v67, 0x10001, v93
	s_delay_alu instid0(VALU_DEP_1) | instskip(SKIP_2) | instid1(VALU_DEP_1)
	v_pk_fma_f16 v63, v54, v67, v63
	v_pk_fma_f16 v67, v55, v67, v9
	v_mul_u32_u24_e32 v9, 0x10001, v102
	v_pk_fma_f16 v61, v54, v9, v61
	v_pk_fma_f16 v60, v55, v9, v60
	v_mul_u32_u24_e32 v9, 0x10001, v94
	s_delay_alu instid0(VALU_DEP_1) | instskip(SKIP_2) | instid1(VALU_DEP_1)
	v_pk_fma_f16 v59, v54, v9, v59
	v_pk_fma_f16 v92, v55, v9, v10
	v_mul_u32_u24_e32 v9, 0x10001, v103
	v_pk_fma_f16 v57, v54, v9, v57
	v_pk_fma_f16 v56, v55, v9, v56
	v_mul_u32_u24_e32 v9, 0x10001, v95
	s_delay_alu instid0(VALU_DEP_1)
	v_pk_fma_f16 v58, v54, v9, v58
	v_pk_fma_f16 v93, v55, v9, v11
	ds_load_b128 v[8:11], v42 offset:32
	s_wait_dscnt 0x0
	v_lshrrev_b32_e32 v54, 16, v8
	v_lshrrev_b32_e32 v55, 16, v9
	;; [unrolled: 1-line block ×4, first 2 shown]
	v_and_b32_e32 v96, 0xffff, v8
	v_and_b32_e32 v97, 0xffff, v9
	;; [unrolled: 1-line block ×4, first 2 shown]
	ds_load_b128 v[8:11], v42 offset:48
	v_mul_u32_u24_e32 v54, 0x10001, v54
	v_mul_u32_u24_e32 v55, 0x10001, v55
	;; [unrolled: 1-line block ×3, first 2 shown]
	s_wait_dscnt 0x0
	v_lshrrev_b32_e32 v100, 16, v8
	v_lshrrev_b32_e32 v101, 16, v9
	;; [unrolled: 1-line block ×4, first 2 shown]
	v_and_b32_e32 v104, 0xffff, v8
	v_and_b32_e32 v105, 0xffff, v9
	;; [unrolled: 1-line block ×4, first 2 shown]
	ds_load_2addr_b64 v[8:11], v45 offset0:64 offset1:96
	s_wait_dscnt 0x0
	v_pk_fma_f16 v65, v8, v54, v65
	v_pk_fma_f16 v54, v9, v54, v64
	v_mul_u32_u24_e32 v64, 0x10001, v97
	v_pk_fma_f16 v61, v8, v55, v61
	v_pk_fma_f16 v55, v9, v55, v60
	v_mul_u32_u24_e32 v60, 0x10001, v98
	v_pk_fma_f16 v66, v8, v96, v66
	v_pk_fma_f16 v62, v9, v96, v62
	;; [unrolled: 1-line block ×4, first 2 shown]
	v_mul_u32_u24_e32 v67, 0x10001, v94
	v_pk_fma_f16 v59, v8, v60, v59
	v_pk_fma_f16 v60, v9, v60, v92
	v_mul_u32_u24_e32 v92, 0x10001, v95
	s_delay_alu instid0(VALU_DEP_4) | instskip(SKIP_2) | instid1(VALU_DEP_1)
	v_pk_fma_f16 v57, v8, v67, v57
	v_pk_fma_f16 v56, v9, v67, v56
	v_mul_u32_u24_e32 v67, 0x10001, v99
	v_pk_fma_f16 v58, v8, v67, v58
	v_pk_fma_f16 v8, v8, v92, v52
	v_mul_u32_u24_e32 v52, 0x10001, v104
	v_pk_fma_f16 v67, v9, v67, v93
	v_pk_fma_f16 v9, v9, v92, v53
	s_delay_alu instid0(VALU_DEP_3) | instskip(SKIP_3) | instid1(VALU_DEP_2)
	v_pk_fma_f16 v53, v10, v52, v66
	v_pk_fma_f16 v52, v11, v52, v62
	v_mul_u32_u24_e32 v62, 0x10001, v100
	v_mul_u32_u24_e32 v66, 0x10001, v103
	v_pk_fma_f16 v65, v10, v62, v65
	v_pk_fma_f16 v54, v11, v62, v54
	v_mul_u32_u24_e32 v62, 0x10001, v105
	s_delay_alu instid0(VALU_DEP_1) | instskip(SKIP_2) | instid1(VALU_DEP_1)
	v_pk_fma_f16 v63, v10, v62, v63
	v_pk_fma_f16 v62, v11, v62, v64
	v_mul_u32_u24_e32 v64, 0x10001, v101
	v_pk_fma_f16 v61, v10, v64, v61
	v_pk_fma_f16 v55, v11, v64, v55
	v_mul_u32_u24_e32 v64, 0x10001, v106
	s_delay_alu instid0(VALU_DEP_1) | instskip(SKIP_2) | instid1(VALU_DEP_1)
	v_pk_fma_f16 v59, v10, v64, v59
	v_pk_fma_f16 v60, v11, v64, v60
	v_mul_u32_u24_e32 v64, 0x10001, v102
	v_pk_fma_f16 v57, v10, v64, v57
	v_pk_fma_f16 v56, v11, v64, v56
	v_mul_u32_u24_e32 v64, 0x10001, v107
	s_delay_alu instid0(VALU_DEP_1)
	v_pk_fma_f16 v58, v10, v64, v58
	v_pk_fma_f16 v64, v11, v64, v67
	;; [unrolled: 1-line block ×4, first 2 shown]
	ds_load_b128 v[8:11], v42 offset:64
	s_wait_dscnt 0x0
	v_lshrrev_b32_e32 v92, 16, v8
	v_lshrrev_b32_e32 v93, 16, v9
	;; [unrolled: 1-line block ×4, first 2 shown]
	v_and_b32_e32 v96, 0xffff, v8
	v_and_b32_e32 v97, 0xffff, v9
	;; [unrolled: 1-line block ×4, first 2 shown]
	ds_load_b128 v[8:11], v42 offset:80
	v_mul_u32_u24_e32 v92, 0x10001, v92
	v_mul_u32_u24_e32 v96, 0x10001, v96
	s_wait_dscnt 0x0
	v_lshrrev_b32_e32 v100, 16, v8
	v_lshrrev_b32_e32 v101, 16, v9
	;; [unrolled: 1-line block ×4, first 2 shown]
	v_and_b32_e32 v104, 0xffff, v8
	v_and_b32_e32 v105, 0xffff, v9
	;; [unrolled: 1-line block ×4, first 2 shown]
	ds_load_2addr_b64 v[8:11], v45 offset0:128 offset1:160
	s_wait_dscnt 0x0
	v_pk_fma_f16 v65, v8, v92, v65
	v_pk_fma_f16 v54, v9, v92, v54
	v_mul_u32_u24_e32 v92, 0x10001, v97
	v_pk_fma_f16 v53, v8, v96, v53
	v_pk_fma_f16 v52, v9, v96, v52
	s_delay_alu instid0(VALU_DEP_3) | instskip(SKIP_2) | instid1(VALU_DEP_1)
	v_pk_fma_f16 v63, v8, v92, v63
	v_pk_fma_f16 v62, v9, v92, v62
	v_mul_u32_u24_e32 v92, 0x10001, v93
	v_pk_fma_f16 v61, v8, v92, v61
	v_pk_fma_f16 v55, v9, v92, v55
	v_mul_u32_u24_e32 v92, 0x10001, v98
	s_delay_alu instid0(VALU_DEP_1) | instskip(SKIP_2) | instid1(VALU_DEP_1)
	v_pk_fma_f16 v59, v8, v92, v59
	v_pk_fma_f16 v60, v9, v92, v60
	v_mul_u32_u24_e32 v92, 0x10001, v94
	v_pk_fma_f16 v57, v8, v92, v57
	v_pk_fma_f16 v56, v9, v92, v56
	v_mul_u32_u24_e32 v92, 0x10001, v99
	s_delay_alu instid0(VALU_DEP_1) | instskip(SKIP_2) | instid1(VALU_DEP_1)
	v_pk_fma_f16 v58, v8, v92, v58
	v_pk_fma_f16 v64, v9, v92, v64
	v_mul_u32_u24_e32 v92, 0x10001, v95
	v_pk_fma_f16 v9, v9, v92, v66
	v_mul_u32_u24_e32 v66, 0x10001, v104
	v_pk_fma_f16 v8, v8, v92, v67
	s_delay_alu instid0(VALU_DEP_2) | instskip(SKIP_2) | instid1(VALU_DEP_1)
	v_pk_fma_f16 v53, v10, v66, v53
	v_pk_fma_f16 v52, v11, v66, v52
	v_mul_u32_u24_e32 v66, 0x10001, v100
	v_pk_fma_f16 v65, v10, v66, v65
	v_pk_fma_f16 v54, v11, v66, v54
	v_mul_u32_u24_e32 v66, 0x10001, v105
	s_delay_alu instid0(VALU_DEP_1) | instskip(SKIP_2) | instid1(VALU_DEP_1)
	v_pk_fma_f16 v63, v10, v66, v63
	v_pk_fma_f16 v62, v11, v66, v62
	v_mul_u32_u24_e32 v66, 0x10001, v101
	v_pk_fma_f16 v61, v10, v66, v61
	v_pk_fma_f16 v55, v11, v66, v55
	v_mul_u32_u24_e32 v66, 0x10001, v106
	s_delay_alu instid0(VALU_DEP_1) | instskip(SKIP_2) | instid1(VALU_DEP_1)
	;; [unrolled: 7-line block ×3, first 2 shown]
	v_pk_fma_f16 v58, v10, v66, v58
	v_pk_fma_f16 v64, v11, v66, v64
	v_mul_u32_u24_e32 v66, 0x10001, v103
	v_pk_fma_f16 v67, v10, v66, v8
	v_pk_fma_f16 v66, v11, v66, v9
	ds_load_b128 v[8:11], v42 offset:96
	s_wait_dscnt 0x0
	v_lshrrev_b32_e32 v92, 16, v8
	v_lshrrev_b32_e32 v93, 16, v9
	;; [unrolled: 1-line block ×4, first 2 shown]
	v_and_b32_e32 v96, 0xffff, v8
	v_and_b32_e32 v97, 0xffff, v9
	;; [unrolled: 1-line block ×4, first 2 shown]
	ds_load_b128 v[8:11], v42 offset:112
	v_mul_u32_u24_e32 v92, 0x10001, v92
	v_mul_u32_u24_e32 v96, 0x10001, v96
	s_wait_dscnt 0x0
	v_lshrrev_b32_e32 v100, 16, v8
	v_lshrrev_b32_e32 v101, 16, v9
	v_lshrrev_b32_e32 v102, 16, v10
	v_lshrrev_b32_e32 v103, 16, v11
	v_and_b32_e32 v104, 0xffff, v8
	v_and_b32_e32 v105, 0xffff, v9
	;; [unrolled: 1-line block ×4, first 2 shown]
	ds_load_2addr_b64 v[8:11], v45 offset0:192 offset1:224
	s_wait_dscnt 0x0
	v_pk_fma_f16 v65, v8, v92, v65
	v_pk_fma_f16 v54, v9, v92, v54
	v_mul_u32_u24_e32 v92, 0x10001, v97
	v_pk_fma_f16 v53, v8, v96, v53
	v_pk_fma_f16 v52, v9, v96, v52
	s_delay_alu instid0(VALU_DEP_3) | instskip(SKIP_2) | instid1(VALU_DEP_1)
	v_pk_fma_f16 v63, v8, v92, v63
	v_pk_fma_f16 v62, v9, v92, v62
	v_mul_u32_u24_e32 v92, 0x10001, v93
	v_pk_fma_f16 v61, v8, v92, v61
	v_pk_fma_f16 v55, v9, v92, v55
	v_mul_u32_u24_e32 v92, 0x10001, v98
	s_delay_alu instid0(VALU_DEP_1) | instskip(SKIP_2) | instid1(VALU_DEP_1)
	v_pk_fma_f16 v59, v8, v92, v59
	v_pk_fma_f16 v60, v9, v92, v60
	v_mul_u32_u24_e32 v92, 0x10001, v94
	v_pk_fma_f16 v57, v8, v92, v57
	v_pk_fma_f16 v56, v9, v92, v56
	v_mul_u32_u24_e32 v92, 0x10001, v99
	s_delay_alu instid0(VALU_DEP_1) | instskip(SKIP_2) | instid1(VALU_DEP_1)
	v_pk_fma_f16 v58, v8, v92, v58
	v_pk_fma_f16 v64, v9, v92, v64
	v_mul_u32_u24_e32 v92, 0x10001, v95
	v_pk_fma_f16 v9, v9, v92, v66
	v_mul_u32_u24_e32 v66, 0x10001, v104
	v_pk_fma_f16 v8, v8, v92, v67
	s_delay_alu instid0(VALU_DEP_2) | instskip(SKIP_2) | instid1(VALU_DEP_1)
	v_pk_fma_f16 v53, v10, v66, v53
	v_pk_fma_f16 v52, v11, v66, v52
	v_mul_u32_u24_e32 v66, 0x10001, v100
	v_pk_fma_f16 v65, v10, v66, v65
	v_pk_fma_f16 v54, v11, v66, v54
	v_mul_u32_u24_e32 v66, 0x10001, v105
	s_delay_alu instid0(VALU_DEP_1) | instskip(SKIP_2) | instid1(VALU_DEP_1)
	v_pk_fma_f16 v63, v10, v66, v63
	v_pk_fma_f16 v62, v11, v66, v62
	v_mul_u32_u24_e32 v66, 0x10001, v101
	v_pk_fma_f16 v61, v10, v66, v61
	v_pk_fma_f16 v55, v11, v66, v55
	v_mul_u32_u24_e32 v66, 0x10001, v106
	s_delay_alu instid0(VALU_DEP_1) | instskip(SKIP_2) | instid1(VALU_DEP_1)
	;; [unrolled: 7-line block ×3, first 2 shown]
	v_pk_fma_f16 v58, v10, v66, v58
	v_pk_fma_f16 v64, v11, v66, v64
	v_mul_u32_u24_e32 v66, 0x10001, v103
	v_pk_fma_f16 v67, v10, v66, v8
	v_pk_fma_f16 v66, v11, v66, v9
	ds_load_b128 v[8:11], v42 offset:128
	s_wait_dscnt 0x0
	v_lshrrev_b32_e32 v92, 16, v8
	v_lshrrev_b32_e32 v93, 16, v9
	;; [unrolled: 1-line block ×4, first 2 shown]
	v_and_b32_e32 v96, 0xffff, v8
	v_and_b32_e32 v97, 0xffff, v9
	;; [unrolled: 1-line block ×4, first 2 shown]
	ds_load_b128 v[8:11], v42 offset:144
	v_mul_u32_u24_e32 v92, 0x10001, v92
	v_mul_u32_u24_e32 v96, 0x10001, v96
	s_wait_dscnt 0x0
	v_lshrrev_b32_e32 v100, 16, v8
	v_lshrrev_b32_e32 v101, 16, v9
	;; [unrolled: 1-line block ×4, first 2 shown]
	v_and_b32_e32 v104, 0xffff, v8
	v_and_b32_e32 v105, 0xffff, v9
	;; [unrolled: 1-line block ×4, first 2 shown]
	ds_load_2addr_b64 v[8:11], v49 offset1:32
	s_wait_dscnt 0x0
	v_pk_fma_f16 v65, v8, v92, v65
	v_pk_fma_f16 v54, v9, v92, v54
	v_mul_u32_u24_e32 v92, 0x10001, v97
	v_pk_fma_f16 v53, v8, v96, v53
	v_pk_fma_f16 v52, v9, v96, v52
	s_delay_alu instid0(VALU_DEP_3) | instskip(SKIP_2) | instid1(VALU_DEP_1)
	v_pk_fma_f16 v63, v8, v92, v63
	v_pk_fma_f16 v62, v9, v92, v62
	v_mul_u32_u24_e32 v92, 0x10001, v93
	v_pk_fma_f16 v61, v8, v92, v61
	v_pk_fma_f16 v55, v9, v92, v55
	v_mul_u32_u24_e32 v92, 0x10001, v98
	s_delay_alu instid0(VALU_DEP_1) | instskip(SKIP_2) | instid1(VALU_DEP_1)
	v_pk_fma_f16 v59, v8, v92, v59
	v_pk_fma_f16 v60, v9, v92, v60
	v_mul_u32_u24_e32 v92, 0x10001, v94
	v_pk_fma_f16 v57, v8, v92, v57
	v_pk_fma_f16 v56, v9, v92, v56
	v_mul_u32_u24_e32 v92, 0x10001, v99
	s_delay_alu instid0(VALU_DEP_1) | instskip(SKIP_2) | instid1(VALU_DEP_1)
	v_pk_fma_f16 v58, v8, v92, v58
	v_pk_fma_f16 v64, v9, v92, v64
	v_mul_u32_u24_e32 v92, 0x10001, v95
	v_pk_fma_f16 v9, v9, v92, v66
	v_mul_u32_u24_e32 v66, 0x10001, v104
	v_pk_fma_f16 v8, v8, v92, v67
	s_delay_alu instid0(VALU_DEP_2) | instskip(SKIP_2) | instid1(VALU_DEP_1)
	v_pk_fma_f16 v53, v10, v66, v53
	v_pk_fma_f16 v52, v11, v66, v52
	v_mul_u32_u24_e32 v66, 0x10001, v100
	v_pk_fma_f16 v65, v10, v66, v65
	v_pk_fma_f16 v54, v11, v66, v54
	v_mul_u32_u24_e32 v66, 0x10001, v105
	s_delay_alu instid0(VALU_DEP_1) | instskip(SKIP_2) | instid1(VALU_DEP_1)
	v_pk_fma_f16 v63, v10, v66, v63
	v_pk_fma_f16 v62, v11, v66, v62
	v_mul_u32_u24_e32 v66, 0x10001, v101
	v_pk_fma_f16 v61, v10, v66, v61
	v_pk_fma_f16 v55, v11, v66, v55
	v_mul_u32_u24_e32 v66, 0x10001, v106
	s_delay_alu instid0(VALU_DEP_1) | instskip(SKIP_2) | instid1(VALU_DEP_1)
	;; [unrolled: 7-line block ×3, first 2 shown]
	v_pk_fma_f16 v58, v10, v66, v58
	v_pk_fma_f16 v64, v11, v66, v64
	v_mul_u32_u24_e32 v66, 0x10001, v103
	v_pk_fma_f16 v67, v10, v66, v8
	v_pk_fma_f16 v66, v11, v66, v9
	ds_load_b128 v[8:11], v42 offset:160
	s_wait_dscnt 0x0
	v_lshrrev_b32_e32 v92, 16, v8
	v_lshrrev_b32_e32 v93, 16, v9
	;; [unrolled: 1-line block ×4, first 2 shown]
	v_and_b32_e32 v96, 0xffff, v8
	v_and_b32_e32 v97, 0xffff, v9
	;; [unrolled: 1-line block ×4, first 2 shown]
	ds_load_b128 v[8:11], v42 offset:176
	v_mul_u32_u24_e32 v92, 0x10001, v92
	v_mul_u32_u24_e32 v96, 0x10001, v96
	s_wait_dscnt 0x0
	v_lshrrev_b32_e32 v100, 16, v8
	v_lshrrev_b32_e32 v101, 16, v9
	;; [unrolled: 1-line block ×4, first 2 shown]
	v_and_b32_e32 v104, 0xffff, v8
	v_and_b32_e32 v105, 0xffff, v9
	;; [unrolled: 1-line block ×4, first 2 shown]
	ds_load_2addr_b64 v[8:11], v49 offset0:64 offset1:96
	s_wait_dscnt 0x0
	v_pk_fma_f16 v65, v8, v92, v65
	v_pk_fma_f16 v54, v9, v92, v54
	v_mul_u32_u24_e32 v92, 0x10001, v97
	v_pk_fma_f16 v53, v8, v96, v53
	v_pk_fma_f16 v52, v9, v96, v52
	s_delay_alu instid0(VALU_DEP_3) | instskip(SKIP_2) | instid1(VALU_DEP_1)
	v_pk_fma_f16 v63, v8, v92, v63
	v_pk_fma_f16 v62, v9, v92, v62
	v_mul_u32_u24_e32 v92, 0x10001, v93
	v_pk_fma_f16 v61, v8, v92, v61
	v_pk_fma_f16 v55, v9, v92, v55
	v_mul_u32_u24_e32 v92, 0x10001, v98
	s_delay_alu instid0(VALU_DEP_1) | instskip(SKIP_2) | instid1(VALU_DEP_1)
	v_pk_fma_f16 v59, v8, v92, v59
	v_pk_fma_f16 v60, v9, v92, v60
	v_mul_u32_u24_e32 v92, 0x10001, v94
	v_pk_fma_f16 v57, v8, v92, v57
	v_pk_fma_f16 v56, v9, v92, v56
	v_mul_u32_u24_e32 v92, 0x10001, v99
	s_delay_alu instid0(VALU_DEP_1) | instskip(SKIP_2) | instid1(VALU_DEP_1)
	v_pk_fma_f16 v58, v8, v92, v58
	v_pk_fma_f16 v64, v9, v92, v64
	v_mul_u32_u24_e32 v92, 0x10001, v95
	v_pk_fma_f16 v9, v9, v92, v66
	v_mul_u32_u24_e32 v66, 0x10001, v104
	v_pk_fma_f16 v8, v8, v92, v67
	s_delay_alu instid0(VALU_DEP_2) | instskip(SKIP_2) | instid1(VALU_DEP_1)
	v_pk_fma_f16 v53, v10, v66, v53
	v_pk_fma_f16 v52, v11, v66, v52
	v_mul_u32_u24_e32 v66, 0x10001, v100
	v_pk_fma_f16 v65, v10, v66, v65
	v_pk_fma_f16 v54, v11, v66, v54
	v_mul_u32_u24_e32 v66, 0x10001, v105
	s_delay_alu instid0(VALU_DEP_1) | instskip(SKIP_2) | instid1(VALU_DEP_1)
	v_pk_fma_f16 v63, v10, v66, v63
	v_pk_fma_f16 v62, v11, v66, v62
	v_mul_u32_u24_e32 v66, 0x10001, v101
	v_pk_fma_f16 v61, v10, v66, v61
	v_pk_fma_f16 v55, v11, v66, v55
	v_mul_u32_u24_e32 v66, 0x10001, v106
	s_delay_alu instid0(VALU_DEP_1) | instskip(SKIP_2) | instid1(VALU_DEP_1)
	;; [unrolled: 7-line block ×3, first 2 shown]
	v_pk_fma_f16 v58, v10, v66, v58
	v_pk_fma_f16 v64, v11, v66, v64
	v_mul_u32_u24_e32 v66, 0x10001, v103
	v_pk_fma_f16 v67, v10, v66, v8
	v_pk_fma_f16 v66, v11, v66, v9
	ds_load_b128 v[8:11], v42 offset:192
	s_wait_dscnt 0x0
	v_lshrrev_b32_e32 v92, 16, v8
	v_lshrrev_b32_e32 v93, 16, v9
	;; [unrolled: 1-line block ×4, first 2 shown]
	v_and_b32_e32 v96, 0xffff, v8
	v_and_b32_e32 v97, 0xffff, v9
	;; [unrolled: 1-line block ×4, first 2 shown]
	ds_load_b128 v[8:11], v42 offset:208
	v_mul_u32_u24_e32 v92, 0x10001, v92
	v_mul_u32_u24_e32 v96, 0x10001, v96
	s_wait_dscnt 0x0
	v_lshrrev_b32_e32 v100, 16, v8
	v_lshrrev_b32_e32 v101, 16, v9
	v_lshrrev_b32_e32 v102, 16, v10
	v_lshrrev_b32_e32 v103, 16, v11
	v_and_b32_e32 v104, 0xffff, v8
	v_and_b32_e32 v105, 0xffff, v9
	;; [unrolled: 1-line block ×4, first 2 shown]
	ds_load_2addr_b64 v[8:11], v49 offset0:128 offset1:160
	s_wait_dscnt 0x0
	v_pk_fma_f16 v65, v8, v92, v65
	v_pk_fma_f16 v54, v9, v92, v54
	v_mul_u32_u24_e32 v92, 0x10001, v97
	v_pk_fma_f16 v53, v8, v96, v53
	v_pk_fma_f16 v52, v9, v96, v52
	s_delay_alu instid0(VALU_DEP_3) | instskip(SKIP_2) | instid1(VALU_DEP_1)
	v_pk_fma_f16 v63, v8, v92, v63
	v_pk_fma_f16 v62, v9, v92, v62
	v_mul_u32_u24_e32 v92, 0x10001, v93
	v_pk_fma_f16 v61, v8, v92, v61
	v_pk_fma_f16 v55, v9, v92, v55
	v_mul_u32_u24_e32 v92, 0x10001, v98
	s_delay_alu instid0(VALU_DEP_1) | instskip(SKIP_2) | instid1(VALU_DEP_1)
	v_pk_fma_f16 v59, v8, v92, v59
	v_pk_fma_f16 v60, v9, v92, v60
	v_mul_u32_u24_e32 v92, 0x10001, v94
	v_pk_fma_f16 v57, v8, v92, v57
	v_pk_fma_f16 v56, v9, v92, v56
	v_mul_u32_u24_e32 v92, 0x10001, v99
	s_delay_alu instid0(VALU_DEP_1) | instskip(SKIP_2) | instid1(VALU_DEP_1)
	v_pk_fma_f16 v58, v8, v92, v58
	v_pk_fma_f16 v64, v9, v92, v64
	v_mul_u32_u24_e32 v92, 0x10001, v95
	v_pk_fma_f16 v9, v9, v92, v66
	v_mul_u32_u24_e32 v66, 0x10001, v104
	v_pk_fma_f16 v8, v8, v92, v67
	s_delay_alu instid0(VALU_DEP_2) | instskip(SKIP_2) | instid1(VALU_DEP_1)
	v_pk_fma_f16 v53, v10, v66, v53
	v_pk_fma_f16 v52, v11, v66, v52
	v_mul_u32_u24_e32 v66, 0x10001, v100
	v_pk_fma_f16 v65, v10, v66, v65
	v_pk_fma_f16 v54, v11, v66, v54
	v_mul_u32_u24_e32 v66, 0x10001, v105
	s_delay_alu instid0(VALU_DEP_1) | instskip(SKIP_2) | instid1(VALU_DEP_1)
	v_pk_fma_f16 v63, v10, v66, v63
	v_pk_fma_f16 v62, v11, v66, v62
	v_mul_u32_u24_e32 v66, 0x10001, v101
	v_pk_fma_f16 v61, v10, v66, v61
	v_pk_fma_f16 v55, v11, v66, v55
	v_mul_u32_u24_e32 v66, 0x10001, v106
	s_delay_alu instid0(VALU_DEP_1) | instskip(SKIP_2) | instid1(VALU_DEP_1)
	;; [unrolled: 7-line block ×3, first 2 shown]
	v_pk_fma_f16 v58, v10, v66, v58
	v_pk_fma_f16 v64, v11, v66, v64
	v_mul_u32_u24_e32 v66, 0x10001, v103
	v_pk_fma_f16 v67, v10, v66, v8
	v_pk_fma_f16 v66, v11, v66, v9
	ds_load_b128 v[8:11], v42 offset:224
	s_wait_dscnt 0x0
	v_lshrrev_b32_e32 v92, 16, v8
	v_lshrrev_b32_e32 v93, 16, v9
	;; [unrolled: 1-line block ×4, first 2 shown]
	v_and_b32_e32 v96, 0xffff, v8
	v_and_b32_e32 v97, 0xffff, v9
	;; [unrolled: 1-line block ×4, first 2 shown]
	ds_load_b128 v[8:11], v42 offset:240
	v_mul_u32_u24_e32 v92, 0x10001, v92
	v_mul_u32_u24_e32 v96, 0x10001, v96
	s_wait_dscnt 0x0
	v_lshrrev_b32_e32 v100, 16, v8
	v_lshrrev_b32_e32 v101, 16, v9
	;; [unrolled: 1-line block ×4, first 2 shown]
	v_and_b32_e32 v104, 0xffff, v8
	v_and_b32_e32 v105, 0xffff, v9
	;; [unrolled: 1-line block ×4, first 2 shown]
	ds_load_2addr_b64 v[8:11], v49 offset0:192 offset1:224
	s_wait_dscnt 0x0
	v_pk_fma_f16 v65, v8, v92, v65
	v_pk_fma_f16 v54, v9, v92, v54
	v_mul_u32_u24_e32 v92, 0x10001, v97
	v_pk_fma_f16 v53, v8, v96, v53
	v_pk_fma_f16 v52, v9, v96, v52
	s_delay_alu instid0(VALU_DEP_3) | instskip(SKIP_2) | instid1(VALU_DEP_1)
	v_pk_fma_f16 v63, v8, v92, v63
	v_pk_fma_f16 v62, v9, v92, v62
	v_mul_u32_u24_e32 v92, 0x10001, v93
	v_pk_fma_f16 v61, v8, v92, v61
	v_pk_fma_f16 v55, v9, v92, v55
	v_mul_u32_u24_e32 v92, 0x10001, v98
	s_delay_alu instid0(VALU_DEP_1) | instskip(SKIP_2) | instid1(VALU_DEP_1)
	v_pk_fma_f16 v59, v8, v92, v59
	v_pk_fma_f16 v60, v9, v92, v60
	v_mul_u32_u24_e32 v92, 0x10001, v94
	v_pk_fma_f16 v57, v8, v92, v57
	v_pk_fma_f16 v56, v9, v92, v56
	v_mul_u32_u24_e32 v92, 0x10001, v99
	s_delay_alu instid0(VALU_DEP_1) | instskip(SKIP_2) | instid1(VALU_DEP_1)
	v_pk_fma_f16 v58, v8, v92, v58
	v_pk_fma_f16 v64, v9, v92, v64
	v_mul_u32_u24_e32 v92, 0x10001, v95
	v_pk_fma_f16 v9, v9, v92, v66
	v_mul_u32_u24_e32 v66, 0x10001, v104
	v_pk_fma_f16 v8, v8, v92, v67
	s_delay_alu instid0(VALU_DEP_2) | instskip(SKIP_2) | instid1(VALU_DEP_1)
	v_pk_fma_f16 v53, v10, v66, v53
	v_pk_fma_f16 v52, v11, v66, v52
	v_mul_u32_u24_e32 v66, 0x10001, v100
	v_pk_fma_f16 v65, v10, v66, v65
	v_pk_fma_f16 v54, v11, v66, v54
	v_mul_u32_u24_e32 v66, 0x10001, v105
	s_delay_alu instid0(VALU_DEP_1) | instskip(SKIP_2) | instid1(VALU_DEP_1)
	v_pk_fma_f16 v63, v10, v66, v63
	v_pk_fma_f16 v62, v11, v66, v62
	v_mul_u32_u24_e32 v66, 0x10001, v101
	v_pk_fma_f16 v61, v10, v66, v61
	v_pk_fma_f16 v55, v11, v66, v55
	v_mul_u32_u24_e32 v66, 0x10001, v106
	s_delay_alu instid0(VALU_DEP_1) | instskip(SKIP_2) | instid1(VALU_DEP_1)
	;; [unrolled: 7-line block ×3, first 2 shown]
	v_pk_fma_f16 v58, v10, v66, v58
	v_pk_fma_f16 v64, v11, v66, v64
	v_mul_u32_u24_e32 v66, 0x10001, v103
	v_pk_fma_f16 v67, v10, v66, v8
	v_pk_fma_f16 v66, v11, v66, v9
	ds_load_b128 v[8:11], v42 offset:256
	s_wait_dscnt 0x0
	v_lshrrev_b32_e32 v92, 16, v8
	v_lshrrev_b32_e32 v93, 16, v9
	;; [unrolled: 1-line block ×4, first 2 shown]
	v_and_b32_e32 v96, 0xffff, v8
	v_and_b32_e32 v97, 0xffff, v9
	;; [unrolled: 1-line block ×4, first 2 shown]
	ds_load_b128 v[8:11], v42 offset:272
	v_mul_u32_u24_e32 v92, 0x10001, v92
	v_mul_u32_u24_e32 v96, 0x10001, v96
	s_wait_dscnt 0x0
	v_lshrrev_b32_e32 v100, 16, v8
	v_lshrrev_b32_e32 v101, 16, v9
	;; [unrolled: 1-line block ×4, first 2 shown]
	v_and_b32_e32 v104, 0xffff, v8
	v_and_b32_e32 v105, 0xffff, v9
	;; [unrolled: 1-line block ×4, first 2 shown]
	ds_load_2addr_b64 v[8:11], v50 offset1:32
	s_wait_dscnt 0x0
	v_pk_fma_f16 v65, v8, v92, v65
	v_pk_fma_f16 v54, v9, v92, v54
	v_mul_u32_u24_e32 v92, 0x10001, v97
	v_pk_fma_f16 v53, v8, v96, v53
	v_pk_fma_f16 v52, v9, v96, v52
	s_delay_alu instid0(VALU_DEP_3) | instskip(SKIP_2) | instid1(VALU_DEP_1)
	v_pk_fma_f16 v63, v8, v92, v63
	v_pk_fma_f16 v62, v9, v92, v62
	v_mul_u32_u24_e32 v92, 0x10001, v93
	v_pk_fma_f16 v61, v8, v92, v61
	v_pk_fma_f16 v55, v9, v92, v55
	v_mul_u32_u24_e32 v92, 0x10001, v98
	s_delay_alu instid0(VALU_DEP_1) | instskip(SKIP_2) | instid1(VALU_DEP_1)
	v_pk_fma_f16 v59, v8, v92, v59
	v_pk_fma_f16 v60, v9, v92, v60
	v_mul_u32_u24_e32 v92, 0x10001, v94
	v_pk_fma_f16 v57, v8, v92, v57
	v_pk_fma_f16 v56, v9, v92, v56
	v_mul_u32_u24_e32 v92, 0x10001, v99
	s_delay_alu instid0(VALU_DEP_1) | instskip(SKIP_2) | instid1(VALU_DEP_1)
	v_pk_fma_f16 v58, v8, v92, v58
	v_pk_fma_f16 v64, v9, v92, v64
	v_mul_u32_u24_e32 v92, 0x10001, v95
	v_pk_fma_f16 v9, v9, v92, v66
	v_mul_u32_u24_e32 v66, 0x10001, v104
	v_pk_fma_f16 v8, v8, v92, v67
	s_delay_alu instid0(VALU_DEP_2) | instskip(SKIP_2) | instid1(VALU_DEP_1)
	v_pk_fma_f16 v53, v10, v66, v53
	v_pk_fma_f16 v52, v11, v66, v52
	v_mul_u32_u24_e32 v66, 0x10001, v100
	v_pk_fma_f16 v65, v10, v66, v65
	v_pk_fma_f16 v54, v11, v66, v54
	v_mul_u32_u24_e32 v66, 0x10001, v105
	s_delay_alu instid0(VALU_DEP_1) | instskip(SKIP_2) | instid1(VALU_DEP_1)
	v_pk_fma_f16 v63, v10, v66, v63
	v_pk_fma_f16 v62, v11, v66, v62
	v_mul_u32_u24_e32 v66, 0x10001, v101
	v_pk_fma_f16 v61, v10, v66, v61
	v_pk_fma_f16 v55, v11, v66, v55
	v_mul_u32_u24_e32 v66, 0x10001, v106
	s_delay_alu instid0(VALU_DEP_1) | instskip(SKIP_2) | instid1(VALU_DEP_1)
	;; [unrolled: 7-line block ×3, first 2 shown]
	v_pk_fma_f16 v58, v10, v66, v58
	v_pk_fma_f16 v64, v11, v66, v64
	v_mul_u32_u24_e32 v66, 0x10001, v103
	v_pk_fma_f16 v67, v10, v66, v8
	v_pk_fma_f16 v66, v11, v66, v9
	ds_load_b128 v[8:11], v42 offset:288
	s_wait_dscnt 0x0
	v_lshrrev_b32_e32 v92, 16, v8
	v_lshrrev_b32_e32 v93, 16, v9
	;; [unrolled: 1-line block ×4, first 2 shown]
	v_and_b32_e32 v96, 0xffff, v8
	v_and_b32_e32 v97, 0xffff, v9
	;; [unrolled: 1-line block ×4, first 2 shown]
	ds_load_b128 v[8:11], v42 offset:304
	v_mul_u32_u24_e32 v92, 0x10001, v92
	v_mul_u32_u24_e32 v96, 0x10001, v96
	s_wait_dscnt 0x0
	v_lshrrev_b32_e32 v100, 16, v8
	v_lshrrev_b32_e32 v101, 16, v9
	;; [unrolled: 1-line block ×4, first 2 shown]
	v_and_b32_e32 v104, 0xffff, v8
	v_and_b32_e32 v105, 0xffff, v9
	;; [unrolled: 1-line block ×4, first 2 shown]
	ds_load_2addr_b64 v[8:11], v50 offset0:64 offset1:96
	s_wait_dscnt 0x0
	v_pk_fma_f16 v65, v8, v92, v65
	v_pk_fma_f16 v54, v9, v92, v54
	v_mul_u32_u24_e32 v92, 0x10001, v97
	v_pk_fma_f16 v53, v8, v96, v53
	v_pk_fma_f16 v52, v9, v96, v52
	s_delay_alu instid0(VALU_DEP_3) | instskip(SKIP_2) | instid1(VALU_DEP_1)
	v_pk_fma_f16 v63, v8, v92, v63
	v_pk_fma_f16 v62, v9, v92, v62
	v_mul_u32_u24_e32 v92, 0x10001, v93
	v_pk_fma_f16 v61, v8, v92, v61
	v_pk_fma_f16 v55, v9, v92, v55
	v_mul_u32_u24_e32 v92, 0x10001, v98
	s_delay_alu instid0(VALU_DEP_1) | instskip(SKIP_2) | instid1(VALU_DEP_1)
	v_pk_fma_f16 v59, v8, v92, v59
	v_pk_fma_f16 v60, v9, v92, v60
	v_mul_u32_u24_e32 v92, 0x10001, v94
	v_pk_fma_f16 v57, v8, v92, v57
	v_pk_fma_f16 v56, v9, v92, v56
	v_mul_u32_u24_e32 v92, 0x10001, v99
	s_delay_alu instid0(VALU_DEP_1) | instskip(SKIP_2) | instid1(VALU_DEP_1)
	v_pk_fma_f16 v58, v8, v92, v58
	v_pk_fma_f16 v64, v9, v92, v64
	v_mul_u32_u24_e32 v92, 0x10001, v95
	v_pk_fma_f16 v9, v9, v92, v66
	v_mul_u32_u24_e32 v66, 0x10001, v104
	v_pk_fma_f16 v8, v8, v92, v67
	s_delay_alu instid0(VALU_DEP_2) | instskip(SKIP_2) | instid1(VALU_DEP_1)
	v_pk_fma_f16 v53, v10, v66, v53
	v_pk_fma_f16 v52, v11, v66, v52
	v_mul_u32_u24_e32 v66, 0x10001, v100
	v_pk_fma_f16 v65, v10, v66, v65
	v_pk_fma_f16 v54, v11, v66, v54
	v_mul_u32_u24_e32 v66, 0x10001, v105
	s_delay_alu instid0(VALU_DEP_1) | instskip(SKIP_2) | instid1(VALU_DEP_1)
	v_pk_fma_f16 v63, v10, v66, v63
	v_pk_fma_f16 v62, v11, v66, v62
	v_mul_u32_u24_e32 v66, 0x10001, v101
	v_pk_fma_f16 v61, v10, v66, v61
	v_pk_fma_f16 v55, v11, v66, v55
	v_mul_u32_u24_e32 v66, 0x10001, v106
	s_delay_alu instid0(VALU_DEP_1) | instskip(SKIP_2) | instid1(VALU_DEP_1)
	;; [unrolled: 7-line block ×3, first 2 shown]
	v_pk_fma_f16 v58, v10, v66, v58
	v_pk_fma_f16 v64, v11, v66, v64
	v_mul_u32_u24_e32 v66, 0x10001, v103
	v_pk_fma_f16 v67, v10, v66, v8
	v_pk_fma_f16 v66, v11, v66, v9
	ds_load_b128 v[8:11], v42 offset:320
	s_wait_dscnt 0x0
	v_lshrrev_b32_e32 v92, 16, v8
	v_lshrrev_b32_e32 v93, 16, v9
	;; [unrolled: 1-line block ×4, first 2 shown]
	v_and_b32_e32 v96, 0xffff, v8
	v_and_b32_e32 v97, 0xffff, v9
	;; [unrolled: 1-line block ×4, first 2 shown]
	ds_load_b128 v[8:11], v42 offset:336
	v_mul_u32_u24_e32 v92, 0x10001, v92
	v_mul_u32_u24_e32 v96, 0x10001, v96
	s_wait_dscnt 0x0
	v_lshrrev_b32_e32 v100, 16, v8
	v_lshrrev_b32_e32 v101, 16, v9
	;; [unrolled: 1-line block ×4, first 2 shown]
	v_and_b32_e32 v104, 0xffff, v8
	v_and_b32_e32 v105, 0xffff, v9
	;; [unrolled: 1-line block ×4, first 2 shown]
	ds_load_2addr_b64 v[8:11], v50 offset0:128 offset1:160
	s_wait_dscnt 0x0
	v_pk_fma_f16 v65, v8, v92, v65
	v_pk_fma_f16 v54, v9, v92, v54
	v_mul_u32_u24_e32 v92, 0x10001, v97
	v_pk_fma_f16 v53, v8, v96, v53
	v_pk_fma_f16 v52, v9, v96, v52
	s_delay_alu instid0(VALU_DEP_3) | instskip(SKIP_2) | instid1(VALU_DEP_1)
	v_pk_fma_f16 v63, v8, v92, v63
	v_pk_fma_f16 v62, v9, v92, v62
	v_mul_u32_u24_e32 v92, 0x10001, v93
	v_pk_fma_f16 v61, v8, v92, v61
	v_pk_fma_f16 v55, v9, v92, v55
	v_mul_u32_u24_e32 v92, 0x10001, v98
	s_delay_alu instid0(VALU_DEP_1) | instskip(SKIP_2) | instid1(VALU_DEP_1)
	v_pk_fma_f16 v59, v8, v92, v59
	v_pk_fma_f16 v60, v9, v92, v60
	v_mul_u32_u24_e32 v92, 0x10001, v94
	v_pk_fma_f16 v57, v8, v92, v57
	v_pk_fma_f16 v56, v9, v92, v56
	v_mul_u32_u24_e32 v92, 0x10001, v99
	s_delay_alu instid0(VALU_DEP_1) | instskip(SKIP_2) | instid1(VALU_DEP_1)
	v_pk_fma_f16 v58, v8, v92, v58
	v_pk_fma_f16 v64, v9, v92, v64
	v_mul_u32_u24_e32 v92, 0x10001, v95
	v_pk_fma_f16 v9, v9, v92, v66
	v_mul_u32_u24_e32 v66, 0x10001, v104
	v_pk_fma_f16 v8, v8, v92, v67
	s_delay_alu instid0(VALU_DEP_2) | instskip(SKIP_2) | instid1(VALU_DEP_1)
	v_pk_fma_f16 v53, v10, v66, v53
	v_pk_fma_f16 v52, v11, v66, v52
	v_mul_u32_u24_e32 v66, 0x10001, v100
	v_pk_fma_f16 v65, v10, v66, v65
	v_pk_fma_f16 v54, v11, v66, v54
	v_mul_u32_u24_e32 v66, 0x10001, v105
	s_delay_alu instid0(VALU_DEP_1) | instskip(SKIP_2) | instid1(VALU_DEP_1)
	v_pk_fma_f16 v63, v10, v66, v63
	v_pk_fma_f16 v62, v11, v66, v62
	v_mul_u32_u24_e32 v66, 0x10001, v101
	v_pk_fma_f16 v61, v10, v66, v61
	v_pk_fma_f16 v55, v11, v66, v55
	v_mul_u32_u24_e32 v66, 0x10001, v106
	s_delay_alu instid0(VALU_DEP_1) | instskip(SKIP_2) | instid1(VALU_DEP_1)
	;; [unrolled: 7-line block ×3, first 2 shown]
	v_pk_fma_f16 v58, v10, v66, v58
	v_pk_fma_f16 v64, v11, v66, v64
	v_mul_u32_u24_e32 v66, 0x10001, v103
	v_pk_fma_f16 v67, v10, v66, v8
	v_pk_fma_f16 v66, v11, v66, v9
	ds_load_b128 v[8:11], v42 offset:352
	s_wait_dscnt 0x0
	v_lshrrev_b32_e32 v92, 16, v8
	v_lshrrev_b32_e32 v93, 16, v9
	;; [unrolled: 1-line block ×4, first 2 shown]
	v_and_b32_e32 v96, 0xffff, v8
	v_and_b32_e32 v97, 0xffff, v9
	v_and_b32_e32 v98, 0xffff, v10
	v_and_b32_e32 v99, 0xffff, v11
	ds_load_b128 v[8:11], v42 offset:368
	v_mul_u32_u24_e32 v92, 0x10001, v92
	v_mul_u32_u24_e32 v96, 0x10001, v96
	s_wait_dscnt 0x0
	v_lshrrev_b32_e32 v100, 16, v8
	v_lshrrev_b32_e32 v101, 16, v9
	;; [unrolled: 1-line block ×4, first 2 shown]
	v_and_b32_e32 v104, 0xffff, v8
	v_and_b32_e32 v105, 0xffff, v9
	;; [unrolled: 1-line block ×4, first 2 shown]
	ds_load_2addr_b64 v[8:11], v50 offset0:192 offset1:224
	s_wait_dscnt 0x0
	v_pk_fma_f16 v65, v8, v92, v65
	v_pk_fma_f16 v54, v9, v92, v54
	v_mul_u32_u24_e32 v92, 0x10001, v97
	v_pk_fma_f16 v53, v8, v96, v53
	v_pk_fma_f16 v52, v9, v96, v52
	s_delay_alu instid0(VALU_DEP_3) | instskip(SKIP_2) | instid1(VALU_DEP_1)
	v_pk_fma_f16 v63, v8, v92, v63
	v_pk_fma_f16 v62, v9, v92, v62
	v_mul_u32_u24_e32 v92, 0x10001, v93
	v_pk_fma_f16 v61, v8, v92, v61
	v_pk_fma_f16 v55, v9, v92, v55
	v_mul_u32_u24_e32 v92, 0x10001, v98
	s_delay_alu instid0(VALU_DEP_1) | instskip(SKIP_2) | instid1(VALU_DEP_1)
	v_pk_fma_f16 v59, v8, v92, v59
	v_pk_fma_f16 v60, v9, v92, v60
	v_mul_u32_u24_e32 v92, 0x10001, v94
	v_pk_fma_f16 v57, v8, v92, v57
	v_pk_fma_f16 v56, v9, v92, v56
	v_mul_u32_u24_e32 v92, 0x10001, v99
	s_delay_alu instid0(VALU_DEP_1) | instskip(SKIP_2) | instid1(VALU_DEP_1)
	v_pk_fma_f16 v58, v8, v92, v58
	v_pk_fma_f16 v64, v9, v92, v64
	v_mul_u32_u24_e32 v92, 0x10001, v95
	v_pk_fma_f16 v9, v9, v92, v66
	v_mul_u32_u24_e32 v66, 0x10001, v104
	v_pk_fma_f16 v8, v8, v92, v67
	s_delay_alu instid0(VALU_DEP_2) | instskip(SKIP_2) | instid1(VALU_DEP_1)
	v_pk_fma_f16 v53, v10, v66, v53
	v_pk_fma_f16 v52, v11, v66, v52
	v_mul_u32_u24_e32 v66, 0x10001, v100
	v_pk_fma_f16 v65, v10, v66, v65
	v_pk_fma_f16 v54, v11, v66, v54
	v_mul_u32_u24_e32 v66, 0x10001, v105
	s_delay_alu instid0(VALU_DEP_1) | instskip(SKIP_2) | instid1(VALU_DEP_1)
	v_pk_fma_f16 v63, v10, v66, v63
	v_pk_fma_f16 v62, v11, v66, v62
	v_mul_u32_u24_e32 v66, 0x10001, v101
	v_pk_fma_f16 v61, v10, v66, v61
	v_pk_fma_f16 v55, v11, v66, v55
	v_mul_u32_u24_e32 v66, 0x10001, v106
	s_delay_alu instid0(VALU_DEP_1) | instskip(SKIP_2) | instid1(VALU_DEP_1)
	;; [unrolled: 7-line block ×3, first 2 shown]
	v_pk_fma_f16 v58, v10, v66, v58
	v_pk_fma_f16 v64, v11, v66, v64
	v_mul_u32_u24_e32 v66, 0x10001, v103
	v_pk_fma_f16 v67, v10, v66, v8
	v_pk_fma_f16 v66, v11, v66, v9
	ds_load_b128 v[8:11], v42 offset:384
	s_wait_dscnt 0x0
	v_lshrrev_b32_e32 v92, 16, v8
	v_lshrrev_b32_e32 v93, 16, v9
	;; [unrolled: 1-line block ×4, first 2 shown]
	v_and_b32_e32 v96, 0xffff, v8
	v_and_b32_e32 v97, 0xffff, v9
	;; [unrolled: 1-line block ×4, first 2 shown]
	ds_load_b128 v[8:11], v42 offset:400
	v_mul_u32_u24_e32 v92, 0x10001, v92
	v_mul_u32_u24_e32 v96, 0x10001, v96
	s_wait_dscnt 0x0
	v_lshrrev_b32_e32 v100, 16, v8
	v_lshrrev_b32_e32 v101, 16, v9
	v_lshrrev_b32_e32 v102, 16, v10
	v_lshrrev_b32_e32 v103, 16, v11
	v_and_b32_e32 v104, 0xffff, v8
	v_and_b32_e32 v105, 0xffff, v9
	;; [unrolled: 1-line block ×4, first 2 shown]
	ds_load_2addr_b64 v[8:11], v51 offset1:32
	s_wait_dscnt 0x0
	v_pk_fma_f16 v65, v8, v92, v65
	v_pk_fma_f16 v54, v9, v92, v54
	v_mul_u32_u24_e32 v92, 0x10001, v97
	v_pk_fma_f16 v53, v8, v96, v53
	v_pk_fma_f16 v52, v9, v96, v52
	s_delay_alu instid0(VALU_DEP_3) | instskip(SKIP_2) | instid1(VALU_DEP_1)
	v_pk_fma_f16 v63, v8, v92, v63
	v_pk_fma_f16 v62, v9, v92, v62
	v_mul_u32_u24_e32 v92, 0x10001, v93
	v_pk_fma_f16 v61, v8, v92, v61
	v_pk_fma_f16 v55, v9, v92, v55
	v_mul_u32_u24_e32 v92, 0x10001, v98
	s_delay_alu instid0(VALU_DEP_1) | instskip(SKIP_2) | instid1(VALU_DEP_1)
	v_pk_fma_f16 v59, v8, v92, v59
	v_pk_fma_f16 v60, v9, v92, v60
	v_mul_u32_u24_e32 v92, 0x10001, v94
	v_pk_fma_f16 v57, v8, v92, v57
	v_pk_fma_f16 v56, v9, v92, v56
	v_mul_u32_u24_e32 v92, 0x10001, v99
	s_delay_alu instid0(VALU_DEP_1) | instskip(SKIP_2) | instid1(VALU_DEP_1)
	v_pk_fma_f16 v58, v8, v92, v58
	v_pk_fma_f16 v64, v9, v92, v64
	v_mul_u32_u24_e32 v92, 0x10001, v95
	v_pk_fma_f16 v9, v9, v92, v66
	v_mul_u32_u24_e32 v66, 0x10001, v104
	v_pk_fma_f16 v8, v8, v92, v67
	s_delay_alu instid0(VALU_DEP_2) | instskip(SKIP_2) | instid1(VALU_DEP_1)
	v_pk_fma_f16 v53, v10, v66, v53
	v_pk_fma_f16 v52, v11, v66, v52
	v_mul_u32_u24_e32 v66, 0x10001, v100
	v_pk_fma_f16 v65, v10, v66, v65
	v_pk_fma_f16 v54, v11, v66, v54
	v_mul_u32_u24_e32 v66, 0x10001, v105
	s_delay_alu instid0(VALU_DEP_1) | instskip(SKIP_2) | instid1(VALU_DEP_1)
	v_pk_fma_f16 v63, v10, v66, v63
	v_pk_fma_f16 v62, v11, v66, v62
	v_mul_u32_u24_e32 v66, 0x10001, v101
	v_pk_fma_f16 v61, v10, v66, v61
	v_pk_fma_f16 v55, v11, v66, v55
	v_mul_u32_u24_e32 v66, 0x10001, v106
	s_delay_alu instid0(VALU_DEP_1) | instskip(SKIP_2) | instid1(VALU_DEP_1)
	;; [unrolled: 7-line block ×3, first 2 shown]
	v_pk_fma_f16 v58, v10, v66, v58
	v_pk_fma_f16 v64, v11, v66, v64
	v_mul_u32_u24_e32 v66, 0x10001, v103
	v_pk_fma_f16 v67, v10, v66, v8
	v_pk_fma_f16 v66, v11, v66, v9
	ds_load_b128 v[8:11], v42 offset:416
	s_wait_dscnt 0x0
	v_lshrrev_b32_e32 v92, 16, v8
	v_lshrrev_b32_e32 v93, 16, v9
	;; [unrolled: 1-line block ×4, first 2 shown]
	v_and_b32_e32 v96, 0xffff, v8
	v_and_b32_e32 v97, 0xffff, v9
	;; [unrolled: 1-line block ×4, first 2 shown]
	ds_load_b128 v[8:11], v42 offset:432
	v_mul_u32_u24_e32 v92, 0x10001, v92
	v_mul_u32_u24_e32 v96, 0x10001, v96
	s_wait_dscnt 0x0
	v_lshrrev_b32_e32 v100, 16, v8
	v_lshrrev_b32_e32 v101, 16, v9
	;; [unrolled: 1-line block ×4, first 2 shown]
	v_and_b32_e32 v104, 0xffff, v8
	v_and_b32_e32 v105, 0xffff, v9
	;; [unrolled: 1-line block ×4, first 2 shown]
	ds_load_2addr_b64 v[8:11], v51 offset0:64 offset1:96
	s_wait_dscnt 0x0
	v_pk_fma_f16 v65, v8, v92, v65
	v_pk_fma_f16 v54, v9, v92, v54
	v_mul_u32_u24_e32 v92, 0x10001, v97
	v_pk_fma_f16 v53, v8, v96, v53
	v_pk_fma_f16 v52, v9, v96, v52
	s_delay_alu instid0(VALU_DEP_3) | instskip(SKIP_2) | instid1(VALU_DEP_1)
	v_pk_fma_f16 v63, v8, v92, v63
	v_pk_fma_f16 v62, v9, v92, v62
	v_mul_u32_u24_e32 v92, 0x10001, v93
	v_pk_fma_f16 v61, v8, v92, v61
	v_pk_fma_f16 v55, v9, v92, v55
	v_mul_u32_u24_e32 v92, 0x10001, v98
	s_delay_alu instid0(VALU_DEP_1) | instskip(SKIP_2) | instid1(VALU_DEP_1)
	v_pk_fma_f16 v59, v8, v92, v59
	v_pk_fma_f16 v60, v9, v92, v60
	v_mul_u32_u24_e32 v92, 0x10001, v94
	v_pk_fma_f16 v57, v8, v92, v57
	v_pk_fma_f16 v56, v9, v92, v56
	v_mul_u32_u24_e32 v92, 0x10001, v99
	s_delay_alu instid0(VALU_DEP_1) | instskip(SKIP_2) | instid1(VALU_DEP_1)
	v_pk_fma_f16 v58, v8, v92, v58
	v_pk_fma_f16 v64, v9, v92, v64
	v_mul_u32_u24_e32 v92, 0x10001, v95
	v_pk_fma_f16 v9, v9, v92, v66
	v_mul_u32_u24_e32 v66, 0x10001, v104
	v_pk_fma_f16 v8, v8, v92, v67
	s_delay_alu instid0(VALU_DEP_2) | instskip(SKIP_2) | instid1(VALU_DEP_1)
	v_pk_fma_f16 v53, v10, v66, v53
	v_pk_fma_f16 v52, v11, v66, v52
	v_mul_u32_u24_e32 v66, 0x10001, v100
	v_pk_fma_f16 v65, v10, v66, v65
	v_pk_fma_f16 v54, v11, v66, v54
	v_mul_u32_u24_e32 v66, 0x10001, v105
	s_delay_alu instid0(VALU_DEP_1) | instskip(SKIP_2) | instid1(VALU_DEP_1)
	v_pk_fma_f16 v63, v10, v66, v63
	v_pk_fma_f16 v62, v11, v66, v62
	v_mul_u32_u24_e32 v66, 0x10001, v101
	v_pk_fma_f16 v61, v10, v66, v61
	v_pk_fma_f16 v55, v11, v66, v55
	v_mul_u32_u24_e32 v66, 0x10001, v106
	s_delay_alu instid0(VALU_DEP_1) | instskip(SKIP_2) | instid1(VALU_DEP_1)
	;; [unrolled: 7-line block ×3, first 2 shown]
	v_pk_fma_f16 v58, v10, v66, v58
	v_pk_fma_f16 v64, v11, v66, v64
	v_mul_u32_u24_e32 v66, 0x10001, v103
	v_pk_fma_f16 v67, v10, v66, v8
	v_pk_fma_f16 v66, v11, v66, v9
	ds_load_b128 v[8:11], v42 offset:448
	s_wait_dscnt 0x0
	v_lshrrev_b32_e32 v92, 16, v8
	v_lshrrev_b32_e32 v93, 16, v9
	;; [unrolled: 1-line block ×4, first 2 shown]
	v_and_b32_e32 v96, 0xffff, v8
	v_and_b32_e32 v97, 0xffff, v9
	;; [unrolled: 1-line block ×4, first 2 shown]
	ds_load_b128 v[8:11], v42 offset:464
	v_mul_u32_u24_e32 v92, 0x10001, v92
	v_mul_u32_u24_e32 v96, 0x10001, v96
	s_wait_dscnt 0x0
	v_lshrrev_b32_e32 v100, 16, v8
	v_lshrrev_b32_e32 v101, 16, v9
	;; [unrolled: 1-line block ×4, first 2 shown]
	v_and_b32_e32 v104, 0xffff, v8
	v_and_b32_e32 v105, 0xffff, v9
	;; [unrolled: 1-line block ×4, first 2 shown]
	ds_load_2addr_b64 v[8:11], v51 offset0:128 offset1:160
	s_wait_dscnt 0x0
	v_pk_fma_f16 v65, v8, v92, v65
	v_pk_fma_f16 v54, v9, v92, v54
	v_mul_u32_u24_e32 v92, 0x10001, v97
	v_pk_fma_f16 v53, v8, v96, v53
	v_pk_fma_f16 v52, v9, v96, v52
	s_delay_alu instid0(VALU_DEP_3) | instskip(SKIP_2) | instid1(VALU_DEP_1)
	v_pk_fma_f16 v63, v8, v92, v63
	v_pk_fma_f16 v62, v9, v92, v62
	v_mul_u32_u24_e32 v92, 0x10001, v93
	v_pk_fma_f16 v61, v8, v92, v61
	v_pk_fma_f16 v55, v9, v92, v55
	v_mul_u32_u24_e32 v92, 0x10001, v98
	s_delay_alu instid0(VALU_DEP_1) | instskip(SKIP_2) | instid1(VALU_DEP_1)
	v_pk_fma_f16 v59, v8, v92, v59
	v_pk_fma_f16 v60, v9, v92, v60
	v_mul_u32_u24_e32 v92, 0x10001, v94
	v_pk_fma_f16 v57, v8, v92, v57
	v_pk_fma_f16 v56, v9, v92, v56
	v_mul_u32_u24_e32 v92, 0x10001, v99
	s_delay_alu instid0(VALU_DEP_1) | instskip(SKIP_2) | instid1(VALU_DEP_1)
	v_pk_fma_f16 v58, v8, v92, v58
	v_pk_fma_f16 v64, v9, v92, v64
	v_mul_u32_u24_e32 v92, 0x10001, v95
	v_pk_fma_f16 v9, v9, v92, v66
	v_mul_u32_u24_e32 v66, 0x10001, v104
	v_pk_fma_f16 v8, v8, v92, v67
	s_delay_alu instid0(VALU_DEP_2) | instskip(SKIP_2) | instid1(VALU_DEP_1)
	v_pk_fma_f16 v53, v10, v66, v53
	v_pk_fma_f16 v52, v11, v66, v52
	v_mul_u32_u24_e32 v66, 0x10001, v100
	v_pk_fma_f16 v65, v10, v66, v65
	v_pk_fma_f16 v54, v11, v66, v54
	v_mul_u32_u24_e32 v66, 0x10001, v105
	s_delay_alu instid0(VALU_DEP_1) | instskip(SKIP_2) | instid1(VALU_DEP_1)
	v_pk_fma_f16 v63, v10, v66, v63
	v_pk_fma_f16 v62, v11, v66, v62
	v_mul_u32_u24_e32 v66, 0x10001, v101
	v_pk_fma_f16 v61, v10, v66, v61
	v_pk_fma_f16 v55, v11, v66, v55
	v_mul_u32_u24_e32 v66, 0x10001, v106
	s_delay_alu instid0(VALU_DEP_1) | instskip(SKIP_2) | instid1(VALU_DEP_1)
	;; [unrolled: 7-line block ×3, first 2 shown]
	v_pk_fma_f16 v58, v10, v66, v58
	v_pk_fma_f16 v64, v11, v66, v64
	v_mul_u32_u24_e32 v66, 0x10001, v103
	v_pk_fma_f16 v67, v10, v66, v8
	v_pk_fma_f16 v66, v11, v66, v9
	ds_load_b128 v[8:11], v42 offset:480
	s_wait_dscnt 0x0
	v_lshrrev_b32_e32 v92, 16, v8
	v_lshrrev_b32_e32 v93, 16, v9
	;; [unrolled: 1-line block ×4, first 2 shown]
	v_and_b32_e32 v96, 0xffff, v8
	v_and_b32_e32 v97, 0xffff, v9
	;; [unrolled: 1-line block ×4, first 2 shown]
	ds_load_b128 v[8:11], v42 offset:496
	v_mul_u32_u24_e32 v96, 0x10001, v96
	s_wait_dscnt 0x0
	v_lshrrev_b32_e32 v100, 16, v8
	v_lshrrev_b32_e32 v101, 16, v9
	;; [unrolled: 1-line block ×4, first 2 shown]
	v_and_b32_e32 v104, 0xffff, v8
	v_and_b32_e32 v105, 0xffff, v9
	;; [unrolled: 1-line block ×4, first 2 shown]
	ds_load_2addr_b64 v[8:11], v51 offset0:192 offset1:224
	s_wait_loadcnt_dscnt 0x0
	s_barrier_signal -1
	s_barrier_wait -1
	global_inv scope:SCOPE_SE
	v_pk_fma_f16 v53, v8, v96, v53
	v_pk_fma_f16 v96, v9, v96, v52
	v_mul_u32_u24_e32 v52, 0x10001, v92
	s_delay_alu instid0(VALU_DEP_1) | instskip(SKIP_2) | instid1(VALU_DEP_1)
	v_pk_fma_f16 v65, v8, v52, v65
	v_pk_fma_f16 v54, v9, v52, v54
	v_mul_u32_u24_e32 v52, 0x10001, v97
	v_pk_fma_f16 v63, v8, v52, v63
	v_pk_fma_f16 v62, v9, v52, v62
	v_mul_u32_u24_e32 v52, 0x10001, v93
	s_delay_alu instid0(VALU_DEP_1) | instskip(SKIP_3) | instid1(VALU_DEP_2)
	v_pk_fma_f16 v92, v8, v52, v61
	v_pk_fma_f16 v93, v9, v52, v55
	v_mul_u32_u24_e32 v52, 0x10001, v98
	v_mul_u32_u24_e32 v55, 0x10001, v104
	v_pk_fma_f16 v59, v8, v52, v59
	v_pk_fma_f16 v97, v9, v52, v60
	v_mul_u32_u24_e32 v52, 0x10001, v94
	s_delay_alu instid0(VALU_DEP_4) | instskip(NEXT) | instid1(VALU_DEP_2)
	v_pk_fma_f16 v60, v11, v55, v96
	v_pk_fma_f16 v57, v8, v52, v57
	;; [unrolled: 1-line block ×3, first 2 shown]
	v_mul_u32_u24_e32 v52, 0x10001, v99
	v_mul_u32_u24_e32 v56, 0x10001, v101
	s_delay_alu instid0(VALU_DEP_2) | instskip(SKIP_3) | instid1(VALU_DEP_2)
	v_pk_fma_f16 v58, v8, v52, v58
	v_pk_fma_f16 v98, v9, v52, v64
	v_mul_u32_u24_e32 v52, 0x10001, v95
	v_mul_u32_u24_e32 v64, 0x10001, v106
	v_pk_fma_f16 v8, v8, v52, v67
	v_pk_fma_f16 v9, v9, v52, v66
	;; [unrolled: 1-line block ×3, first 2 shown]
	v_mul_u32_u24_e32 v55, 0x10001, v100
	v_mul_u32_u24_e32 v67, 0x10001, v103
	s_delay_alu instid0(VALU_DEP_2) | instskip(SKIP_2) | instid1(VALU_DEP_1)
	v_pk_fma_f16 v53, v10, v55, v65
	v_pk_fma_f16 v61, v11, v55, v54
	v_mul_u32_u24_e32 v55, 0x10001, v105
	v_pk_fma_f16 v54, v10, v55, v63
	v_pk_fma_f16 v62, v11, v55, v62
	;; [unrolled: 1-line block ×5, first 2 shown]
	v_mul_u32_u24_e32 v59, 0x10001, v102
	v_pk_fma_f16 v64, v11, v64, v97
	s_delay_alu instid0(VALU_DEP_2) | instskip(SKIP_2) | instid1(VALU_DEP_1)
	v_pk_fma_f16 v57, v10, v59, v57
	v_pk_fma_f16 v65, v11, v59, v94
	v_mul_u32_u24_e32 v59, 0x10001, v107
	v_pk_fma_f16 v58, v10, v59, v58
	v_pk_fma_f16 v66, v11, v59, v98
	;; [unrolled: 1-line block ×3, first 2 shown]
	s_wait_alu 0xfffe
	v_add_co_u32 v8, vcc_lo, s2, v17
	v_pk_fma_f16 v67, v11, v67, v9
	s_wait_alu 0xfffd
	v_add_co_ci_u32_e64 v9, null, s3, v18, vcc_lo
	s_delay_alu instid0(VALU_DEP_3) | instskip(SKIP_1) | instid1(VALU_DEP_2)
	v_add_co_u32 v8, vcc_lo, v8, v48
	s_wait_alu 0xfffd
	v_add_co_ci_u32_e64 v9, null, 0, v9, vcc_lo
	global_load_b128 v[8:11], v[8:9], off
	s_wait_loadcnt 0x0
	ds_store_b128 v43, v[8:11]
	v_add_co_u32 v8, vcc_lo, s2, v19
	s_wait_alu 0xfffd
	v_add_co_ci_u32_e64 v9, null, s3, v20, vcc_lo
	s_delay_alu instid0(VALU_DEP_2) | instskip(SKIP_1) | instid1(VALU_DEP_2)
	v_add_co_u32 v8, vcc_lo, v8, v48
	s_wait_alu 0xfffd
	v_add_co_ci_u32_e64 v9, null, 0, v9, vcc_lo
	global_load_b128 v[8:11], v[8:9], off
	s_wait_loadcnt 0x0
	ds_store_b128 v44, v[8:11]
	s_wait_dscnt 0x0
	s_barrier_signal -1
	s_barrier_wait -1
	global_inv scope:SCOPE_SE
	ds_load_b128 v[8:11], v42 offset:512
	s_wait_dscnt 0x0
	v_lshrrev_b32_e32 v92, 16, v8
	v_lshrrev_b32_e32 v93, 16, v9
	;; [unrolled: 1-line block ×4, first 2 shown]
	v_and_b32_e32 v96, 0xffff, v8
	v_and_b32_e32 v97, 0xffff, v9
	;; [unrolled: 1-line block ×4, first 2 shown]
	ds_load_b128 v[8:11], v42 offset:528
	v_mul_u32_u24_e32 v92, 0x10001, v92
	v_mul_u32_u24_e32 v96, 0x10001, v96
	s_wait_dscnt 0x0
	v_lshrrev_b32_e32 v100, 16, v8
	v_lshrrev_b32_e32 v101, 16, v9
	;; [unrolled: 1-line block ×4, first 2 shown]
	v_and_b32_e32 v104, 0xffff, v8
	v_and_b32_e32 v105, 0xffff, v9
	;; [unrolled: 1-line block ×4, first 2 shown]
	ds_load_2addr_b64 v[8:11], v45 offset1:32
	s_wait_dscnt 0x0
	v_pk_fma_f16 v53, v8, v92, v53
	v_pk_fma_f16 v61, v9, v92, v61
	v_mul_u32_u24_e32 v92, 0x10001, v97
	v_pk_fma_f16 v52, v8, v96, v52
	v_pk_fma_f16 v60, v9, v96, v60
	s_delay_alu instid0(VALU_DEP_3) | instskip(SKIP_2) | instid1(VALU_DEP_1)
	v_pk_fma_f16 v54, v8, v92, v54
	v_pk_fma_f16 v62, v9, v92, v62
	v_mul_u32_u24_e32 v92, 0x10001, v93
	v_pk_fma_f16 v55, v8, v92, v55
	v_pk_fma_f16 v63, v9, v92, v63
	v_mul_u32_u24_e32 v92, 0x10001, v98
	s_delay_alu instid0(VALU_DEP_1) | instskip(SKIP_2) | instid1(VALU_DEP_1)
	v_pk_fma_f16 v56, v8, v92, v56
	v_pk_fma_f16 v64, v9, v92, v64
	v_mul_u32_u24_e32 v92, 0x10001, v94
	v_pk_fma_f16 v57, v8, v92, v57
	v_pk_fma_f16 v65, v9, v92, v65
	v_mul_u32_u24_e32 v92, 0x10001, v99
	s_delay_alu instid0(VALU_DEP_1) | instskip(SKIP_2) | instid1(VALU_DEP_1)
	v_pk_fma_f16 v58, v8, v92, v58
	v_pk_fma_f16 v66, v9, v92, v66
	v_mul_u32_u24_e32 v92, 0x10001, v95
	v_pk_fma_f16 v8, v8, v92, v59
	v_mul_u32_u24_e32 v59, 0x10001, v104
	v_pk_fma_f16 v9, v9, v92, v67
	s_delay_alu instid0(VALU_DEP_2) | instskip(SKIP_2) | instid1(VALU_DEP_1)
	v_pk_fma_f16 v52, v10, v59, v52
	v_pk_fma_f16 v59, v11, v59, v60
	v_mul_u32_u24_e32 v60, 0x10001, v100
	v_pk_fma_f16 v53, v10, v60, v53
	v_pk_fma_f16 v60, v11, v60, v61
	v_mul_u32_u24_e32 v61, 0x10001, v105
	s_delay_alu instid0(VALU_DEP_1) | instskip(SKIP_2) | instid1(VALU_DEP_1)
	v_pk_fma_f16 v54, v10, v61, v54
	v_pk_fma_f16 v61, v11, v61, v62
	v_mul_u32_u24_e32 v62, 0x10001, v101
	v_pk_fma_f16 v55, v10, v62, v55
	v_pk_fma_f16 v62, v11, v62, v63
	v_mul_u32_u24_e32 v63, 0x10001, v106
	s_delay_alu instid0(VALU_DEP_1) | instskip(SKIP_2) | instid1(VALU_DEP_1)
	;; [unrolled: 7-line block ×3, first 2 shown]
	v_pk_fma_f16 v58, v10, v65, v58
	v_pk_fma_f16 v65, v11, v65, v66
	v_mul_u32_u24_e32 v66, 0x10001, v103
	v_pk_fma_f16 v67, v10, v66, v8
	v_pk_fma_f16 v66, v11, v66, v9
	ds_load_b128 v[8:11], v42 offset:544
	s_wait_dscnt 0x0
	v_lshrrev_b32_e32 v92, 16, v8
	v_lshrrev_b32_e32 v93, 16, v9
	;; [unrolled: 1-line block ×4, first 2 shown]
	v_and_b32_e32 v96, 0xffff, v8
	v_and_b32_e32 v97, 0xffff, v9
	;; [unrolled: 1-line block ×4, first 2 shown]
	ds_load_b128 v[8:11], v42 offset:560
	v_mul_u32_u24_e32 v92, 0x10001, v92
	v_mul_u32_u24_e32 v96, 0x10001, v96
	s_wait_dscnt 0x0
	v_lshrrev_b32_e32 v100, 16, v8
	v_lshrrev_b32_e32 v101, 16, v9
	;; [unrolled: 1-line block ×4, first 2 shown]
	v_and_b32_e32 v104, 0xffff, v8
	v_and_b32_e32 v105, 0xffff, v9
	;; [unrolled: 1-line block ×4, first 2 shown]
	ds_load_2addr_b64 v[8:11], v45 offset0:64 offset1:96
	s_wait_dscnt 0x0
	v_pk_fma_f16 v53, v8, v92, v53
	v_pk_fma_f16 v60, v9, v92, v60
	v_mul_u32_u24_e32 v92, 0x10001, v97
	v_pk_fma_f16 v52, v8, v96, v52
	v_pk_fma_f16 v59, v9, v96, v59
	s_delay_alu instid0(VALU_DEP_3) | instskip(SKIP_2) | instid1(VALU_DEP_1)
	v_pk_fma_f16 v54, v8, v92, v54
	v_pk_fma_f16 v61, v9, v92, v61
	v_mul_u32_u24_e32 v92, 0x10001, v93
	v_pk_fma_f16 v55, v8, v92, v55
	v_pk_fma_f16 v62, v9, v92, v62
	v_mul_u32_u24_e32 v92, 0x10001, v98
	s_delay_alu instid0(VALU_DEP_1) | instskip(SKIP_2) | instid1(VALU_DEP_1)
	v_pk_fma_f16 v56, v8, v92, v56
	v_pk_fma_f16 v63, v9, v92, v63
	v_mul_u32_u24_e32 v92, 0x10001, v94
	v_pk_fma_f16 v57, v8, v92, v57
	v_pk_fma_f16 v64, v9, v92, v64
	v_mul_u32_u24_e32 v92, 0x10001, v99
	s_delay_alu instid0(VALU_DEP_1) | instskip(SKIP_2) | instid1(VALU_DEP_1)
	v_pk_fma_f16 v58, v8, v92, v58
	v_pk_fma_f16 v65, v9, v92, v65
	v_mul_u32_u24_e32 v92, 0x10001, v95
	v_pk_fma_f16 v9, v9, v92, v66
	v_mul_u32_u24_e32 v66, 0x10001, v104
	v_pk_fma_f16 v8, v8, v92, v67
	s_delay_alu instid0(VALU_DEP_2) | instskip(SKIP_2) | instid1(VALU_DEP_1)
	v_pk_fma_f16 v52, v10, v66, v52
	v_pk_fma_f16 v59, v11, v66, v59
	v_mul_u32_u24_e32 v66, 0x10001, v100
	v_pk_fma_f16 v53, v10, v66, v53
	v_pk_fma_f16 v60, v11, v66, v60
	v_mul_u32_u24_e32 v66, 0x10001, v105
	s_delay_alu instid0(VALU_DEP_1) | instskip(SKIP_2) | instid1(VALU_DEP_1)
	v_pk_fma_f16 v54, v10, v66, v54
	v_pk_fma_f16 v61, v11, v66, v61
	v_mul_u32_u24_e32 v66, 0x10001, v101
	v_pk_fma_f16 v55, v10, v66, v55
	v_pk_fma_f16 v62, v11, v66, v62
	v_mul_u32_u24_e32 v66, 0x10001, v106
	s_delay_alu instid0(VALU_DEP_1) | instskip(SKIP_2) | instid1(VALU_DEP_1)
	;; [unrolled: 7-line block ×3, first 2 shown]
	v_pk_fma_f16 v58, v10, v66, v58
	v_pk_fma_f16 v65, v11, v66, v65
	v_mul_u32_u24_e32 v66, 0x10001, v103
	v_pk_fma_f16 v67, v10, v66, v8
	v_pk_fma_f16 v66, v11, v66, v9
	ds_load_b128 v[8:11], v42 offset:576
	s_wait_dscnt 0x0
	v_lshrrev_b32_e32 v92, 16, v8
	v_lshrrev_b32_e32 v93, 16, v9
	v_lshrrev_b32_e32 v94, 16, v10
	v_lshrrev_b32_e32 v95, 16, v11
	v_and_b32_e32 v96, 0xffff, v8
	v_and_b32_e32 v97, 0xffff, v9
	;; [unrolled: 1-line block ×4, first 2 shown]
	ds_load_b128 v[8:11], v42 offset:592
	v_mul_u32_u24_e32 v92, 0x10001, v92
	v_mul_u32_u24_e32 v96, 0x10001, v96
	s_wait_dscnt 0x0
	v_lshrrev_b32_e32 v100, 16, v8
	v_lshrrev_b32_e32 v101, 16, v9
	;; [unrolled: 1-line block ×4, first 2 shown]
	v_and_b32_e32 v104, 0xffff, v8
	v_and_b32_e32 v105, 0xffff, v9
	;; [unrolled: 1-line block ×4, first 2 shown]
	ds_load_2addr_b64 v[8:11], v45 offset0:128 offset1:160
	s_wait_dscnt 0x0
	v_pk_fma_f16 v53, v8, v92, v53
	v_pk_fma_f16 v60, v9, v92, v60
	v_mul_u32_u24_e32 v92, 0x10001, v97
	v_pk_fma_f16 v52, v8, v96, v52
	v_pk_fma_f16 v59, v9, v96, v59
	s_delay_alu instid0(VALU_DEP_3) | instskip(SKIP_2) | instid1(VALU_DEP_1)
	v_pk_fma_f16 v54, v8, v92, v54
	v_pk_fma_f16 v61, v9, v92, v61
	v_mul_u32_u24_e32 v92, 0x10001, v93
	v_pk_fma_f16 v55, v8, v92, v55
	v_pk_fma_f16 v62, v9, v92, v62
	v_mul_u32_u24_e32 v92, 0x10001, v98
	s_delay_alu instid0(VALU_DEP_1) | instskip(SKIP_2) | instid1(VALU_DEP_1)
	v_pk_fma_f16 v56, v8, v92, v56
	v_pk_fma_f16 v63, v9, v92, v63
	v_mul_u32_u24_e32 v92, 0x10001, v94
	v_pk_fma_f16 v57, v8, v92, v57
	v_pk_fma_f16 v64, v9, v92, v64
	v_mul_u32_u24_e32 v92, 0x10001, v99
	s_delay_alu instid0(VALU_DEP_1) | instskip(SKIP_2) | instid1(VALU_DEP_1)
	v_pk_fma_f16 v58, v8, v92, v58
	v_pk_fma_f16 v65, v9, v92, v65
	v_mul_u32_u24_e32 v92, 0x10001, v95
	v_pk_fma_f16 v9, v9, v92, v66
	v_mul_u32_u24_e32 v66, 0x10001, v104
	v_pk_fma_f16 v8, v8, v92, v67
	s_delay_alu instid0(VALU_DEP_2) | instskip(SKIP_2) | instid1(VALU_DEP_1)
	v_pk_fma_f16 v52, v10, v66, v52
	v_pk_fma_f16 v59, v11, v66, v59
	v_mul_u32_u24_e32 v66, 0x10001, v100
	v_pk_fma_f16 v53, v10, v66, v53
	v_pk_fma_f16 v60, v11, v66, v60
	v_mul_u32_u24_e32 v66, 0x10001, v105
	s_delay_alu instid0(VALU_DEP_1) | instskip(SKIP_2) | instid1(VALU_DEP_1)
	v_pk_fma_f16 v54, v10, v66, v54
	v_pk_fma_f16 v61, v11, v66, v61
	v_mul_u32_u24_e32 v66, 0x10001, v101
	v_pk_fma_f16 v55, v10, v66, v55
	v_pk_fma_f16 v62, v11, v66, v62
	v_mul_u32_u24_e32 v66, 0x10001, v106
	s_delay_alu instid0(VALU_DEP_1) | instskip(SKIP_2) | instid1(VALU_DEP_1)
	;; [unrolled: 7-line block ×3, first 2 shown]
	v_pk_fma_f16 v58, v10, v66, v58
	v_pk_fma_f16 v65, v11, v66, v65
	v_mul_u32_u24_e32 v66, 0x10001, v103
	v_pk_fma_f16 v67, v10, v66, v8
	v_pk_fma_f16 v66, v11, v66, v9
	ds_load_b128 v[8:11], v42 offset:608
	s_wait_dscnt 0x0
	v_lshrrev_b32_e32 v92, 16, v8
	v_lshrrev_b32_e32 v93, 16, v9
	v_lshrrev_b32_e32 v94, 16, v10
	v_lshrrev_b32_e32 v95, 16, v11
	v_and_b32_e32 v96, 0xffff, v8
	v_and_b32_e32 v97, 0xffff, v9
	;; [unrolled: 1-line block ×4, first 2 shown]
	ds_load_b128 v[8:11], v42 offset:624
	v_mul_u32_u24_e32 v92, 0x10001, v92
	v_mul_u32_u24_e32 v96, 0x10001, v96
	s_wait_dscnt 0x0
	v_lshrrev_b32_e32 v100, 16, v8
	v_lshrrev_b32_e32 v101, 16, v9
	;; [unrolled: 1-line block ×4, first 2 shown]
	v_and_b32_e32 v104, 0xffff, v8
	v_and_b32_e32 v105, 0xffff, v9
	v_and_b32_e32 v106, 0xffff, v10
	v_and_b32_e32 v107, 0xffff, v11
	ds_load_2addr_b64 v[8:11], v45 offset0:192 offset1:224
	s_wait_dscnt 0x0
	v_pk_fma_f16 v53, v8, v92, v53
	v_pk_fma_f16 v60, v9, v92, v60
	v_mul_u32_u24_e32 v92, 0x10001, v97
	v_pk_fma_f16 v52, v8, v96, v52
	v_pk_fma_f16 v59, v9, v96, v59
	s_delay_alu instid0(VALU_DEP_3) | instskip(SKIP_2) | instid1(VALU_DEP_1)
	v_pk_fma_f16 v54, v8, v92, v54
	v_pk_fma_f16 v61, v9, v92, v61
	v_mul_u32_u24_e32 v92, 0x10001, v93
	v_pk_fma_f16 v55, v8, v92, v55
	v_pk_fma_f16 v62, v9, v92, v62
	v_mul_u32_u24_e32 v92, 0x10001, v98
	s_delay_alu instid0(VALU_DEP_1) | instskip(SKIP_2) | instid1(VALU_DEP_1)
	v_pk_fma_f16 v56, v8, v92, v56
	v_pk_fma_f16 v63, v9, v92, v63
	v_mul_u32_u24_e32 v92, 0x10001, v94
	v_pk_fma_f16 v57, v8, v92, v57
	v_pk_fma_f16 v64, v9, v92, v64
	v_mul_u32_u24_e32 v92, 0x10001, v99
	s_delay_alu instid0(VALU_DEP_1) | instskip(SKIP_2) | instid1(VALU_DEP_1)
	v_pk_fma_f16 v58, v8, v92, v58
	v_pk_fma_f16 v65, v9, v92, v65
	v_mul_u32_u24_e32 v92, 0x10001, v95
	v_pk_fma_f16 v9, v9, v92, v66
	v_mul_u32_u24_e32 v66, 0x10001, v104
	v_pk_fma_f16 v8, v8, v92, v67
	s_delay_alu instid0(VALU_DEP_2) | instskip(SKIP_2) | instid1(VALU_DEP_1)
	v_pk_fma_f16 v52, v10, v66, v52
	v_pk_fma_f16 v59, v11, v66, v59
	v_mul_u32_u24_e32 v66, 0x10001, v100
	v_pk_fma_f16 v53, v10, v66, v53
	v_pk_fma_f16 v60, v11, v66, v60
	v_mul_u32_u24_e32 v66, 0x10001, v105
	s_delay_alu instid0(VALU_DEP_1) | instskip(SKIP_2) | instid1(VALU_DEP_1)
	v_pk_fma_f16 v54, v10, v66, v54
	v_pk_fma_f16 v61, v11, v66, v61
	v_mul_u32_u24_e32 v66, 0x10001, v101
	v_pk_fma_f16 v55, v10, v66, v55
	v_pk_fma_f16 v62, v11, v66, v62
	v_mul_u32_u24_e32 v66, 0x10001, v106
	s_delay_alu instid0(VALU_DEP_1) | instskip(SKIP_2) | instid1(VALU_DEP_1)
	;; [unrolled: 7-line block ×3, first 2 shown]
	v_pk_fma_f16 v58, v10, v66, v58
	v_pk_fma_f16 v65, v11, v66, v65
	v_mul_u32_u24_e32 v66, 0x10001, v103
	v_pk_fma_f16 v67, v10, v66, v8
	v_pk_fma_f16 v66, v11, v66, v9
	ds_load_b128 v[8:11], v42 offset:640
	s_wait_dscnt 0x0
	v_lshrrev_b32_e32 v92, 16, v8
	v_lshrrev_b32_e32 v93, 16, v9
	;; [unrolled: 1-line block ×4, first 2 shown]
	v_and_b32_e32 v96, 0xffff, v8
	v_and_b32_e32 v97, 0xffff, v9
	;; [unrolled: 1-line block ×4, first 2 shown]
	ds_load_b128 v[8:11], v42 offset:656
	v_mul_u32_u24_e32 v92, 0x10001, v92
	v_mul_u32_u24_e32 v96, 0x10001, v96
	s_wait_dscnt 0x0
	v_lshrrev_b32_e32 v100, 16, v8
	v_lshrrev_b32_e32 v101, 16, v9
	;; [unrolled: 1-line block ×4, first 2 shown]
	v_and_b32_e32 v104, 0xffff, v8
	v_and_b32_e32 v105, 0xffff, v9
	;; [unrolled: 1-line block ×4, first 2 shown]
	ds_load_2addr_b64 v[8:11], v49 offset1:32
	s_wait_dscnt 0x0
	v_pk_fma_f16 v53, v8, v92, v53
	v_pk_fma_f16 v60, v9, v92, v60
	v_mul_u32_u24_e32 v92, 0x10001, v97
	v_pk_fma_f16 v52, v8, v96, v52
	v_pk_fma_f16 v59, v9, v96, v59
	s_delay_alu instid0(VALU_DEP_3) | instskip(SKIP_2) | instid1(VALU_DEP_1)
	v_pk_fma_f16 v54, v8, v92, v54
	v_pk_fma_f16 v61, v9, v92, v61
	v_mul_u32_u24_e32 v92, 0x10001, v93
	v_pk_fma_f16 v55, v8, v92, v55
	v_pk_fma_f16 v62, v9, v92, v62
	v_mul_u32_u24_e32 v92, 0x10001, v98
	s_delay_alu instid0(VALU_DEP_1) | instskip(SKIP_2) | instid1(VALU_DEP_1)
	v_pk_fma_f16 v56, v8, v92, v56
	v_pk_fma_f16 v63, v9, v92, v63
	v_mul_u32_u24_e32 v92, 0x10001, v94
	v_pk_fma_f16 v57, v8, v92, v57
	v_pk_fma_f16 v64, v9, v92, v64
	v_mul_u32_u24_e32 v92, 0x10001, v99
	s_delay_alu instid0(VALU_DEP_1) | instskip(SKIP_2) | instid1(VALU_DEP_1)
	v_pk_fma_f16 v58, v8, v92, v58
	v_pk_fma_f16 v65, v9, v92, v65
	v_mul_u32_u24_e32 v92, 0x10001, v95
	v_pk_fma_f16 v9, v9, v92, v66
	v_mul_u32_u24_e32 v66, 0x10001, v104
	v_pk_fma_f16 v8, v8, v92, v67
	s_delay_alu instid0(VALU_DEP_2) | instskip(SKIP_2) | instid1(VALU_DEP_1)
	v_pk_fma_f16 v52, v10, v66, v52
	v_pk_fma_f16 v59, v11, v66, v59
	v_mul_u32_u24_e32 v66, 0x10001, v100
	v_pk_fma_f16 v53, v10, v66, v53
	v_pk_fma_f16 v60, v11, v66, v60
	v_mul_u32_u24_e32 v66, 0x10001, v105
	s_delay_alu instid0(VALU_DEP_1) | instskip(SKIP_2) | instid1(VALU_DEP_1)
	v_pk_fma_f16 v54, v10, v66, v54
	v_pk_fma_f16 v61, v11, v66, v61
	v_mul_u32_u24_e32 v66, 0x10001, v101
	v_pk_fma_f16 v55, v10, v66, v55
	v_pk_fma_f16 v62, v11, v66, v62
	v_mul_u32_u24_e32 v66, 0x10001, v106
	s_delay_alu instid0(VALU_DEP_1) | instskip(SKIP_2) | instid1(VALU_DEP_1)
	;; [unrolled: 7-line block ×3, first 2 shown]
	v_pk_fma_f16 v58, v10, v66, v58
	v_pk_fma_f16 v65, v11, v66, v65
	v_mul_u32_u24_e32 v66, 0x10001, v103
	v_pk_fma_f16 v67, v10, v66, v8
	v_pk_fma_f16 v66, v11, v66, v9
	ds_load_b128 v[8:11], v42 offset:672
	s_wait_dscnt 0x0
	v_lshrrev_b32_e32 v92, 16, v8
	v_lshrrev_b32_e32 v93, 16, v9
	;; [unrolled: 1-line block ×4, first 2 shown]
	v_and_b32_e32 v96, 0xffff, v8
	v_and_b32_e32 v97, 0xffff, v9
	;; [unrolled: 1-line block ×4, first 2 shown]
	ds_load_b128 v[8:11], v42 offset:688
	v_mul_u32_u24_e32 v92, 0x10001, v92
	v_mul_u32_u24_e32 v96, 0x10001, v96
	s_wait_dscnt 0x0
	v_lshrrev_b32_e32 v100, 16, v8
	v_lshrrev_b32_e32 v101, 16, v9
	;; [unrolled: 1-line block ×4, first 2 shown]
	v_and_b32_e32 v104, 0xffff, v8
	v_and_b32_e32 v105, 0xffff, v9
	;; [unrolled: 1-line block ×4, first 2 shown]
	ds_load_2addr_b64 v[8:11], v49 offset0:64 offset1:96
	s_wait_dscnt 0x0
	v_pk_fma_f16 v53, v8, v92, v53
	v_pk_fma_f16 v60, v9, v92, v60
	v_mul_u32_u24_e32 v92, 0x10001, v97
	v_pk_fma_f16 v52, v8, v96, v52
	v_pk_fma_f16 v59, v9, v96, v59
	s_delay_alu instid0(VALU_DEP_3) | instskip(SKIP_2) | instid1(VALU_DEP_1)
	v_pk_fma_f16 v54, v8, v92, v54
	v_pk_fma_f16 v61, v9, v92, v61
	v_mul_u32_u24_e32 v92, 0x10001, v93
	v_pk_fma_f16 v55, v8, v92, v55
	v_pk_fma_f16 v62, v9, v92, v62
	v_mul_u32_u24_e32 v92, 0x10001, v98
	s_delay_alu instid0(VALU_DEP_1) | instskip(SKIP_2) | instid1(VALU_DEP_1)
	v_pk_fma_f16 v56, v8, v92, v56
	v_pk_fma_f16 v63, v9, v92, v63
	v_mul_u32_u24_e32 v92, 0x10001, v94
	v_pk_fma_f16 v57, v8, v92, v57
	v_pk_fma_f16 v64, v9, v92, v64
	v_mul_u32_u24_e32 v92, 0x10001, v99
	s_delay_alu instid0(VALU_DEP_1) | instskip(SKIP_2) | instid1(VALU_DEP_1)
	v_pk_fma_f16 v58, v8, v92, v58
	v_pk_fma_f16 v65, v9, v92, v65
	v_mul_u32_u24_e32 v92, 0x10001, v95
	v_pk_fma_f16 v9, v9, v92, v66
	v_mul_u32_u24_e32 v66, 0x10001, v104
	v_pk_fma_f16 v8, v8, v92, v67
	s_delay_alu instid0(VALU_DEP_2) | instskip(SKIP_2) | instid1(VALU_DEP_1)
	v_pk_fma_f16 v52, v10, v66, v52
	v_pk_fma_f16 v59, v11, v66, v59
	v_mul_u32_u24_e32 v66, 0x10001, v100
	v_pk_fma_f16 v53, v10, v66, v53
	v_pk_fma_f16 v60, v11, v66, v60
	v_mul_u32_u24_e32 v66, 0x10001, v105
	s_delay_alu instid0(VALU_DEP_1) | instskip(SKIP_2) | instid1(VALU_DEP_1)
	v_pk_fma_f16 v54, v10, v66, v54
	v_pk_fma_f16 v61, v11, v66, v61
	v_mul_u32_u24_e32 v66, 0x10001, v101
	v_pk_fma_f16 v55, v10, v66, v55
	v_pk_fma_f16 v62, v11, v66, v62
	v_mul_u32_u24_e32 v66, 0x10001, v106
	s_delay_alu instid0(VALU_DEP_1) | instskip(SKIP_2) | instid1(VALU_DEP_1)
	v_pk_fma_f16 v56, v10, v66, v56
	v_pk_fma_f16 v63, v11, v66, v63
	v_mul_u32_u24_e32 v66, 0x10001, v102
	v_pk_fma_f16 v57, v10, v66, v57
	v_pk_fma_f16 v64, v11, v66, v64
	v_mul_u32_u24_e32 v66, 0x10001, v107
	s_delay_alu instid0(VALU_DEP_1) | instskip(SKIP_2) | instid1(VALU_DEP_1)
	v_pk_fma_f16 v58, v10, v66, v58
	v_pk_fma_f16 v65, v11, v66, v65
	v_mul_u32_u24_e32 v66, 0x10001, v103
	v_pk_fma_f16 v67, v10, v66, v8
	v_pk_fma_f16 v66, v11, v66, v9
	ds_load_b128 v[8:11], v42 offset:704
	s_wait_dscnt 0x0
	v_lshrrev_b32_e32 v92, 16, v8
	v_lshrrev_b32_e32 v93, 16, v9
	;; [unrolled: 1-line block ×4, first 2 shown]
	v_and_b32_e32 v96, 0xffff, v8
	v_and_b32_e32 v97, 0xffff, v9
	v_and_b32_e32 v98, 0xffff, v10
	v_and_b32_e32 v99, 0xffff, v11
	ds_load_b128 v[8:11], v42 offset:720
	v_mul_u32_u24_e32 v92, 0x10001, v92
	v_mul_u32_u24_e32 v96, 0x10001, v96
	s_wait_dscnt 0x0
	v_lshrrev_b32_e32 v100, 16, v8
	v_lshrrev_b32_e32 v101, 16, v9
	;; [unrolled: 1-line block ×4, first 2 shown]
	v_and_b32_e32 v104, 0xffff, v8
	v_and_b32_e32 v105, 0xffff, v9
	;; [unrolled: 1-line block ×4, first 2 shown]
	ds_load_2addr_b64 v[8:11], v49 offset0:128 offset1:160
	s_wait_dscnt 0x0
	v_pk_fma_f16 v53, v8, v92, v53
	v_pk_fma_f16 v60, v9, v92, v60
	v_mul_u32_u24_e32 v92, 0x10001, v97
	v_pk_fma_f16 v52, v8, v96, v52
	v_pk_fma_f16 v59, v9, v96, v59
	s_delay_alu instid0(VALU_DEP_3) | instskip(SKIP_2) | instid1(VALU_DEP_1)
	v_pk_fma_f16 v54, v8, v92, v54
	v_pk_fma_f16 v61, v9, v92, v61
	v_mul_u32_u24_e32 v92, 0x10001, v93
	v_pk_fma_f16 v55, v8, v92, v55
	v_pk_fma_f16 v62, v9, v92, v62
	v_mul_u32_u24_e32 v92, 0x10001, v98
	s_delay_alu instid0(VALU_DEP_1) | instskip(SKIP_2) | instid1(VALU_DEP_1)
	v_pk_fma_f16 v56, v8, v92, v56
	v_pk_fma_f16 v63, v9, v92, v63
	v_mul_u32_u24_e32 v92, 0x10001, v94
	v_pk_fma_f16 v57, v8, v92, v57
	v_pk_fma_f16 v64, v9, v92, v64
	v_mul_u32_u24_e32 v92, 0x10001, v99
	s_delay_alu instid0(VALU_DEP_1) | instskip(SKIP_2) | instid1(VALU_DEP_1)
	v_pk_fma_f16 v58, v8, v92, v58
	v_pk_fma_f16 v65, v9, v92, v65
	v_mul_u32_u24_e32 v92, 0x10001, v95
	v_pk_fma_f16 v9, v9, v92, v66
	v_mul_u32_u24_e32 v66, 0x10001, v104
	v_pk_fma_f16 v8, v8, v92, v67
	s_delay_alu instid0(VALU_DEP_2) | instskip(SKIP_2) | instid1(VALU_DEP_1)
	v_pk_fma_f16 v52, v10, v66, v52
	v_pk_fma_f16 v59, v11, v66, v59
	v_mul_u32_u24_e32 v66, 0x10001, v100
	v_pk_fma_f16 v53, v10, v66, v53
	v_pk_fma_f16 v60, v11, v66, v60
	v_mul_u32_u24_e32 v66, 0x10001, v105
	s_delay_alu instid0(VALU_DEP_1) | instskip(SKIP_2) | instid1(VALU_DEP_1)
	v_pk_fma_f16 v54, v10, v66, v54
	v_pk_fma_f16 v61, v11, v66, v61
	v_mul_u32_u24_e32 v66, 0x10001, v101
	v_pk_fma_f16 v55, v10, v66, v55
	v_pk_fma_f16 v62, v11, v66, v62
	v_mul_u32_u24_e32 v66, 0x10001, v106
	s_delay_alu instid0(VALU_DEP_1) | instskip(SKIP_2) | instid1(VALU_DEP_1)
	;; [unrolled: 7-line block ×3, first 2 shown]
	v_pk_fma_f16 v58, v10, v66, v58
	v_pk_fma_f16 v65, v11, v66, v65
	v_mul_u32_u24_e32 v66, 0x10001, v103
	v_pk_fma_f16 v67, v10, v66, v8
	v_pk_fma_f16 v66, v11, v66, v9
	ds_load_b128 v[8:11], v42 offset:736
	s_wait_dscnt 0x0
	v_lshrrev_b32_e32 v92, 16, v8
	v_lshrrev_b32_e32 v93, 16, v9
	;; [unrolled: 1-line block ×4, first 2 shown]
	v_and_b32_e32 v96, 0xffff, v8
	v_and_b32_e32 v97, 0xffff, v9
	;; [unrolled: 1-line block ×4, first 2 shown]
	ds_load_b128 v[8:11], v42 offset:752
	v_mul_u32_u24_e32 v92, 0x10001, v92
	v_mul_u32_u24_e32 v96, 0x10001, v96
	s_wait_dscnt 0x0
	v_lshrrev_b32_e32 v100, 16, v8
	v_lshrrev_b32_e32 v101, 16, v9
	;; [unrolled: 1-line block ×4, first 2 shown]
	v_and_b32_e32 v104, 0xffff, v8
	v_and_b32_e32 v105, 0xffff, v9
	;; [unrolled: 1-line block ×4, first 2 shown]
	ds_load_2addr_b64 v[8:11], v49 offset0:192 offset1:224
	s_wait_dscnt 0x0
	v_pk_fma_f16 v53, v8, v92, v53
	v_pk_fma_f16 v60, v9, v92, v60
	v_mul_u32_u24_e32 v92, 0x10001, v97
	v_pk_fma_f16 v52, v8, v96, v52
	v_pk_fma_f16 v59, v9, v96, v59
	s_delay_alu instid0(VALU_DEP_3) | instskip(SKIP_2) | instid1(VALU_DEP_1)
	v_pk_fma_f16 v54, v8, v92, v54
	v_pk_fma_f16 v61, v9, v92, v61
	v_mul_u32_u24_e32 v92, 0x10001, v93
	v_pk_fma_f16 v55, v8, v92, v55
	v_pk_fma_f16 v62, v9, v92, v62
	v_mul_u32_u24_e32 v92, 0x10001, v98
	s_delay_alu instid0(VALU_DEP_1) | instskip(SKIP_2) | instid1(VALU_DEP_1)
	v_pk_fma_f16 v56, v8, v92, v56
	v_pk_fma_f16 v63, v9, v92, v63
	v_mul_u32_u24_e32 v92, 0x10001, v94
	v_pk_fma_f16 v57, v8, v92, v57
	v_pk_fma_f16 v64, v9, v92, v64
	v_mul_u32_u24_e32 v92, 0x10001, v99
	s_delay_alu instid0(VALU_DEP_1) | instskip(SKIP_2) | instid1(VALU_DEP_1)
	v_pk_fma_f16 v58, v8, v92, v58
	v_pk_fma_f16 v65, v9, v92, v65
	v_mul_u32_u24_e32 v92, 0x10001, v95
	v_pk_fma_f16 v9, v9, v92, v66
	v_mul_u32_u24_e32 v66, 0x10001, v104
	v_pk_fma_f16 v8, v8, v92, v67
	s_delay_alu instid0(VALU_DEP_2) | instskip(SKIP_2) | instid1(VALU_DEP_1)
	v_pk_fma_f16 v52, v10, v66, v52
	v_pk_fma_f16 v59, v11, v66, v59
	v_mul_u32_u24_e32 v66, 0x10001, v100
	v_pk_fma_f16 v53, v10, v66, v53
	v_pk_fma_f16 v60, v11, v66, v60
	v_mul_u32_u24_e32 v66, 0x10001, v105
	s_delay_alu instid0(VALU_DEP_1) | instskip(SKIP_2) | instid1(VALU_DEP_1)
	v_pk_fma_f16 v54, v10, v66, v54
	v_pk_fma_f16 v61, v11, v66, v61
	v_mul_u32_u24_e32 v66, 0x10001, v101
	v_pk_fma_f16 v55, v10, v66, v55
	v_pk_fma_f16 v62, v11, v66, v62
	v_mul_u32_u24_e32 v66, 0x10001, v106
	s_delay_alu instid0(VALU_DEP_1) | instskip(SKIP_2) | instid1(VALU_DEP_1)
	;; [unrolled: 7-line block ×3, first 2 shown]
	v_pk_fma_f16 v58, v10, v66, v58
	v_pk_fma_f16 v65, v11, v66, v65
	v_mul_u32_u24_e32 v66, 0x10001, v103
	v_pk_fma_f16 v67, v10, v66, v8
	v_pk_fma_f16 v66, v11, v66, v9
	ds_load_b128 v[8:11], v42 offset:768
	s_wait_dscnt 0x0
	v_lshrrev_b32_e32 v92, 16, v8
	v_lshrrev_b32_e32 v93, 16, v9
	;; [unrolled: 1-line block ×4, first 2 shown]
	v_and_b32_e32 v96, 0xffff, v8
	v_and_b32_e32 v97, 0xffff, v9
	;; [unrolled: 1-line block ×4, first 2 shown]
	ds_load_b128 v[8:11], v42 offset:784
	v_mul_u32_u24_e32 v92, 0x10001, v92
	v_mul_u32_u24_e32 v96, 0x10001, v96
	s_wait_dscnt 0x0
	v_lshrrev_b32_e32 v100, 16, v8
	v_lshrrev_b32_e32 v101, 16, v9
	;; [unrolled: 1-line block ×4, first 2 shown]
	v_and_b32_e32 v104, 0xffff, v8
	v_and_b32_e32 v105, 0xffff, v9
	v_and_b32_e32 v106, 0xffff, v10
	v_and_b32_e32 v107, 0xffff, v11
	ds_load_2addr_b64 v[8:11], v50 offset1:32
	s_wait_dscnt 0x0
	v_pk_fma_f16 v53, v8, v92, v53
	v_pk_fma_f16 v60, v9, v92, v60
	v_mul_u32_u24_e32 v92, 0x10001, v97
	v_pk_fma_f16 v52, v8, v96, v52
	v_pk_fma_f16 v59, v9, v96, v59
	s_delay_alu instid0(VALU_DEP_3) | instskip(SKIP_2) | instid1(VALU_DEP_1)
	v_pk_fma_f16 v54, v8, v92, v54
	v_pk_fma_f16 v61, v9, v92, v61
	v_mul_u32_u24_e32 v92, 0x10001, v93
	v_pk_fma_f16 v55, v8, v92, v55
	v_pk_fma_f16 v62, v9, v92, v62
	v_mul_u32_u24_e32 v92, 0x10001, v98
	s_delay_alu instid0(VALU_DEP_1) | instskip(SKIP_2) | instid1(VALU_DEP_1)
	v_pk_fma_f16 v56, v8, v92, v56
	v_pk_fma_f16 v63, v9, v92, v63
	v_mul_u32_u24_e32 v92, 0x10001, v94
	v_pk_fma_f16 v57, v8, v92, v57
	v_pk_fma_f16 v64, v9, v92, v64
	v_mul_u32_u24_e32 v92, 0x10001, v99
	s_delay_alu instid0(VALU_DEP_1) | instskip(SKIP_2) | instid1(VALU_DEP_1)
	v_pk_fma_f16 v58, v8, v92, v58
	v_pk_fma_f16 v65, v9, v92, v65
	v_mul_u32_u24_e32 v92, 0x10001, v95
	v_pk_fma_f16 v9, v9, v92, v66
	v_mul_u32_u24_e32 v66, 0x10001, v104
	v_pk_fma_f16 v8, v8, v92, v67
	s_delay_alu instid0(VALU_DEP_2) | instskip(SKIP_2) | instid1(VALU_DEP_1)
	v_pk_fma_f16 v52, v10, v66, v52
	v_pk_fma_f16 v59, v11, v66, v59
	v_mul_u32_u24_e32 v66, 0x10001, v100
	v_pk_fma_f16 v53, v10, v66, v53
	v_pk_fma_f16 v60, v11, v66, v60
	v_mul_u32_u24_e32 v66, 0x10001, v105
	s_delay_alu instid0(VALU_DEP_1) | instskip(SKIP_2) | instid1(VALU_DEP_1)
	v_pk_fma_f16 v54, v10, v66, v54
	v_pk_fma_f16 v61, v11, v66, v61
	v_mul_u32_u24_e32 v66, 0x10001, v101
	v_pk_fma_f16 v55, v10, v66, v55
	v_pk_fma_f16 v62, v11, v66, v62
	v_mul_u32_u24_e32 v66, 0x10001, v106
	s_delay_alu instid0(VALU_DEP_1) | instskip(SKIP_2) | instid1(VALU_DEP_1)
	;; [unrolled: 7-line block ×3, first 2 shown]
	v_pk_fma_f16 v58, v10, v66, v58
	v_pk_fma_f16 v65, v11, v66, v65
	v_mul_u32_u24_e32 v66, 0x10001, v103
	v_pk_fma_f16 v67, v10, v66, v8
	v_pk_fma_f16 v66, v11, v66, v9
	ds_load_b128 v[8:11], v42 offset:800
	s_wait_dscnt 0x0
	v_lshrrev_b32_e32 v92, 16, v8
	v_lshrrev_b32_e32 v93, 16, v9
	;; [unrolled: 1-line block ×4, first 2 shown]
	v_and_b32_e32 v96, 0xffff, v8
	v_and_b32_e32 v97, 0xffff, v9
	;; [unrolled: 1-line block ×4, first 2 shown]
	ds_load_b128 v[8:11], v42 offset:816
	v_mul_u32_u24_e32 v92, 0x10001, v92
	v_mul_u32_u24_e32 v96, 0x10001, v96
	s_wait_dscnt 0x0
	v_lshrrev_b32_e32 v100, 16, v8
	v_lshrrev_b32_e32 v101, 16, v9
	;; [unrolled: 1-line block ×4, first 2 shown]
	v_and_b32_e32 v104, 0xffff, v8
	v_and_b32_e32 v105, 0xffff, v9
	;; [unrolled: 1-line block ×4, first 2 shown]
	ds_load_2addr_b64 v[8:11], v50 offset0:64 offset1:96
	s_wait_dscnt 0x0
	v_pk_fma_f16 v53, v8, v92, v53
	v_pk_fma_f16 v60, v9, v92, v60
	v_mul_u32_u24_e32 v92, 0x10001, v97
	v_pk_fma_f16 v52, v8, v96, v52
	v_pk_fma_f16 v59, v9, v96, v59
	s_delay_alu instid0(VALU_DEP_3) | instskip(SKIP_2) | instid1(VALU_DEP_1)
	v_pk_fma_f16 v54, v8, v92, v54
	v_pk_fma_f16 v61, v9, v92, v61
	v_mul_u32_u24_e32 v92, 0x10001, v93
	v_pk_fma_f16 v55, v8, v92, v55
	v_pk_fma_f16 v62, v9, v92, v62
	v_mul_u32_u24_e32 v92, 0x10001, v98
	s_delay_alu instid0(VALU_DEP_1) | instskip(SKIP_2) | instid1(VALU_DEP_1)
	v_pk_fma_f16 v56, v8, v92, v56
	v_pk_fma_f16 v63, v9, v92, v63
	v_mul_u32_u24_e32 v92, 0x10001, v94
	v_pk_fma_f16 v57, v8, v92, v57
	v_pk_fma_f16 v64, v9, v92, v64
	v_mul_u32_u24_e32 v92, 0x10001, v99
	s_delay_alu instid0(VALU_DEP_1) | instskip(SKIP_2) | instid1(VALU_DEP_1)
	v_pk_fma_f16 v58, v8, v92, v58
	v_pk_fma_f16 v65, v9, v92, v65
	v_mul_u32_u24_e32 v92, 0x10001, v95
	v_pk_fma_f16 v9, v9, v92, v66
	v_mul_u32_u24_e32 v66, 0x10001, v104
	v_pk_fma_f16 v8, v8, v92, v67
	s_delay_alu instid0(VALU_DEP_2) | instskip(SKIP_2) | instid1(VALU_DEP_1)
	v_pk_fma_f16 v52, v10, v66, v52
	v_pk_fma_f16 v59, v11, v66, v59
	v_mul_u32_u24_e32 v66, 0x10001, v100
	v_pk_fma_f16 v53, v10, v66, v53
	v_pk_fma_f16 v60, v11, v66, v60
	v_mul_u32_u24_e32 v66, 0x10001, v105
	s_delay_alu instid0(VALU_DEP_1) | instskip(SKIP_2) | instid1(VALU_DEP_1)
	v_pk_fma_f16 v54, v10, v66, v54
	v_pk_fma_f16 v61, v11, v66, v61
	v_mul_u32_u24_e32 v66, 0x10001, v101
	v_pk_fma_f16 v55, v10, v66, v55
	v_pk_fma_f16 v62, v11, v66, v62
	v_mul_u32_u24_e32 v66, 0x10001, v106
	s_delay_alu instid0(VALU_DEP_1) | instskip(SKIP_2) | instid1(VALU_DEP_1)
	;; [unrolled: 7-line block ×3, first 2 shown]
	v_pk_fma_f16 v58, v10, v66, v58
	v_pk_fma_f16 v65, v11, v66, v65
	v_mul_u32_u24_e32 v66, 0x10001, v103
	v_pk_fma_f16 v67, v10, v66, v8
	v_pk_fma_f16 v66, v11, v66, v9
	ds_load_b128 v[8:11], v42 offset:832
	s_wait_dscnt 0x0
	v_lshrrev_b32_e32 v92, 16, v8
	v_lshrrev_b32_e32 v93, 16, v9
	;; [unrolled: 1-line block ×4, first 2 shown]
	v_and_b32_e32 v96, 0xffff, v8
	v_and_b32_e32 v97, 0xffff, v9
	;; [unrolled: 1-line block ×4, first 2 shown]
	ds_load_b128 v[8:11], v42 offset:848
	v_mul_u32_u24_e32 v92, 0x10001, v92
	v_mul_u32_u24_e32 v96, 0x10001, v96
	s_wait_dscnt 0x0
	v_lshrrev_b32_e32 v100, 16, v8
	v_lshrrev_b32_e32 v101, 16, v9
	;; [unrolled: 1-line block ×4, first 2 shown]
	v_and_b32_e32 v104, 0xffff, v8
	v_and_b32_e32 v105, 0xffff, v9
	v_and_b32_e32 v106, 0xffff, v10
	v_and_b32_e32 v107, 0xffff, v11
	ds_load_2addr_b64 v[8:11], v50 offset0:128 offset1:160
	s_wait_dscnt 0x0
	v_pk_fma_f16 v53, v8, v92, v53
	v_pk_fma_f16 v60, v9, v92, v60
	v_mul_u32_u24_e32 v92, 0x10001, v97
	v_pk_fma_f16 v52, v8, v96, v52
	v_pk_fma_f16 v59, v9, v96, v59
	s_delay_alu instid0(VALU_DEP_3) | instskip(SKIP_2) | instid1(VALU_DEP_1)
	v_pk_fma_f16 v54, v8, v92, v54
	v_pk_fma_f16 v61, v9, v92, v61
	v_mul_u32_u24_e32 v92, 0x10001, v93
	v_pk_fma_f16 v55, v8, v92, v55
	v_pk_fma_f16 v62, v9, v92, v62
	v_mul_u32_u24_e32 v92, 0x10001, v98
	s_delay_alu instid0(VALU_DEP_1) | instskip(SKIP_2) | instid1(VALU_DEP_1)
	v_pk_fma_f16 v56, v8, v92, v56
	v_pk_fma_f16 v63, v9, v92, v63
	v_mul_u32_u24_e32 v92, 0x10001, v94
	v_pk_fma_f16 v57, v8, v92, v57
	v_pk_fma_f16 v64, v9, v92, v64
	v_mul_u32_u24_e32 v92, 0x10001, v99
	s_delay_alu instid0(VALU_DEP_1) | instskip(SKIP_2) | instid1(VALU_DEP_1)
	v_pk_fma_f16 v58, v8, v92, v58
	v_pk_fma_f16 v65, v9, v92, v65
	v_mul_u32_u24_e32 v92, 0x10001, v95
	v_pk_fma_f16 v9, v9, v92, v66
	v_mul_u32_u24_e32 v66, 0x10001, v104
	v_pk_fma_f16 v8, v8, v92, v67
	s_delay_alu instid0(VALU_DEP_2) | instskip(SKIP_2) | instid1(VALU_DEP_1)
	v_pk_fma_f16 v52, v10, v66, v52
	v_pk_fma_f16 v59, v11, v66, v59
	v_mul_u32_u24_e32 v66, 0x10001, v100
	v_pk_fma_f16 v53, v10, v66, v53
	v_pk_fma_f16 v60, v11, v66, v60
	v_mul_u32_u24_e32 v66, 0x10001, v105
	s_delay_alu instid0(VALU_DEP_1) | instskip(SKIP_2) | instid1(VALU_DEP_1)
	v_pk_fma_f16 v54, v10, v66, v54
	v_pk_fma_f16 v61, v11, v66, v61
	v_mul_u32_u24_e32 v66, 0x10001, v101
	v_pk_fma_f16 v55, v10, v66, v55
	v_pk_fma_f16 v62, v11, v66, v62
	v_mul_u32_u24_e32 v66, 0x10001, v106
	s_delay_alu instid0(VALU_DEP_1) | instskip(SKIP_2) | instid1(VALU_DEP_1)
	;; [unrolled: 7-line block ×3, first 2 shown]
	v_pk_fma_f16 v58, v10, v66, v58
	v_pk_fma_f16 v65, v11, v66, v65
	v_mul_u32_u24_e32 v66, 0x10001, v103
	v_pk_fma_f16 v67, v10, v66, v8
	v_pk_fma_f16 v66, v11, v66, v9
	ds_load_b128 v[8:11], v42 offset:864
	s_wait_dscnt 0x0
	v_lshrrev_b32_e32 v92, 16, v8
	v_lshrrev_b32_e32 v93, 16, v9
	;; [unrolled: 1-line block ×4, first 2 shown]
	v_and_b32_e32 v96, 0xffff, v8
	v_and_b32_e32 v97, 0xffff, v9
	;; [unrolled: 1-line block ×4, first 2 shown]
	ds_load_b128 v[8:11], v42 offset:880
	v_mul_u32_u24_e32 v92, 0x10001, v92
	v_mul_u32_u24_e32 v96, 0x10001, v96
	s_wait_dscnt 0x0
	v_lshrrev_b32_e32 v100, 16, v8
	v_lshrrev_b32_e32 v101, 16, v9
	;; [unrolled: 1-line block ×4, first 2 shown]
	v_and_b32_e32 v104, 0xffff, v8
	v_and_b32_e32 v105, 0xffff, v9
	;; [unrolled: 1-line block ×4, first 2 shown]
	ds_load_2addr_b64 v[8:11], v50 offset0:192 offset1:224
	s_wait_dscnt 0x0
	v_pk_fma_f16 v53, v8, v92, v53
	v_pk_fma_f16 v60, v9, v92, v60
	v_mul_u32_u24_e32 v92, 0x10001, v97
	v_pk_fma_f16 v52, v8, v96, v52
	v_pk_fma_f16 v59, v9, v96, v59
	s_delay_alu instid0(VALU_DEP_3) | instskip(SKIP_2) | instid1(VALU_DEP_1)
	v_pk_fma_f16 v54, v8, v92, v54
	v_pk_fma_f16 v61, v9, v92, v61
	v_mul_u32_u24_e32 v92, 0x10001, v93
	v_pk_fma_f16 v55, v8, v92, v55
	v_pk_fma_f16 v62, v9, v92, v62
	v_mul_u32_u24_e32 v92, 0x10001, v98
	s_delay_alu instid0(VALU_DEP_1) | instskip(SKIP_2) | instid1(VALU_DEP_1)
	v_pk_fma_f16 v56, v8, v92, v56
	v_pk_fma_f16 v63, v9, v92, v63
	v_mul_u32_u24_e32 v92, 0x10001, v94
	v_pk_fma_f16 v57, v8, v92, v57
	v_pk_fma_f16 v64, v9, v92, v64
	v_mul_u32_u24_e32 v92, 0x10001, v99
	s_delay_alu instid0(VALU_DEP_1) | instskip(SKIP_2) | instid1(VALU_DEP_1)
	v_pk_fma_f16 v58, v8, v92, v58
	v_pk_fma_f16 v65, v9, v92, v65
	v_mul_u32_u24_e32 v92, 0x10001, v95
	v_pk_fma_f16 v9, v9, v92, v66
	v_mul_u32_u24_e32 v66, 0x10001, v104
	v_pk_fma_f16 v8, v8, v92, v67
	s_delay_alu instid0(VALU_DEP_2) | instskip(SKIP_2) | instid1(VALU_DEP_1)
	v_pk_fma_f16 v52, v10, v66, v52
	v_pk_fma_f16 v59, v11, v66, v59
	v_mul_u32_u24_e32 v66, 0x10001, v100
	v_pk_fma_f16 v53, v10, v66, v53
	v_pk_fma_f16 v60, v11, v66, v60
	v_mul_u32_u24_e32 v66, 0x10001, v105
	s_delay_alu instid0(VALU_DEP_1) | instskip(SKIP_2) | instid1(VALU_DEP_1)
	v_pk_fma_f16 v54, v10, v66, v54
	v_pk_fma_f16 v61, v11, v66, v61
	v_mul_u32_u24_e32 v66, 0x10001, v101
	v_pk_fma_f16 v55, v10, v66, v55
	v_pk_fma_f16 v62, v11, v66, v62
	v_mul_u32_u24_e32 v66, 0x10001, v106
	s_delay_alu instid0(VALU_DEP_1) | instskip(SKIP_2) | instid1(VALU_DEP_1)
	v_pk_fma_f16 v56, v10, v66, v56
	v_pk_fma_f16 v63, v11, v66, v63
	v_mul_u32_u24_e32 v66, 0x10001, v102
	v_pk_fma_f16 v57, v10, v66, v57
	v_pk_fma_f16 v64, v11, v66, v64
	v_mul_u32_u24_e32 v66, 0x10001, v107
	s_delay_alu instid0(VALU_DEP_1) | instskip(SKIP_2) | instid1(VALU_DEP_1)
	v_pk_fma_f16 v58, v10, v66, v58
	v_pk_fma_f16 v65, v11, v66, v65
	v_mul_u32_u24_e32 v66, 0x10001, v103
	v_pk_fma_f16 v67, v10, v66, v8
	v_pk_fma_f16 v66, v11, v66, v9
	ds_load_b128 v[8:11], v42 offset:896
	s_wait_dscnt 0x0
	v_lshrrev_b32_e32 v92, 16, v8
	v_lshrrev_b32_e32 v93, 16, v9
	;; [unrolled: 1-line block ×4, first 2 shown]
	v_and_b32_e32 v96, 0xffff, v8
	v_and_b32_e32 v97, 0xffff, v9
	;; [unrolled: 1-line block ×4, first 2 shown]
	ds_load_b128 v[8:11], v42 offset:912
	v_mul_u32_u24_e32 v92, 0x10001, v92
	v_mul_u32_u24_e32 v96, 0x10001, v96
	s_wait_dscnt 0x0
	v_lshrrev_b32_e32 v100, 16, v8
	v_lshrrev_b32_e32 v101, 16, v9
	;; [unrolled: 1-line block ×4, first 2 shown]
	v_and_b32_e32 v104, 0xffff, v8
	v_and_b32_e32 v105, 0xffff, v9
	;; [unrolled: 1-line block ×4, first 2 shown]
	ds_load_2addr_b64 v[8:11], v51 offset1:32
	s_wait_dscnt 0x0
	v_pk_fma_f16 v53, v8, v92, v53
	v_pk_fma_f16 v60, v9, v92, v60
	v_mul_u32_u24_e32 v92, 0x10001, v97
	v_pk_fma_f16 v52, v8, v96, v52
	v_pk_fma_f16 v59, v9, v96, v59
	s_delay_alu instid0(VALU_DEP_3) | instskip(SKIP_2) | instid1(VALU_DEP_1)
	v_pk_fma_f16 v54, v8, v92, v54
	v_pk_fma_f16 v61, v9, v92, v61
	v_mul_u32_u24_e32 v92, 0x10001, v93
	v_pk_fma_f16 v55, v8, v92, v55
	v_pk_fma_f16 v62, v9, v92, v62
	v_mul_u32_u24_e32 v92, 0x10001, v98
	s_delay_alu instid0(VALU_DEP_1) | instskip(SKIP_2) | instid1(VALU_DEP_1)
	v_pk_fma_f16 v56, v8, v92, v56
	v_pk_fma_f16 v63, v9, v92, v63
	v_mul_u32_u24_e32 v92, 0x10001, v94
	v_pk_fma_f16 v57, v8, v92, v57
	v_pk_fma_f16 v64, v9, v92, v64
	v_mul_u32_u24_e32 v92, 0x10001, v99
	s_delay_alu instid0(VALU_DEP_1) | instskip(SKIP_2) | instid1(VALU_DEP_1)
	v_pk_fma_f16 v58, v8, v92, v58
	v_pk_fma_f16 v65, v9, v92, v65
	v_mul_u32_u24_e32 v92, 0x10001, v95
	v_pk_fma_f16 v9, v9, v92, v66
	v_mul_u32_u24_e32 v66, 0x10001, v104
	v_pk_fma_f16 v8, v8, v92, v67
	s_delay_alu instid0(VALU_DEP_2) | instskip(SKIP_2) | instid1(VALU_DEP_1)
	v_pk_fma_f16 v52, v10, v66, v52
	v_pk_fma_f16 v59, v11, v66, v59
	v_mul_u32_u24_e32 v66, 0x10001, v100
	v_pk_fma_f16 v53, v10, v66, v53
	v_pk_fma_f16 v60, v11, v66, v60
	v_mul_u32_u24_e32 v66, 0x10001, v105
	s_delay_alu instid0(VALU_DEP_1) | instskip(SKIP_2) | instid1(VALU_DEP_1)
	v_pk_fma_f16 v54, v10, v66, v54
	v_pk_fma_f16 v61, v11, v66, v61
	v_mul_u32_u24_e32 v66, 0x10001, v101
	v_pk_fma_f16 v55, v10, v66, v55
	v_pk_fma_f16 v62, v11, v66, v62
	v_mul_u32_u24_e32 v66, 0x10001, v106
	s_delay_alu instid0(VALU_DEP_1) | instskip(SKIP_2) | instid1(VALU_DEP_1)
	;; [unrolled: 7-line block ×3, first 2 shown]
	v_pk_fma_f16 v58, v10, v66, v58
	v_pk_fma_f16 v65, v11, v66, v65
	v_mul_u32_u24_e32 v66, 0x10001, v103
	v_pk_fma_f16 v67, v10, v66, v8
	v_pk_fma_f16 v66, v11, v66, v9
	ds_load_b128 v[8:11], v42 offset:928
	s_wait_dscnt 0x0
	v_lshrrev_b32_e32 v92, 16, v8
	v_lshrrev_b32_e32 v93, 16, v9
	;; [unrolled: 1-line block ×4, first 2 shown]
	v_and_b32_e32 v96, 0xffff, v8
	v_and_b32_e32 v97, 0xffff, v9
	;; [unrolled: 1-line block ×4, first 2 shown]
	ds_load_b128 v[8:11], v42 offset:944
	v_mul_u32_u24_e32 v92, 0x10001, v92
	v_mul_u32_u24_e32 v96, 0x10001, v96
	s_wait_dscnt 0x0
	v_lshrrev_b32_e32 v100, 16, v8
	v_lshrrev_b32_e32 v101, 16, v9
	;; [unrolled: 1-line block ×4, first 2 shown]
	v_and_b32_e32 v104, 0xffff, v8
	v_and_b32_e32 v105, 0xffff, v9
	;; [unrolled: 1-line block ×4, first 2 shown]
	ds_load_2addr_b64 v[8:11], v51 offset0:64 offset1:96
	s_wait_dscnt 0x0
	v_pk_fma_f16 v53, v8, v92, v53
	v_pk_fma_f16 v60, v9, v92, v60
	v_mul_u32_u24_e32 v92, 0x10001, v97
	v_pk_fma_f16 v52, v8, v96, v52
	v_pk_fma_f16 v59, v9, v96, v59
	s_delay_alu instid0(VALU_DEP_3) | instskip(SKIP_2) | instid1(VALU_DEP_1)
	v_pk_fma_f16 v54, v8, v92, v54
	v_pk_fma_f16 v61, v9, v92, v61
	v_mul_u32_u24_e32 v92, 0x10001, v93
	v_pk_fma_f16 v55, v8, v92, v55
	v_pk_fma_f16 v62, v9, v92, v62
	v_mul_u32_u24_e32 v92, 0x10001, v98
	s_delay_alu instid0(VALU_DEP_1) | instskip(SKIP_2) | instid1(VALU_DEP_1)
	v_pk_fma_f16 v56, v8, v92, v56
	v_pk_fma_f16 v63, v9, v92, v63
	v_mul_u32_u24_e32 v92, 0x10001, v94
	v_pk_fma_f16 v57, v8, v92, v57
	v_pk_fma_f16 v64, v9, v92, v64
	v_mul_u32_u24_e32 v92, 0x10001, v99
	s_delay_alu instid0(VALU_DEP_1) | instskip(SKIP_2) | instid1(VALU_DEP_1)
	v_pk_fma_f16 v58, v8, v92, v58
	v_pk_fma_f16 v65, v9, v92, v65
	v_mul_u32_u24_e32 v92, 0x10001, v95
	v_pk_fma_f16 v9, v9, v92, v66
	v_mul_u32_u24_e32 v66, 0x10001, v104
	v_pk_fma_f16 v8, v8, v92, v67
	s_delay_alu instid0(VALU_DEP_2) | instskip(SKIP_2) | instid1(VALU_DEP_1)
	v_pk_fma_f16 v52, v10, v66, v52
	v_pk_fma_f16 v59, v11, v66, v59
	v_mul_u32_u24_e32 v66, 0x10001, v100
	v_pk_fma_f16 v53, v10, v66, v53
	v_pk_fma_f16 v60, v11, v66, v60
	v_mul_u32_u24_e32 v66, 0x10001, v105
	s_delay_alu instid0(VALU_DEP_1) | instskip(SKIP_2) | instid1(VALU_DEP_1)
	v_pk_fma_f16 v54, v10, v66, v54
	v_pk_fma_f16 v61, v11, v66, v61
	v_mul_u32_u24_e32 v66, 0x10001, v101
	v_pk_fma_f16 v55, v10, v66, v55
	v_pk_fma_f16 v62, v11, v66, v62
	v_mul_u32_u24_e32 v66, 0x10001, v106
	s_delay_alu instid0(VALU_DEP_1) | instskip(SKIP_2) | instid1(VALU_DEP_1)
	;; [unrolled: 7-line block ×3, first 2 shown]
	v_pk_fma_f16 v58, v10, v66, v58
	v_pk_fma_f16 v65, v11, v66, v65
	v_mul_u32_u24_e32 v66, 0x10001, v103
	v_pk_fma_f16 v67, v10, v66, v8
	v_pk_fma_f16 v66, v11, v66, v9
	ds_load_b128 v[8:11], v42 offset:960
	s_wait_dscnt 0x0
	v_lshrrev_b32_e32 v92, 16, v8
	v_lshrrev_b32_e32 v93, 16, v9
	;; [unrolled: 1-line block ×4, first 2 shown]
	v_and_b32_e32 v96, 0xffff, v8
	v_and_b32_e32 v97, 0xffff, v9
	v_and_b32_e32 v98, 0xffff, v10
	v_and_b32_e32 v99, 0xffff, v11
	ds_load_b128 v[8:11], v42 offset:976
	v_mul_u32_u24_e32 v92, 0x10001, v92
	v_mul_u32_u24_e32 v96, 0x10001, v96
	s_wait_dscnt 0x0
	v_lshrrev_b32_e32 v100, 16, v8
	v_lshrrev_b32_e32 v101, 16, v9
	;; [unrolled: 1-line block ×4, first 2 shown]
	v_and_b32_e32 v104, 0xffff, v8
	v_and_b32_e32 v105, 0xffff, v9
	;; [unrolled: 1-line block ×4, first 2 shown]
	ds_load_2addr_b64 v[8:11], v51 offset0:128 offset1:160
	s_wait_dscnt 0x0
	v_pk_fma_f16 v53, v8, v92, v53
	v_pk_fma_f16 v60, v9, v92, v60
	v_mul_u32_u24_e32 v92, 0x10001, v97
	v_pk_fma_f16 v52, v8, v96, v52
	v_pk_fma_f16 v59, v9, v96, v59
	s_delay_alu instid0(VALU_DEP_3) | instskip(SKIP_2) | instid1(VALU_DEP_1)
	v_pk_fma_f16 v54, v8, v92, v54
	v_pk_fma_f16 v61, v9, v92, v61
	v_mul_u32_u24_e32 v92, 0x10001, v93
	v_pk_fma_f16 v55, v8, v92, v55
	v_pk_fma_f16 v62, v9, v92, v62
	v_mul_u32_u24_e32 v92, 0x10001, v98
	s_delay_alu instid0(VALU_DEP_1) | instskip(SKIP_2) | instid1(VALU_DEP_1)
	v_pk_fma_f16 v56, v8, v92, v56
	v_pk_fma_f16 v63, v9, v92, v63
	v_mul_u32_u24_e32 v92, 0x10001, v94
	v_pk_fma_f16 v57, v8, v92, v57
	v_pk_fma_f16 v64, v9, v92, v64
	v_mul_u32_u24_e32 v92, 0x10001, v99
	s_delay_alu instid0(VALU_DEP_1) | instskip(SKIP_2) | instid1(VALU_DEP_1)
	v_pk_fma_f16 v58, v8, v92, v58
	v_pk_fma_f16 v65, v9, v92, v65
	v_mul_u32_u24_e32 v92, 0x10001, v95
	v_pk_fma_f16 v9, v9, v92, v66
	v_mul_u32_u24_e32 v66, 0x10001, v104
	v_pk_fma_f16 v8, v8, v92, v67
	s_delay_alu instid0(VALU_DEP_2) | instskip(SKIP_2) | instid1(VALU_DEP_1)
	v_pk_fma_f16 v52, v10, v66, v52
	v_pk_fma_f16 v59, v11, v66, v59
	v_mul_u32_u24_e32 v66, 0x10001, v100
	v_pk_fma_f16 v53, v10, v66, v53
	v_pk_fma_f16 v60, v11, v66, v60
	v_mul_u32_u24_e32 v66, 0x10001, v105
	s_delay_alu instid0(VALU_DEP_1) | instskip(SKIP_2) | instid1(VALU_DEP_1)
	v_pk_fma_f16 v54, v10, v66, v54
	v_pk_fma_f16 v61, v11, v66, v61
	v_mul_u32_u24_e32 v66, 0x10001, v101
	v_pk_fma_f16 v55, v10, v66, v55
	v_pk_fma_f16 v62, v11, v66, v62
	v_mul_u32_u24_e32 v66, 0x10001, v106
	s_delay_alu instid0(VALU_DEP_1) | instskip(SKIP_2) | instid1(VALU_DEP_1)
	;; [unrolled: 7-line block ×3, first 2 shown]
	v_pk_fma_f16 v58, v10, v66, v58
	v_pk_fma_f16 v65, v11, v66, v65
	v_mul_u32_u24_e32 v66, 0x10001, v103
	v_pk_fma_f16 v67, v10, v66, v8
	v_pk_fma_f16 v66, v11, v66, v9
	ds_load_b128 v[8:11], v42 offset:992
	s_wait_dscnt 0x0
	v_lshrrev_b32_e32 v92, 16, v8
	v_lshrrev_b32_e32 v93, 16, v9
	;; [unrolled: 1-line block ×4, first 2 shown]
	v_and_b32_e32 v96, 0xffff, v8
	v_and_b32_e32 v97, 0xffff, v9
	v_and_b32_e32 v98, 0xffff, v10
	v_and_b32_e32 v99, 0xffff, v11
	ds_load_b128 v[8:11], v42 offset:1008
	v_mul_u32_u24_e32 v92, 0x10001, v92
	v_mul_u32_u24_e32 v96, 0x10001, v96
	s_wait_dscnt 0x0
	v_lshrrev_b32_e32 v100, 16, v8
	v_lshrrev_b32_e32 v101, 16, v9
	;; [unrolled: 1-line block ×4, first 2 shown]
	v_and_b32_e32 v104, 0xffff, v8
	v_and_b32_e32 v105, 0xffff, v9
	;; [unrolled: 1-line block ×4, first 2 shown]
	ds_load_2addr_b64 v[8:11], v51 offset0:192 offset1:224
	s_wait_loadcnt_dscnt 0x0
	s_barrier_signal -1
	s_barrier_wait -1
	global_inv scope:SCOPE_SE
	s_load_b32 s2, s[48:49], 0x4
	v_pk_fma_f16 v53, v8, v92, v53
	v_pk_fma_f16 v60, v9, v92, v60
	v_mul_u32_u24_e32 v92, 0x10001, v97
	v_pk_fma_f16 v52, v8, v96, v52
	v_pk_fma_f16 v59, v9, v96, v59
	s_wait_kmcnt 0x0
	s_lshl_b32 s2, s2, 6
	v_pk_fma_f16 v54, v8, v92, v54
	v_pk_fma_f16 v61, v9, v92, v61
	v_mul_u32_u24_e32 v92, 0x10001, v93
	s_wait_alu 0xfffe
	s_add_co_i32 s22, s2, s22
	s_wait_alu 0xfffe
	s_cmp_ge_i32 s22, s38
	v_pk_fma_f16 v55, v8, v92, v55
	v_pk_fma_f16 v92, v9, v92, v62
	v_mul_u32_u24_e32 v62, 0x10001, v98
	s_delay_alu instid0(VALU_DEP_1) | instskip(SKIP_2) | instid1(VALU_DEP_1)
	v_pk_fma_f16 v56, v8, v62, v56
	v_pk_fma_f16 v93, v9, v62, v63
	v_mul_u32_u24_e32 v62, 0x10001, v94
	v_pk_fma_f16 v57, v8, v62, v57
	v_pk_fma_f16 v94, v9, v62, v64
	v_mul_u32_u24_e32 v62, 0x10001, v99
	s_delay_alu instid0(VALU_DEP_1) | instskip(SKIP_2) | instid1(VALU_DEP_2)
	v_pk_fma_f16 v96, v8, v62, v58
	v_mul_u32_u24_e32 v58, 0x10001, v95
	v_pk_fma_f16 v97, v9, v62, v65
	v_pk_fma_f16 v8, v8, v58, v67
	;; [unrolled: 1-line block ×3, first 2 shown]
	v_mul_u32_u24_e32 v58, 0x10001, v104
	s_delay_alu instid0(VALU_DEP_1) | instskip(SKIP_2) | instid1(VALU_DEP_2)
	v_pk_fma_f16 v66, v10, v58, v52
	v_mul_u32_u24_e32 v52, 0x10001, v100
	v_pk_fma_f16 v67, v11, v58, v59
	v_pk_fma_f16 v65, v10, v52, v53
	;; [unrolled: 1-line block ×3, first 2 shown]
	v_mul_u32_u24_e32 v52, 0x10001, v105
	s_delay_alu instid0(VALU_DEP_1) | instskip(SKIP_2) | instid1(VALU_DEP_1)
	v_pk_fma_f16 v63, v10, v52, v54
	v_pk_fma_f16 v62, v11, v52, v61
	v_mul_u32_u24_e32 v52, 0x10001, v101
	v_pk_fma_f16 v61, v10, v52, v55
	v_pk_fma_f16 v60, v11, v52, v92
	v_mul_u32_u24_e32 v52, 0x10001, v106
	s_delay_alu instid0(VALU_DEP_1) | instskip(SKIP_2) | instid1(VALU_DEP_1)
	v_pk_fma_f16 v59, v10, v52, v56
	v_pk_fma_f16 v58, v11, v52, v93
	v_mul_u32_u24_e32 v52, 0x10001, v102
	v_pk_fma_f16 v57, v10, v52, v57
	v_pk_fma_f16 v56, v11, v52, v94
	v_mul_u32_u24_e32 v52, 0x10001, v107
	s_delay_alu instid0(VALU_DEP_1) | instskip(SKIP_2) | instid1(VALU_DEP_1)
	v_pk_fma_f16 v55, v10, v52, v96
	v_pk_fma_f16 v54, v11, v52, v97
	v_mul_u32_u24_e32 v52, 0x10001, v103
	v_pk_fma_f16 v53, v10, v52, v8
	v_mov_b32_e32 v8, v38
	v_add_f32_e32 v38, v75, v83
	v_pk_fma_f16 v52, v11, v52, v9
	s_delay_alu instid0(VALU_DEP_2) | instskip(SKIP_1) | instid1(VALU_DEP_1)
	v_dual_mov_b32 v9, v30 :: v_dual_fmac_f32 v38, v8, v84
	v_dual_mov_b32 v8, v37 :: v_dual_add_f32 v37, v74, v82
	v_fmac_f32_e32 v37, v8, v85
	v_mov_b32_e32 v8, v36
	v_add_f32_e32 v36, v73, v81
	s_delay_alu instid0(VALU_DEP_1) | instskip(SKIP_1) | instid1(VALU_DEP_1)
	v_fmac_f32_e32 v36, v8, v86
	v_dual_mov_b32 v8, v35 :: v_dual_add_f32 v35, v72, v80
	v_dual_fmac_f32 v35, v8, v87 :: v_dual_mov_b32 v8, v34
	v_add_f32_e32 v34, v70, v78
	s_delay_alu instid0(VALU_DEP_1) | instskip(SKIP_1) | instid1(VALU_DEP_1)
	v_fmac_f32_e32 v34, v8, v88
	v_dual_mov_b32 v8, v33 :: v_dual_add_f32 v33, v71, v79
	v_fmac_f32_e32 v33, v8, v89
	v_mov_b32_e32 v8, v32
	v_add_f32_e32 v32, v68, v77
	s_delay_alu instid0(VALU_DEP_1) | instskip(SKIP_1) | instid1(VALU_DEP_1)
	v_fmac_f32_e32 v32, v8, v90
	v_add_f32_e32 v8, v69, v76
	v_mov_b32_e32 v30, v8
	s_delay_alu instid0(VALU_DEP_1)
	v_fmac_f32_e32 v30, v9, v91
	s_cbranch_scc0 .LBB0_9
; %bb.10:
	v_dual_mov_b32 v8, 32 :: v_dual_mov_b32 v9, v29
.LBB0_11:
	s_delay_alu instid0(VALU_DEP_1)
	v_cmp_lt_i32_e32 vcc_lo, v31, v8
	s_cmp_lg_u64 s[20:21], 0
	s_cselect_b32 s2, -1, 0
	s_cmp_eq_u32 s18, 0
	s_wait_alu 0xfffd
	v_cndmask_b32_e32 v10, v9, v31, vcc_lo
	v_cmp_lt_i32_e32 vcc_lo, v27, v8
	s_cselect_b32 s3, -1, 0
	s_wait_alu 0xfffe
	s_and_b32 s2, s3, s2
	v_lshlrev_b32_e32 v10, 2, v10
	ds_bpermute_b32 v11, v10, v38
	s_wait_dscnt 0x0
	v_add_f32_e32 v11, v38, v11
	ds_bpermute_b32 v17, v10, v32
	ds_bpermute_b32 v15, v10, v34
	s_wait_alu 0xfffd
	v_cndmask_b32_e32 v18, v9, v27, vcc_lo
	ds_bpermute_b32 v12, v10, v37
	ds_bpermute_b32 v13, v10, v36
	ds_bpermute_b32 v14, v10, v35
	v_cmp_lt_i32_e32 vcc_lo, v26, v8
	ds_bpermute_b32 v16, v10, v33
	ds_bpermute_b32 v10, v10, v30
	s_wait_alu 0xfffd
	v_cndmask_b32_e32 v26, v9, v26, vcc_lo
	v_cmp_lt_i32_e32 vcc_lo, v23, v8
	s_wait_alu 0xfffd
	v_cndmask_b32_e32 v23, v9, v23, vcc_lo
	v_cmp_lt_i32_e32 vcc_lo, v22, v8
	s_wait_dscnt 0x6
	v_dual_add_f32 v17, v32, v17 :: v_dual_lshlrev_b32 v18, 2, v18
	s_wait_dscnt 0x5
	v_add_f32_e32 v15, v34, v15
	v_lshlrev_b32_e32 v23, 2, v23
	s_wait_dscnt 0x3
	v_add_f32_e32 v13, v36, v13
	ds_bpermute_b32 v19, v18, v11
	v_add_f32_e32 v12, v37, v12
	ds_bpermute_b32 v29, v18, v15
	ds_bpermute_b32 v21, v18, v13
	s_wait_dscnt 0x5
	v_add_f32_e32 v14, v35, v14
	ds_bpermute_b32 v31, v18, v17
	s_wait_dscnt 0x5
	v_add_f32_e32 v16, v33, v16
	s_wait_dscnt 0x3
	v_dual_add_f32 v10, v30, v10 :: v_dual_add_f32 v11, v11, v19
	ds_bpermute_b32 v20, v18, v12
	s_wait_dscnt 0x3
	v_add_f32_e32 v15, v15, v29
	s_wait_dscnt 0x2
	v_dual_add_f32 v13, v13, v21 :: v_dual_lshlrev_b32 v26, 2, v26
	ds_bpermute_b32 v27, v18, v14
	ds_bpermute_b32 v30, v18, v16
	s_wait_dscnt 0x3
	v_add_f32_e32 v17, v17, v31
	ds_bpermute_b32 v18, v18, v10
	s_wait_dscnt 0x3
	v_add_f32_e32 v12, v12, v20
	;; [unrolled: 3-line block ×3, first 2 shown]
	ds_bpermute_b32 v19, v26, v12
	ds_bpermute_b32 v20, v23, v13
	s_wait_dscnt 0x1
	v_add_f32_e32 v12, v12, v19
	ds_bpermute_b32 v19, v23, v12
	v_add_f32_e32 v10, v10, v18
	ds_bpermute_b32 v18, v26, v11
	;; [unrolled: 2-line block ×4, first 2 shown]
	s_wait_dscnt 0x2
	v_add_f32_e32 v11, v11, v18
	ds_bpermute_b32 v21, v26, v14
	s_wait_dscnt 0x2
	v_add_f32_e32 v15, v15, v27
	ds_bpermute_b32 v29, v26, v16
	s_wait_dscnt 0x2
	v_add_f32_e32 v17, v17, v30
	ds_bpermute_b32 v18, v23, v11
	s_wait_dscnt 0x2
	v_add_f32_e32 v14, v14, v21
	s_wait_alu 0xfffd
	v_cndmask_b32_e32 v8, v9, v22, vcc_lo
	s_wait_alu 0xfffe
	s_and_b32 vcc_lo, exec_lo, s2
	s_wait_dscnt 0x0
	v_add_f32_e32 v9, v11, v18
	v_add_f32_e32 v11, v12, v19
	ds_bpermute_b32 v26, v26, v10
	ds_bpermute_b32 v21, v23, v14
	v_add_f32_e32 v12, v13, v20
	s_wait_dscnt 0x1
	v_add_f32_e32 v10, v10, v26
	v_add_f32_e32 v16, v16, v29
	ds_bpermute_b32 v26, v23, v15
	s_wait_dscnt 0x1
	v_dual_add_f32 v13, v14, v21 :: v_dual_lshlrev_b32 v8, 2, v8
	ds_bpermute_b32 v29, v23, v17
	ds_bpermute_b32 v27, v23, v16
	;; [unrolled: 1-line block ×5, first 2 shown]
	s_wait_dscnt 0x3
	v_dual_add_f32 v14, v15, v26 :: v_dual_add_f32 v15, v16, v27
	ds_bpermute_b32 v23, v23, v10
	v_add_f32_e32 v16, v17, v29
	ds_bpermute_b32 v21, v8, v14
	ds_bpermute_b32 v22, v8, v15
	s_wait_dscnt 0x2
	v_add_f32_e32 v17, v10, v23
	ds_bpermute_b32 v10, v8, v9
	ds_bpermute_b32 v23, v8, v16
	;; [unrolled: 1-line block ×3, first 2 shown]
	s_wait_dscnt 0x2
	v_add_f32_e32 v8, v9, v10
	v_add_f32_e32 v9, v11, v18
	;; [unrolled: 1-line block ×3, first 2 shown]
	v_dual_add_f32 v13, v15, v22 :: v_dual_add_f32 v10, v12, v19
	s_wait_dscnt 0x0
	v_dual_add_f32 v15, v17, v26 :: v_dual_add_f32 v12, v14, v21
	v_add_f32_e32 v14, v16, v23
	s_wait_alu 0xfffe
	s_cbranch_vccz .LBB0_14
; %bb.12:
	s_ashr_i32 s37, s36, 31
	v_dual_mov_b32 v16, 0 :: v_dual_max_num_f32 v17, v1, v1
	s_lshl_b64 s[2:3], s[36:37], 2
	v_dual_max_num_f32 v18, v2, v2 :: v_dual_max_num_f32 v21, v5, v5
	s_wait_alu 0xfffe
	s_add_nc_u64 s[2:3], s[20:21], s[2:3]
	s_clause 0x1
	global_load_b128 v[29:32], v16, s[2:3]
	global_load_b128 v[33:36], v16, s[2:3] offset:16
	v_dual_max_num_f32 v16, v0, v0 :: v_dual_max_num_f32 v19, v3, v3
	v_dual_max_num_f32 v20, v4, v4 :: v_dual_max_num_f32 v23, v7, v7
	s_wait_loadcnt 0x1
	v_dual_max_num_f32 v22, v6, v6 :: v_dual_max_num_f32 v37, v31, v31
	v_dual_max_num_f32 v26, v29, v29 :: v_dual_max_num_f32 v27, v30, v30
	s_wait_loadcnt 0x0
	v_dual_max_num_f32 v38, v32, v32 :: v_dual_max_num_f32 v39, v33, v33
	v_dual_max_num_f32 v40, v34, v34 :: v_dual_max_num_f32 v41, v35, v35
	s_delay_alu instid0(VALU_DEP_3) | instskip(NEXT) | instid1(VALU_DEP_2)
	v_dual_max_num_f32 v42, v36, v36 :: v_dual_max_num_f32 v17, v17, v27
	v_dual_max_num_f32 v16, v16, v26 :: v_dual_max_num_f32 v21, v21, v40
	s_delay_alu instid0(VALU_DEP_4) | instskip(NEXT) | instid1(VALU_DEP_3)
	v_dual_max_num_f32 v18, v18, v37 :: v_dual_max_num_f32 v19, v19, v38
	v_dual_max_num_f32 v20, v20, v39 :: v_dual_max_num_f32 v23, v23, v42
	s_delay_alu instid0(VALU_DEP_3) | instskip(SKIP_1) | instid1(VALU_DEP_4)
	v_dual_max_num_f32 v22, v22, v41 :: v_dual_sub_f32 v27, v29, v16
	v_dual_sub_f32 v26, v0, v16 :: v_dual_sub_f32 v29, v1, v17
	v_dual_sub_f32 v37, v2, v18 :: v_dual_sub_f32 v38, v3, v19
	s_delay_alu instid0(VALU_DEP_4) | instskip(NEXT) | instid1(VALU_DEP_4)
	v_dual_sub_f32 v39, v4, v20 :: v_dual_sub_f32 v40, v5, v21
	v_dual_sub_f32 v41, v6, v22 :: v_dual_sub_f32 v42, v7, v23
	v_dual_mov_b32 v0, v16 :: v_dual_mov_b32 v3, v19
	v_dual_sub_f32 v30, v30, v17 :: v_dual_sub_f32 v31, v31, v18
	v_dual_sub_f32 v36, v36, v23 :: v_dual_mov_b32 v1, v17
	v_dual_mov_b32 v2, v18 :: v_dual_mov_b32 v5, v21
	v_dual_mov_b32 v4, v20 :: v_dual_mov_b32 v7, v23
	v_dual_mov_b32 v6, v22 :: v_dual_mul_f32 v17, 0x3fb8aa3b, v27
	v_mul_f32_e32 v16, 0x3fb8aa3b, v26
	v_dual_sub_f32 v32, v32, v19 :: v_dual_sub_f32 v33, v33, v20
	v_dual_sub_f32 v34, v34, v21 :: v_dual_sub_f32 v35, v35, v22
	v_dual_mul_f32 v18, 0x3fb8aa3b, v29 :: v_dual_mul_f32 v19, 0x3fb8aa3b, v30
	v_mul_f32_e32 v21, 0x3fb8aa3b, v31
	v_fma_f32 v51, 0x3fb8aa3b, v26, -v16
	v_rndne_f32_e32 v68, v16
	v_fma_f32 v69, 0x3fb8aa3b, v27, -v17
	v_rndne_f32_e32 v74, v19
	v_rndne_f32_e32 v70, v17
	s_delay_alu instid0(VALU_DEP_4) | instskip(SKIP_1) | instid1(VALU_DEP_4)
	v_dual_fmac_f32 v51, 0x32a5705f, v26 :: v_dual_sub_f32 v16, v16, v68
	v_fma_f32 v73, 0x3fb8aa3b, v30, -v19
	v_dual_sub_f32 v19, v19, v74 :: v_dual_mul_f32 v20, 0x3fb8aa3b, v37
	s_delay_alu instid0(VALU_DEP_3)
	v_dual_mul_f32 v23, 0x3fb8aa3b, v32 :: v_dual_add_f32 v16, v16, v51
	v_dual_mul_f32 v50, 0x3fb8aa3b, v36 :: v_dual_sub_f32 v17, v17, v70
	v_fma_f32 v71, 0x3fb8aa3b, v29, -v18
	v_rndne_f32_e32 v72, v18
	v_fmac_f32_e32 v69, 0x32a5705f, v27
	v_exp_f32_e32 v16, v16
	v_dual_mul_f32 v22, 0x3fb8aa3b, v38 :: v_dual_mul_f32 v43, 0x3fb8aa3b, v39
	v_dual_mul_f32 v44, 0x3fb8aa3b, v33 :: v_dual_mul_f32 v45, 0x3fb8aa3b, v40
	v_rndne_f32_e32 v76, v20
	v_rndne_f32_e32 v78, v21
	v_cvt_i32_f32_e32 v68, v68
	v_dual_fmac_f32 v71, 0x32a5705f, v29 :: v_dual_sub_f32 v18, v18, v72
	v_add_f32_e32 v17, v17, v69
	v_fma_f32 v75, 0x3fb8aa3b, v37, -v20
	v_fma_f32 v77, 0x3fb8aa3b, v31, -v21
	v_rndne_f32_e32 v80, v22
	v_fma_f32 v85, 0x3fb8aa3b, v33, -v44
	v_dual_fmac_f32 v73, 0x32a5705f, v30 :: v_dual_sub_f32 v20, v20, v76
	v_dual_sub_f32 v21, v21, v78 :: v_dual_add_f32 v18, v18, v71
	v_exp_f32_e32 v17, v17
	v_ldexp_f32 v16, v16, v68
	v_cmp_ngt_f32_e32 vcc_lo, 0xc2ce8ed0, v26
	v_dual_mul_f32 v46, 0x3fb8aa3b, v34 :: v_dual_mul_f32 v47, 0x3fb8aa3b, v41
	v_fma_f32 v79, 0x3fb8aa3b, v38, -v22
	v_rndne_f32_e32 v86, v44
	v_cvt_i32_f32_e32 v70, v70
	v_dual_fmac_f32 v75, 0x32a5705f, v37 :: v_dual_sub_f32 v22, v22, v80
	s_wait_alu 0xfffd
	v_dual_fmac_f32 v85, 0x32a5705f, v33 :: v_dual_cndmask_b32 v16, 0, v16
	v_add_f32_e32 v19, v19, v73
	v_exp_f32_e32 v18, v18
	v_rndne_f32_e32 v90, v46
	v_cvt_i32_f32_e32 v72, v72
	v_dual_fmac_f32 v77, 0x32a5705f, v31 :: v_dual_sub_f32 v44, v44, v86
	v_dual_fmac_f32 v79, 0x32a5705f, v38 :: v_dual_add_f32 v20, v20, v75
	v_exp_f32_e32 v19, v19
	v_ldexp_f32 v17, v17, v70
	v_cmp_ngt_f32_e32 vcc_lo, 0xc2ce8ed0, v27
	v_dual_mul_f32 v48, 0x3fb8aa3b, v35 :: v_dual_mul_f32 v49, 0x3fb8aa3b, v42
	v_fma_f32 v81, 0x3fb8aa3b, v32, -v23
	v_rndne_f32_e32 v82, v23
	v_fma_f32 v89, 0x3fb8aa3b, v34, -v46
	v_fma_f32 v91, 0x3fb8aa3b, v41, -v47
	v_cvt_i32_f32_e32 v74, v74
	v_dual_sub_f32 v46, v46, v90 :: v_dual_add_f32 v21, v21, v77
	v_exp_f32_e32 v20, v20
	v_ldexp_f32 v18, v18, v72
	s_wait_alu 0xfffd
	v_cndmask_b32_e32 v17, 0, v17, vcc_lo
	v_cmp_ngt_f32_e32 vcc_lo, 0xc2ce8ed0, v29
	v_fma_f32 v83, 0x3fb8aa3b, v39, -v43
	v_rndne_f32_e32 v84, v43
	v_rndne_f32_e32 v94, v48
	v_cvt_i32_f32_e32 v76, v76
	v_fmac_f32_e32 v81, 0x32a5705f, v32
	v_dual_sub_f32 v23, v23, v82 :: v_dual_add_f32 v22, v22, v79
	s_wait_alu 0xfffd
	v_dual_fmac_f32 v91, 0x32a5705f, v41 :: v_dual_cndmask_b32 v18, 0, v18
	v_exp_f32_e32 v21, v21
	v_ldexp_f32 v19, v19, v74
	v_cmp_ngt_f32_e32 vcc_lo, 0xc2ce8ed0, v30
	v_fma_f32 v93, 0x3fb8aa3b, v35, -v48
	v_fma_f32 v97, 0x3fb8aa3b, v36, -v50
	v_rndne_f32_e32 v98, v50
	v_cvt_i32_f32_e32 v78, v78
	v_fmac_f32_e32 v83, 0x32a5705f, v39
	v_dual_sub_f32 v43, v43, v84 :: v_dual_add_f32 v44, v44, v85
	v_dual_sub_f32 v48, v48, v94 :: v_dual_add_f32 v23, v23, v81
	v_exp_f32_e32 v22, v22
	v_ldexp_f32 v20, v20, v76
	s_wait_alu 0xfffd
	v_cndmask_b32_e32 v19, 0, v19, vcc_lo
	v_cmp_ngt_f32_e32 vcc_lo, 0xc2ce8ed0, v37
	v_fma_f32 v87, 0x3fb8aa3b, v40, -v45
	v_rndne_f32_e32 v88, v45
	v_cvt_i32_f32_e32 v80, v80
	s_wait_alu 0xfffd
	v_dual_fmac_f32 v93, 0x32a5705f, v35 :: v_dual_cndmask_b32 v20, 0, v20
	v_dual_fmac_f32 v97, 0x32a5705f, v36 :: v_dual_sub_f32 v50, v50, v98
	v_add_f32_e32 v43, v43, v83
	v_exp_f32_e32 v23, v23
	v_ldexp_f32 v21, v21, v78
	v_cmp_ngt_f32_e32 vcc_lo, 0xc2ce8ed0, v31
	v_rndne_f32_e32 v92, v47
	v_cvt_i32_f32_e32 v82, v82
	v_dual_sub_f32 v45, v45, v88 :: v_dual_add_f32 v48, v48, v93
	v_dual_fmac_f32 v89, 0x32a5705f, v34 :: v_dual_add_f32 v50, v50, v97
	v_fmac_f32_e32 v87, 0x32a5705f, v40
	v_exp_f32_e32 v43, v43
	v_ldexp_f32 v22, v22, v80
	s_wait_alu 0xfffd
	v_cndmask_b32_e32 v21, 0, v21, vcc_lo
	v_cmp_ngt_f32_e32 vcc_lo, 0xc2ce8ed0, v38
	v_cvt_i32_f32_e32 v84, v84
	v_dual_sub_f32 v47, v47, v92 :: v_dual_add_f32 v46, v46, v89
	v_add_f32_e32 v45, v45, v87
	v_exp_f32_e32 v44, v44
	v_ldexp_f32 v23, v23, v82
	s_wait_alu 0xfffd
	v_cndmask_b32_e32 v22, 0, v22, vcc_lo
	v_cmp_ngt_f32_e32 vcc_lo, 0xc2ce8ed0, v32
	v_cvt_i32_f32_e32 v86, v86
	v_exp_f32_e32 v45, v45
	v_ldexp_f32 v43, v43, v84
	v_fma_f32 v95, 0x3fb8aa3b, v42, -v49
	s_wait_alu 0xfffd
	v_cndmask_b32_e32 v23, 0, v23, vcc_lo
	v_cmp_ngt_f32_e32 vcc_lo, 0xc2ce8ed0, v39
	v_cvt_i32_f32_e32 v88, v88
	v_ldexp_f32 v44, v44, v86
	v_exp_f32_e32 v46, v46
	v_cvt_i32_f32_e32 v90, v90
	s_wait_alu 0xfffd
	v_cndmask_b32_e32 v43, 0, v43, vcc_lo
	v_cmp_ngt_f32_e32 vcc_lo, 0xc2ce8ed0, v33
	v_fmac_f32_e32 v95, 0x32a5705f, v42
	v_ldexp_f32 v45, v45, v88
	v_rndne_f32_e32 v96, v49
	v_cvt_i32_f32_e32 v92, v92
	s_wait_alu 0xfffd
	v_cndmask_b32_e32 v44, 0, v44, vcc_lo
	v_cmp_ngt_f32_e32 vcc_lo, 0xc2ce8ed0, v40
	v_exp_f32_e32 v48, v48
	v_ldexp_f32 v46, v46, v90
	v_cvt_i32_f32_e32 v94, v94
	v_exp_f32_e32 v50, v50
	s_wait_alu 0xfffd
	v_cndmask_b32_e32 v45, 0, v45, vcc_lo
	v_add_f32_e32 v47, v47, v91
	v_cmp_ngt_f32_e32 vcc_lo, 0xc2ce8ed0, v34
	v_sub_f32_e32 v49, v49, v96
	v_cvt_i32_f32_e32 v96, v96
	v_cvt_i32_f32_e32 v98, v98
	v_exp_f32_e32 v47, v47
	s_wait_alu 0xfffd
	v_cndmask_b32_e32 v46, 0, v46, vcc_lo
	v_cmp_ngt_f32_e32 vcc_lo, 0xc2ce8ed0, v41
	v_ldexp_f32 v48, v48, v94
	v_ldexp_f32 v50, v50, v98
	s_delay_alu instid0(TRANS32_DEP_1) | instskip(SKIP_1) | instid1(VALU_DEP_1)
	v_ldexp_f32 v47, v47, v92
	s_wait_alu 0xfffd
	v_cndmask_b32_e32 v47, 0, v47, vcc_lo
	v_cmp_ngt_f32_e32 vcc_lo, 0xc2ce8ed0, v35
	s_wait_alu 0xfffd
	v_dual_cndmask_b32 v48, 0, v48 :: v_dual_add_f32 v49, v49, v95
	v_cmp_ngt_f32_e32 vcc_lo, 0xc2ce8ed0, v42
	s_delay_alu instid0(VALU_DEP_2) | instskip(NEXT) | instid1(TRANS32_DEP_1)
	v_exp_f32_e32 v49, v49
	v_ldexp_f32 v49, v49, v96
	s_wait_alu 0xfffd
	s_delay_alu instid0(VALU_DEP_1)
	v_cndmask_b32_e32 v49, 0, v49, vcc_lo
	v_cmp_ngt_f32_e32 vcc_lo, 0xc2ce8ed0, v36
	s_wait_alu 0xfffd
	v_cndmask_b32_e32 v50, 0, v50, vcc_lo
	v_cmp_nlt_f32_e32 vcc_lo, 0x42b17218, v26
	s_wait_alu 0xfffd
	v_cndmask_b32_e32 v26, 0x7f800000, v16, vcc_lo
	v_cmp_nlt_f32_e32 vcc_lo, 0x42b17218, v27
	;; [unrolled: 3-line block ×3, first 2 shown]
	s_delay_alu instid0(VALU_DEP_2)
	v_fmac_f32_e32 v16, v8, v26
	s_wait_alu 0xfffd
	v_cndmask_b32_e32 v27, 0x7f800000, v18, vcc_lo
	v_cmp_nlt_f32_e32 vcc_lo, 0x42b17218, v30
	v_cvt_f16_f32_e32 v8, v26
	s_wait_alu 0xfffd
	v_cndmask_b32_e32 v17, 0x7f800000, v19, vcc_lo
	v_cmp_nlt_f32_e32 vcc_lo, 0x42b17218, v37
	s_delay_alu instid0(VALU_DEP_3) | instskip(SKIP_3) | instid1(VALU_DEP_3)
	v_and_b32_e32 v26, 0xffff, v8
	s_wait_alu 0xfffd
	v_dual_mov_b32 v8, v16 :: v_dual_cndmask_b32 v29, 0x7f800000, v20
	v_cmp_nlt_f32_e32 vcc_lo, 0x42b17218, v31
	v_mul_u32_u24_e32 v26, 0x10001, v26
	s_wait_alu 0xfffd
	v_cndmask_b32_e32 v18, 0x7f800000, v21, vcc_lo
	v_cmp_nlt_f32_e32 vcc_lo, 0x42b17218, v38
	s_delay_alu instid0(VALU_DEP_3)
	v_pk_mul_f16 v66, v66, v26
	v_pk_mul_f16 v67, v67, v26
	s_wait_alu 0xfffd
	v_cndmask_b32_e32 v30, 0x7f800000, v22, vcc_lo
	v_cmp_nlt_f32_e32 vcc_lo, 0x42b17218, v32
	s_wait_alu 0xfffd
	v_cndmask_b32_e32 v19, 0x7f800000, v23, vcc_lo
	v_cmp_nlt_f32_e32 vcc_lo, 0x42b17218, v39
	s_delay_alu instid0(VALU_DEP_2)
	v_fmac_f32_e32 v19, v11, v30
	s_wait_alu 0xfffd
	v_cndmask_b32_e32 v31, 0x7f800000, v43, vcc_lo
	v_cmp_nlt_f32_e32 vcc_lo, 0x42b17218, v33
	v_cvt_f16_f32_e32 v11, v30
	s_wait_alu 0xfffd
	v_cndmask_b32_e32 v20, 0x7f800000, v44, vcc_lo
	v_cmp_nlt_f32_e32 vcc_lo, 0x42b17218, v40
	s_delay_alu instid0(VALU_DEP_3) | instskip(NEXT) | instid1(VALU_DEP_3)
	v_dual_mov_b32 v11, v19 :: v_dual_and_b32 v30, 0xffff, v11
	v_fmac_f32_e32 v20, v12, v31
	s_wait_alu 0xfffd
	v_cndmask_b32_e32 v32, 0x7f800000, v45, vcc_lo
	v_cmp_nlt_f32_e32 vcc_lo, 0x42b17218, v34
	v_cvt_f16_f32_e32 v12, v31
	v_mul_u32_u24_e32 v30, 0x10001, v30
	s_wait_alu 0xfffd
	v_cndmask_b32_e32 v21, 0x7f800000, v46, vcc_lo
	v_cmp_nlt_f32_e32 vcc_lo, 0x42b17218, v41
	v_dual_mov_b32 v12, v20 :: v_dual_and_b32 v31, 0xffff, v12
	v_pk_mul_f16 v61, v61, v30
	s_delay_alu instid0(VALU_DEP_4) | instskip(SKIP_1) | instid1(VALU_DEP_4)
	v_fmac_f32_e32 v21, v13, v32
	v_cvt_f16_f32_e32 v13, v32
	v_mul_u32_u24_e32 v31, 0x10001, v31
	v_pk_mul_f16 v60, v60, v30
	s_delay_alu instid0(VALU_DEP_3)
	v_and_b32_e32 v32, 0xffff, v13
	s_wait_alu 0xfffd
	v_cndmask_b32_e32 v33, 0x7f800000, v47, vcc_lo
	v_cmp_nlt_f32_e32 vcc_lo, 0x42b17218, v35
	v_mov_b32_e32 v13, v21
	v_pk_mul_f16 v59, v59, v31
	v_mul_u32_u24_e32 v32, 0x10001, v32
	v_pk_mul_f16 v58, v58, v31
	s_wait_alu 0xfffd
	v_cndmask_b32_e32 v22, 0x7f800000, v48, vcc_lo
	v_cmp_nlt_f32_e32 vcc_lo, 0x42b17218, v42
	v_pk_mul_f16 v57, v57, v32
	v_pk_mul_f16 v56, v56, v32
	s_delay_alu instid0(VALU_DEP_4) | instskip(SKIP_1) | instid1(VALU_DEP_1)
	v_fmac_f32_e32 v22, v14, v33
	v_cvt_f16_f32_e32 v14, v33
	v_dual_mov_b32 v14, v22 :: v_dual_and_b32 v33, 0xffff, v14
	v_fmac_f32_e32 v18, v10, v29
	v_cvt_f16_f32_e32 v10, v29
	s_delay_alu instid0(VALU_DEP_3) | instskip(NEXT) | instid1(VALU_DEP_2)
	v_mul_u32_u24_e32 v33, 0x10001, v33
	v_dual_mov_b32 v10, v18 :: v_dual_and_b32 v29, 0xffff, v10
	s_wait_alu 0xfffd
	v_dual_cndmask_b32 v34, 0x7f800000, v49 :: v_dual_fmac_f32 v17, v9, v27
	v_cmp_nlt_f32_e32 vcc_lo, 0x42b17218, v36
	v_cvt_f16_f32_e32 v9, v27
	v_mul_u32_u24_e32 v29, 0x10001, v29
	v_pk_mul_f16 v55, v55, v33
	v_pk_mul_f16 v54, v54, v33
	s_wait_alu 0xfffd
	v_cndmask_b32_e32 v23, 0x7f800000, v50, vcc_lo
	v_and_b32_e32 v27, 0xffff, v9
	v_mov_b32_e32 v9, v17
	v_pk_mul_f16 v63, v63, v29
	v_pk_mul_f16 v62, v62, v29
	v_fmac_f32_e32 v23, v15, v34
	v_cvt_f16_f32_e32 v15, v34
	v_mul_u32_u24_e32 v27, 0x10001, v27
	s_delay_alu instid0(VALU_DEP_2) | instskip(NEXT) | instid1(VALU_DEP_2)
	v_and_b32_e32 v15, 0xffff, v15
	v_pk_mul_f16 v65, v65, v27
	v_pk_mul_f16 v64, v64, v27
	s_delay_alu instid0(VALU_DEP_3) | instskip(NEXT) | instid1(VALU_DEP_1)
	v_mul_u32_u24_e32 v15, 0x10001, v15
	v_pk_mul_f16 v53, v53, v15
	v_pk_mul_f16 v52, v52, v15
	v_mov_b32_e32 v15, v23
	s_mov_b32 s2, exec_lo
	v_cmpx_gt_i32_e64 s30, v24
	s_cbranch_execnz .LBB0_15
.LBB0_13:
	s_nop 0
	s_sendmsg sendmsg(MSG_DEALLOC_VGPRS)
	s_endpgm
.LBB0_14:
	s_delay_alu instid0(VALU_DEP_1)
	v_dual_mov_b32 v23, v15 :: v_dual_mov_b32 v22, v14
	v_dual_mov_b32 v21, v13 :: v_dual_mov_b32 v20, v12
	;; [unrolled: 1-line block ×4, first 2 shown]
	s_mov_b32 s2, exec_lo
	v_cmpx_gt_i32_e64 s30, v24
	s_cbranch_execz .LBB0_13
.LBB0_15:
	s_load_b32 s1, s[0:1], 0xd4
	v_mov_b32_e32 v29, 1.0
	s_wait_kmcnt 0x0
	s_cmp_lg_u32 s1, 1
	s_cselect_b32 s3, -1, 0
	s_cmp_eq_u32 s1, 1
	s_cselect_b32 s2, -1, 0
	s_wait_alu 0xfffe
	s_and_b32 vcc_lo, exec_lo, s3
	s_wait_alu 0xfffe
	s_cbranch_vccnz .LBB0_17
; %bb.16:
	v_div_scale_f32 v26, null, v8, v8, 1.0
	s_delay_alu instid0(VALU_DEP_1) | instskip(NEXT) | instid1(TRANS32_DEP_1)
	v_rcp_f32_e32 v27, v26
	v_fma_f32 v29, -v26, v27, 1.0
	s_delay_alu instid0(VALU_DEP_1) | instskip(SKIP_1) | instid1(VALU_DEP_1)
	v_fmac_f32_e32 v27, v29, v27
	v_div_scale_f32 v29, vcc_lo, 1.0, v8, 1.0
	v_mul_f32_e32 v30, v29, v27
	s_delay_alu instid0(VALU_DEP_1) | instskip(NEXT) | instid1(VALU_DEP_1)
	v_fma_f32 v31, -v26, v30, v29
	v_fmac_f32_e32 v30, v31, v27
	s_delay_alu instid0(VALU_DEP_1) | instskip(SKIP_1) | instid1(VALU_DEP_1)
	v_fma_f32 v26, -v26, v30, v29
	s_wait_alu 0xfffd
	v_div_fmas_f32 v26, v26, v27, v30
	s_delay_alu instid0(VALU_DEP_1)
	v_div_fixup_f32 v29, v26, v8, 1.0
.LBB0_17:
	v_mad_co_u64_u32 v[26:27], null, s34, s30, v[24:25]
	v_cmp_eq_u32_e32 vcc_lo, 0, v25
	v_cvt_f32_f16_e32 v30, v66
	v_mov_b32_e32 v25, 0
	v_lshrrev_b32_e32 v8, 16, v66
	v_cvt_f32_f16_e32 v31, v67
	s_delay_alu instid0(VALU_DEP_4) | instskip(SKIP_1) | instid1(VALU_DEP_4)
	v_mul_f32_e32 v30, v29, v30
	v_mad_co_u64_u32 v[26:27], null, v26, s31, s[36:37]
	v_cvt_f32_f16_e32 v8, v8
	s_delay_alu instid0(VALU_DEP_4) | instskip(NEXT) | instid1(VALU_DEP_2)
	v_mul_f32_e32 v32, v29, v31
	v_mul_f32_e32 v31, v29, v8
	s_delay_alu instid0(VALU_DEP_4) | instskip(SKIP_1) | instid1(VALU_DEP_1)
	v_mad_co_u64_u32 v[26:27], null, s1, v26, s[18:19]
	v_lshrrev_b32_e32 v27, 16, v67
	v_cvt_f32_f16_e32 v27, v27
	s_delay_alu instid0(VALU_DEP_3) | instskip(NEXT) | instid1(VALU_DEP_2)
	v_lshl_add_u32 v24, v26, 7, v28
	v_mul_f32_e32 v33, v29, v27
	s_delay_alu instid0(VALU_DEP_2) | instskip(NEXT) | instid1(VALU_DEP_1)
	v_lshlrev_b64_e32 v[24:25], 2, v[24:25]
	v_add_co_u32 v24, s0, s24, v24
	s_wait_alu 0xf1ff
	s_delay_alu instid0(VALU_DEP_2)
	v_add_co_ci_u32_e64 v25, null, s25, v25, s0
	s_and_b32 s0, vcc_lo, s3
	global_store_b128 v[24:25], v[30:33], off
	s_wait_alu 0xfffe
	s_and_saveexec_b32 s3, s0
	s_cbranch_execz .LBB0_19
; %bb.18:
	v_ashrrev_i32_e32 v27, 31, v26
	v_dual_mov_b32 v29, v0 :: v_dual_mov_b32 v30, v16
	s_delay_alu instid0(VALU_DEP_2) | instskip(NEXT) | instid1(VALU_DEP_1)
	v_lshlrev_b64_e32 v[24:25], 3, v[26:27]
	v_add_co_u32 v24, vcc_lo, s26, v24
	s_wait_alu 0xfffd
	s_delay_alu instid0(VALU_DEP_2)
	v_add_co_ci_u32_e64 v25, null, s27, v25, vcc_lo
	global_store_b64 v[24:25], v[29:30], off
.LBB0_19:
	s_wait_alu 0xfffe
	s_or_b32 exec_lo, exec_lo, s3
	v_cndmask_b32_e64 v24, 0, 1, s2
	v_mov_b32_e32 v0, 1.0
	s_and_not1_b32 vcc_lo, exec_lo, s2
	s_wait_alu 0xfffe
	s_cbranch_vccnz .LBB0_21
; %bb.20:
	v_div_scale_f32 v0, null, v9, v9, 1.0
	s_delay_alu instid0(VALU_DEP_1) | instskip(NEXT) | instid1(TRANS32_DEP_1)
	v_rcp_f32_e32 v8, v0
	v_fma_f32 v16, -v0, v8, 1.0
	s_delay_alu instid0(VALU_DEP_1) | instskip(SKIP_1) | instid1(VALU_DEP_1)
	v_fmac_f32_e32 v8, v16, v8
	v_div_scale_f32 v16, vcc_lo, 1.0, v9, 1.0
	v_mul_f32_e32 v25, v16, v8
	s_delay_alu instid0(VALU_DEP_1) | instskip(NEXT) | instid1(VALU_DEP_1)
	v_fma_f32 v27, -v0, v25, v16
	v_fmac_f32_e32 v25, v27, v8
	s_delay_alu instid0(VALU_DEP_1) | instskip(SKIP_1) | instid1(VALU_DEP_1)
	v_fma_f32 v0, -v0, v25, v16
	s_wait_alu 0xfffd
	v_div_fmas_f32 v0, v0, v8, v25
	s_delay_alu instid0(VALU_DEP_1)
	v_div_fixup_f32 v0, v0, v9, 1.0
.LBB0_21:
	v_cvt_f32_f16_e32 v27, v65
	v_add_nc_u32_e32 v8, s1, v26
	v_cvt_f32_f16_e32 v30, v64
	v_mov_b32_e32 v26, 0
	v_lshrrev_b32_e32 v9, 16, v65
	v_mul_f32_e32 v29, v0, v27
	v_lshl_add_u32 v25, v8, 7, v28
	v_lshrrev_b32_e32 v16, 16, v64
	v_mul_f32_e32 v31, v0, v30
	v_cvt_f32_f16_e32 v9, v9
	s_delay_alu instid0(VALU_DEP_4) | instskip(NEXT) | instid1(VALU_DEP_4)
	v_lshlrev_b64_e32 v[25:26], 2, v[25:26]
	v_cvt_f32_f16_e32 v16, v16
	s_delay_alu instid0(VALU_DEP_3) | instskip(NEXT) | instid1(VALU_DEP_2)
	v_mul_f32_e32 v30, v0, v9
	v_mul_f32_e32 v32, v0, v16
	s_delay_alu instid0(VALU_DEP_4)
	v_add_co_u32 v25, vcc_lo, s24, v25
	s_wait_alu 0xfffd
	v_add_co_ci_u32_e64 v26, null, s25, v26, vcc_lo
	global_store_b128 v[25:26], v[29:32], off
	s_and_saveexec_b32 s2, s0
	s_cbranch_execz .LBB0_23
; %bb.22:
	v_ashrrev_i32_e32 v9, 31, v8
	v_mov_b32_e32 v16, v1
	s_delay_alu instid0(VALU_DEP_2) | instskip(NEXT) | instid1(VALU_DEP_1)
	v_lshlrev_b64_e32 v[25:26], 3, v[8:9]
	v_add_co_u32 v25, vcc_lo, s26, v25
	s_wait_alu 0xfffd
	s_delay_alu instid0(VALU_DEP_2)
	v_add_co_ci_u32_e64 v26, null, s27, v26, vcc_lo
	global_store_b64 v[25:26], v[16:17], off
.LBB0_23:
	s_wait_alu 0xfffe
	s_or_b32 exec_lo, exec_lo, s2
	v_cmp_ne_u32_e32 vcc_lo, 1, v24
	v_mov_b32_e32 v1, 1.0
	s_cbranch_vccnz .LBB0_25
; %bb.24:
	v_div_scale_f32 v0, null, v10, v10, 1.0
	s_delay_alu instid0(VALU_DEP_1) | instskip(NEXT) | instid1(TRANS32_DEP_1)
	v_rcp_f32_e32 v1, v0
	v_fma_f32 v9, -v0, v1, 1.0
	s_delay_alu instid0(VALU_DEP_1) | instskip(SKIP_1) | instid1(VALU_DEP_1)
	v_fmac_f32_e32 v1, v9, v1
	v_div_scale_f32 v9, vcc_lo, 1.0, v10, 1.0
	v_mul_f32_e32 v16, v9, v1
	s_delay_alu instid0(VALU_DEP_1) | instskip(NEXT) | instid1(VALU_DEP_1)
	v_fma_f32 v17, -v0, v16, v9
	v_fmac_f32_e32 v16, v17, v1
	s_delay_alu instid0(VALU_DEP_1) | instskip(SKIP_1) | instid1(VALU_DEP_1)
	v_fma_f32 v0, -v0, v16, v9
	s_wait_alu 0xfffd
	v_div_fmas_f32 v0, v0, v1, v16
	s_delay_alu instid0(VALU_DEP_1)
	v_div_fixup_f32 v1, v0, v10, 1.0
.LBB0_25:
	v_dual_mov_b32 v9, 0 :: v_dual_add_nc_u32 v0, s1, v8
	v_lshrrev_b32_e32 v10, 16, v63
	v_lshrrev_b32_e32 v16, 16, v62
	v_cvt_f32_f16_e32 v17, v63
	s_delay_alu instid0(VALU_DEP_4)
	v_lshl_add_u32 v8, v0, 7, v28
	v_cvt_f32_f16_e32 v25, v62
	v_cvt_f32_f16_e32 v10, v10
	;; [unrolled: 1-line block ×3, first 2 shown]
	v_mul_f32_e32 v29, v1, v17
	v_lshlrev_b64_e32 v[8:9], 2, v[8:9]
	v_mul_f32_e32 v31, v1, v25
	v_mul_f32_e32 v30, v1, v10
	;; [unrolled: 1-line block ×3, first 2 shown]
	s_delay_alu instid0(VALU_DEP_4)
	v_add_co_u32 v8, vcc_lo, s24, v8
	s_wait_alu 0xfffd
	v_add_co_ci_u32_e64 v9, null, s25, v9, vcc_lo
	global_store_b128 v[8:9], v[29:32], off
	s_and_saveexec_b32 s2, s0
	s_cbranch_execz .LBB0_27
; %bb.26:
	v_ashrrev_i32_e32 v1, 31, v0
	v_mov_b32_e32 v17, v2
	s_delay_alu instid0(VALU_DEP_2) | instskip(NEXT) | instid1(VALU_DEP_1)
	v_lshlrev_b64_e32 v[8:9], 3, v[0:1]
	v_add_co_u32 v8, vcc_lo, s26, v8
	s_wait_alu 0xfffd
	s_delay_alu instid0(VALU_DEP_2)
	v_add_co_ci_u32_e64 v9, null, s27, v9, vcc_lo
	global_store_b64 v[8:9], v[17:18], off
.LBB0_27:
	s_wait_alu 0xfffe
	s_or_b32 exec_lo, exec_lo, s2
	v_cmp_ne_u32_e32 vcc_lo, 1, v24
	v_mov_b32_e32 v1, 1.0
	s_cbranch_vccnz .LBB0_29
; %bb.28:
	v_div_scale_f32 v1, null, v11, v11, 1.0
	s_delay_alu instid0(VALU_DEP_1) | instskip(NEXT) | instid1(TRANS32_DEP_1)
	v_rcp_f32_e32 v2, v1
	v_fma_f32 v8, -v1, v2, 1.0
	s_delay_alu instid0(VALU_DEP_1) | instskip(SKIP_1) | instid1(VALU_DEP_1)
	v_fmac_f32_e32 v2, v8, v2
	v_div_scale_f32 v8, vcc_lo, 1.0, v11, 1.0
	v_mul_f32_e32 v9, v8, v2
	s_delay_alu instid0(VALU_DEP_1) | instskip(NEXT) | instid1(VALU_DEP_1)
	v_fma_f32 v10, -v1, v9, v8
	v_fmac_f32_e32 v9, v10, v2
	s_delay_alu instid0(VALU_DEP_1) | instskip(SKIP_1) | instid1(VALU_DEP_1)
	v_fma_f32 v1, -v1, v9, v8
	s_wait_alu 0xfffd
	v_div_fmas_f32 v1, v1, v2, v9
	s_delay_alu instid0(VALU_DEP_1)
	v_div_fixup_f32 v1, v1, v11, 1.0
.LBB0_29:
	v_dual_mov_b32 v9, 0 :: v_dual_add_nc_u32 v0, s1, v0
	v_lshrrev_b32_e32 v2, 16, v61
	v_lshrrev_b32_e32 v10, 16, v60
	v_cvt_f32_f16_e32 v11, v61
	s_delay_alu instid0(VALU_DEP_4) | instskip(SKIP_3) | instid1(VALU_DEP_4)
	v_lshl_add_u32 v8, v0, 7, v28
	v_cvt_f32_f16_e32 v18, v60
	v_cvt_f32_f16_e32 v2, v2
	v_cvt_f32_f16_e32 v25, v10
	v_lshlrev_b64_e32 v[16:17], 2, v[8:9]
	v_mul_f32_e32 v8, v1, v11
	v_mul_f32_e32 v10, v1, v18
	v_mul_f32_e32 v9, v1, v2
	v_mul_f32_e32 v11, v1, v25
	v_add_co_u32 v1, vcc_lo, s24, v16
	s_wait_alu 0xfffd
	v_add_co_ci_u32_e64 v2, null, s25, v17, vcc_lo
	global_store_b128 v[1:2], v[8:11], off
	s_and_saveexec_b32 s2, s0
	s_cbranch_execz .LBB0_31
; %bb.30:
	v_ashrrev_i32_e32 v1, 31, v0
	v_mov_b32_e32 v18, v3
	s_delay_alu instid0(VALU_DEP_2) | instskip(NEXT) | instid1(VALU_DEP_1)
	v_lshlrev_b64_e32 v[1:2], 3, v[0:1]
	v_add_co_u32 v1, vcc_lo, s26, v1
	s_wait_alu 0xfffd
	s_delay_alu instid0(VALU_DEP_2)
	v_add_co_ci_u32_e64 v2, null, s27, v2, vcc_lo
	global_store_b64 v[1:2], v[18:19], off
.LBB0_31:
	s_wait_alu 0xfffe
	s_or_b32 exec_lo, exec_lo, s2
	v_cmp_ne_u32_e32 vcc_lo, 1, v24
	v_mov_b32_e32 v1, 1.0
	s_cbranch_vccnz .LBB0_33
; %bb.32:
	v_div_scale_f32 v1, null, v12, v12, 1.0
	s_delay_alu instid0(VALU_DEP_1) | instskip(NEXT) | instid1(TRANS32_DEP_1)
	v_rcp_f32_e32 v2, v1
	v_fma_f32 v3, -v1, v2, 1.0
	s_delay_alu instid0(VALU_DEP_1) | instskip(SKIP_1) | instid1(VALU_DEP_1)
	v_fmac_f32_e32 v2, v3, v2
	v_div_scale_f32 v3, vcc_lo, 1.0, v12, 1.0
	v_mul_f32_e32 v8, v3, v2
	s_delay_alu instid0(VALU_DEP_1) | instskip(NEXT) | instid1(VALU_DEP_1)
	v_fma_f32 v9, -v1, v8, v3
	v_fmac_f32_e32 v8, v9, v2
	s_delay_alu instid0(VALU_DEP_1) | instskip(SKIP_1) | instid1(VALU_DEP_1)
	v_fma_f32 v1, -v1, v8, v3
	s_wait_alu 0xfffd
	v_div_fmas_f32 v1, v1, v2, v8
	s_delay_alu instid0(VALU_DEP_1)
	v_div_fixup_f32 v1, v1, v12, 1.0
.LBB0_33:
	v_dual_mov_b32 v3, 0 :: v_dual_add_nc_u32 v0, s1, v0
	v_lshrrev_b32_e32 v8, 16, v59
	v_lshrrev_b32_e32 v9, 16, v58
	v_cvt_f32_f16_e32 v10, v59
	s_delay_alu instid0(VALU_DEP_4)
	v_lshl_add_u32 v2, v0, 7, v28
	v_cvt_f32_f16_e32 v11, v58
	v_cvt_f32_f16_e32 v12, v8
	;; [unrolled: 1-line block ×3, first 2 shown]
	v_mul_f32_e32 v8, v1, v10
	v_lshlrev_b64_e32 v[2:3], 2, v[2:3]
	v_mul_f32_e32 v10, v1, v11
	v_mul_f32_e32 v9, v1, v12
	;; [unrolled: 1-line block ×3, first 2 shown]
	s_delay_alu instid0(VALU_DEP_4)
	v_add_co_u32 v1, vcc_lo, s24, v2
	s_wait_alu 0xfffd
	v_add_co_ci_u32_e64 v2, null, s25, v3, vcc_lo
	global_store_b128 v[1:2], v[8:11], off
	s_and_saveexec_b32 s2, s0
	s_cbranch_execz .LBB0_35
; %bb.34:
	v_ashrrev_i32_e32 v1, 31, v0
	v_mov_b32_e32 v19, v4
	s_delay_alu instid0(VALU_DEP_2) | instskip(NEXT) | instid1(VALU_DEP_1)
	v_lshlrev_b64_e32 v[1:2], 3, v[0:1]
	v_add_co_u32 v1, vcc_lo, s26, v1
	s_wait_alu 0xfffd
	s_delay_alu instid0(VALU_DEP_2)
	v_add_co_ci_u32_e64 v2, null, s27, v2, vcc_lo
	global_store_b64 v[1:2], v[19:20], off
.LBB0_35:
	s_wait_alu 0xfffe
	s_or_b32 exec_lo, exec_lo, s2
	v_cmp_ne_u32_e32 vcc_lo, 1, v24
	v_mov_b32_e32 v1, 1.0
	s_cbranch_vccnz .LBB0_37
; %bb.36:
	v_div_scale_f32 v1, null, v13, v13, 1.0
	s_delay_alu instid0(VALU_DEP_1) | instskip(NEXT) | instid1(TRANS32_DEP_1)
	v_rcp_f32_e32 v2, v1
	v_fma_f32 v3, -v1, v2, 1.0
	s_delay_alu instid0(VALU_DEP_1) | instskip(SKIP_1) | instid1(VALU_DEP_1)
	v_fmac_f32_e32 v2, v3, v2
	v_div_scale_f32 v3, vcc_lo, 1.0, v13, 1.0
	v_mul_f32_e32 v4, v3, v2
	s_delay_alu instid0(VALU_DEP_1) | instskip(NEXT) | instid1(VALU_DEP_1)
	v_fma_f32 v8, -v1, v4, v3
	v_fmac_f32_e32 v4, v8, v2
	s_delay_alu instid0(VALU_DEP_1) | instskip(SKIP_1) | instid1(VALU_DEP_1)
	v_fma_f32 v1, -v1, v4, v3
	s_wait_alu 0xfffd
	v_div_fmas_f32 v1, v1, v2, v4
	s_delay_alu instid0(VALU_DEP_1)
	v_div_fixup_f32 v1, v1, v13, 1.0
.LBB0_37:
	v_dual_mov_b32 v3, 0 :: v_dual_add_nc_u32 v0, s1, v0
	v_lshrrev_b32_e32 v4, 16, v57
	v_lshrrev_b32_e32 v8, 16, v56
	v_cvt_f32_f16_e32 v9, v57
	s_delay_alu instid0(VALU_DEP_4)
	v_lshl_add_u32 v2, v0, 7, v28
	v_cvt_f32_f16_e32 v10, v56
	v_cvt_f32_f16_e32 v4, v4
	;; [unrolled: 1-line block ×3, first 2 shown]
	v_mul_f32_e32 v8, v1, v9
	v_lshlrev_b64_e32 v[2:3], 2, v[2:3]
	v_mul_f32_e32 v10, v1, v10
	v_mul_f32_e32 v9, v1, v4
	;; [unrolled: 1-line block ×3, first 2 shown]
	s_delay_alu instid0(VALU_DEP_4)
	v_add_co_u32 v1, vcc_lo, s24, v2
	s_wait_alu 0xfffd
	v_add_co_ci_u32_e64 v2, null, s25, v3, vcc_lo
	global_store_b128 v[1:2], v[8:11], off
	s_and_saveexec_b32 s2, s0
	s_cbranch_execz .LBB0_39
; %bb.38:
	v_ashrrev_i32_e32 v1, 31, v0
	v_mov_b32_e32 v20, v5
	s_delay_alu instid0(VALU_DEP_2) | instskip(NEXT) | instid1(VALU_DEP_1)
	v_lshlrev_b64_e32 v[1:2], 3, v[0:1]
	v_add_co_u32 v1, vcc_lo, s26, v1
	s_wait_alu 0xfffd
	s_delay_alu instid0(VALU_DEP_2)
	v_add_co_ci_u32_e64 v2, null, s27, v2, vcc_lo
	global_store_b64 v[1:2], v[20:21], off
.LBB0_39:
	s_wait_alu 0xfffe
	s_or_b32 exec_lo, exec_lo, s2
	v_cmp_ne_u32_e32 vcc_lo, 1, v24
	v_mov_b32_e32 v1, 1.0
	s_cbranch_vccnz .LBB0_41
; %bb.40:
	v_div_scale_f32 v1, null, v14, v14, 1.0
	s_delay_alu instid0(VALU_DEP_1) | instskip(NEXT) | instid1(TRANS32_DEP_1)
	v_rcp_f32_e32 v2, v1
	v_fma_f32 v3, -v1, v2, 1.0
	s_delay_alu instid0(VALU_DEP_1) | instskip(SKIP_1) | instid1(VALU_DEP_1)
	v_fmac_f32_e32 v2, v3, v2
	v_div_scale_f32 v3, vcc_lo, 1.0, v14, 1.0
	v_mul_f32_e32 v4, v3, v2
	s_delay_alu instid0(VALU_DEP_1) | instskip(NEXT) | instid1(VALU_DEP_1)
	v_fma_f32 v5, -v1, v4, v3
	v_fmac_f32_e32 v4, v5, v2
	s_delay_alu instid0(VALU_DEP_1) | instskip(SKIP_1) | instid1(VALU_DEP_1)
	v_fma_f32 v1, -v1, v4, v3
	s_wait_alu 0xfffd
	v_div_fmas_f32 v1, v1, v2, v4
	s_delay_alu instid0(VALU_DEP_1)
	v_div_fixup_f32 v1, v1, v14, 1.0
.LBB0_41:
	v_dual_mov_b32 v3, 0 :: v_dual_add_nc_u32 v0, s1, v0
	v_lshrrev_b32_e32 v4, 16, v55
	v_lshrrev_b32_e32 v5, 16, v54
	v_cvt_f32_f16_e32 v10, v55
	s_delay_alu instid0(VALU_DEP_4) | instskip(SKIP_3) | instid1(VALU_DEP_4)
	v_lshl_add_u32 v2, v0, 7, v28
	v_cvt_f32_f16_e32 v11, v54
	v_cvt_f32_f16_e32 v12, v4
	;; [unrolled: 1-line block ×3, first 2 shown]
	v_lshlrev_b64_e32 v[8:9], 2, v[2:3]
	v_mul_f32_e32 v2, v1, v10
	v_mul_f32_e32 v4, v1, v11
	;; [unrolled: 1-line block ×4, first 2 shown]
	v_add_co_u32 v8, vcc_lo, s24, v8
	s_wait_alu 0xfffd
	v_add_co_ci_u32_e64 v9, null, s25, v9, vcc_lo
	global_store_b128 v[8:9], v[2:5], off
	s_and_saveexec_b32 s2, s0
	s_cbranch_execz .LBB0_43
; %bb.42:
	v_ashrrev_i32_e32 v1, 31, v0
	v_mov_b32_e32 v21, v6
	s_delay_alu instid0(VALU_DEP_2) | instskip(NEXT) | instid1(VALU_DEP_1)
	v_lshlrev_b64_e32 v[1:2], 3, v[0:1]
	v_add_co_u32 v1, vcc_lo, s26, v1
	s_wait_alu 0xfffd
	s_delay_alu instid0(VALU_DEP_2)
	v_add_co_ci_u32_e64 v2, null, s27, v2, vcc_lo
	global_store_b64 v[1:2], v[21:22], off
.LBB0_43:
	s_wait_alu 0xfffe
	s_or_b32 exec_lo, exec_lo, s2
	v_cmp_ne_u32_e32 vcc_lo, 1, v24
	v_mov_b32_e32 v1, 1.0
	s_cbranch_vccnz .LBB0_45
; %bb.44:
	v_div_scale_f32 v1, null, v15, v15, 1.0
	s_delay_alu instid0(VALU_DEP_1) | instskip(NEXT) | instid1(TRANS32_DEP_1)
	v_rcp_f32_e32 v2, v1
	v_fma_f32 v3, -v1, v2, 1.0
	s_delay_alu instid0(VALU_DEP_1) | instskip(SKIP_1) | instid1(VALU_DEP_1)
	v_fmac_f32_e32 v2, v3, v2
	v_div_scale_f32 v3, vcc_lo, 1.0, v15, 1.0
	v_mul_f32_e32 v4, v3, v2
	s_delay_alu instid0(VALU_DEP_1) | instskip(NEXT) | instid1(VALU_DEP_1)
	v_fma_f32 v5, -v1, v4, v3
	v_fmac_f32_e32 v4, v5, v2
	s_delay_alu instid0(VALU_DEP_1) | instskip(SKIP_1) | instid1(VALU_DEP_1)
	v_fma_f32 v1, -v1, v4, v3
	s_wait_alu 0xfffd
	v_div_fmas_f32 v1, v1, v2, v4
	s_delay_alu instid0(VALU_DEP_1)
	v_div_fixup_f32 v1, v1, v15, 1.0
.LBB0_45:
	v_dual_mov_b32 v3, 0 :: v_dual_add_nc_u32 v0, s1, v0
	v_lshrrev_b32_e32 v4, 16, v53
	v_lshrrev_b32_e32 v5, 16, v52
	v_cvt_f32_f16_e32 v6, v53
	s_delay_alu instid0(VALU_DEP_4) | instskip(SKIP_3) | instid1(VALU_DEP_4)
	v_lshl_add_u32 v2, v0, 7, v28
	v_cvt_f32_f16_e32 v10, v52
	v_cvt_f32_f16_e32 v11, v4
	;; [unrolled: 1-line block ×3, first 2 shown]
	v_lshlrev_b64_e32 v[8:9], 2, v[2:3]
	v_mul_f32_e32 v2, v1, v6
	v_mul_f32_e32 v4, v1, v10
	;; [unrolled: 1-line block ×4, first 2 shown]
	v_add_co_u32 v8, vcc_lo, s24, v8
	s_wait_alu 0xfffd
	v_add_co_ci_u32_e64 v9, null, s25, v9, vcc_lo
	global_store_b128 v[8:9], v[2:5], off
	s_and_b32 exec_lo, exec_lo, s0
	s_cbranch_execz .LBB0_13
; %bb.46:
	v_ashrrev_i32_e32 v1, 31, v0
	v_mov_b32_e32 v22, v7
	s_delay_alu instid0(VALU_DEP_2) | instskip(NEXT) | instid1(VALU_DEP_1)
	v_lshlrev_b64_e32 v[0:1], 3, v[0:1]
	v_add_co_u32 v0, vcc_lo, s26, v0
	s_wait_alu 0xfffd
	s_delay_alu instid0(VALU_DEP_2)
	v_add_co_ci_u32_e64 v1, null, s27, v1, vcc_lo
	global_store_b64 v[0:1], v[22:23], off
	s_nop 0
	s_sendmsg sendmsg(MSG_DEALLOC_VGPRS)
	s_endpgm
	.section	.rodata,"a",@progbits
	.p2align	6, 0x0
	.amdhsa_kernel _ZL15flash_attn_tileILi128ELi128ELi8ELi8ELb0EEvPKcS1_S1_S1_S1_PKiPfP15HIP_vector_typeIfLj2EEffffjfiS5_IjLj3EEiiiiiiiiiiiliiliiiiil
		.amdhsa_group_segment_fixed_size 33792
		.amdhsa_private_segment_fixed_size 0
		.amdhsa_kernarg_size 464
		.amdhsa_user_sgpr_count 2
		.amdhsa_user_sgpr_dispatch_ptr 0
		.amdhsa_user_sgpr_queue_ptr 0
		.amdhsa_user_sgpr_kernarg_segment_ptr 1
		.amdhsa_user_sgpr_dispatch_id 0
		.amdhsa_user_sgpr_private_segment_size 0
		.amdhsa_wavefront_size32 1
		.amdhsa_uses_dynamic_stack 0
		.amdhsa_enable_private_segment 0
		.amdhsa_system_sgpr_workgroup_id_x 1
		.amdhsa_system_sgpr_workgroup_id_y 1
		.amdhsa_system_sgpr_workgroup_id_z 1
		.amdhsa_system_sgpr_workgroup_info 0
		.amdhsa_system_vgpr_workitem_id 1
		.amdhsa_next_free_vgpr 217
		.amdhsa_next_free_sgpr 50
		.amdhsa_reserve_vcc 1
		.amdhsa_float_round_mode_32 0
		.amdhsa_float_round_mode_16_64 0
		.amdhsa_float_denorm_mode_32 3
		.amdhsa_float_denorm_mode_16_64 3
		.amdhsa_fp16_overflow 0
		.amdhsa_workgroup_processor_mode 1
		.amdhsa_memory_ordered 1
		.amdhsa_forward_progress 1
		.amdhsa_inst_pref_size 255
		.amdhsa_round_robin_scheduling 0
		.amdhsa_exception_fp_ieee_invalid_op 0
		.amdhsa_exception_fp_denorm_src 0
		.amdhsa_exception_fp_ieee_div_zero 0
		.amdhsa_exception_fp_ieee_overflow 0
		.amdhsa_exception_fp_ieee_underflow 0
		.amdhsa_exception_fp_ieee_inexact 0
		.amdhsa_exception_int_div_zero 0
	.end_amdhsa_kernel
	.section	.text._ZL15flash_attn_tileILi128ELi128ELi8ELi8ELb0EEvPKcS1_S1_S1_S1_PKiPfP15HIP_vector_typeIfLj2EEffffjfiS5_IjLj3EEiiiiiiiiiiiliiliiiiil,"axG",@progbits,_ZL15flash_attn_tileILi128ELi128ELi8ELi8ELb0EEvPKcS1_S1_S1_S1_PKiPfP15HIP_vector_typeIfLj2EEffffjfiS5_IjLj3EEiiiiiiiiiiiliiliiiiil,comdat
.Lfunc_end0:
	.size	_ZL15flash_attn_tileILi128ELi128ELi8ELi8ELb0EEvPKcS1_S1_S1_S1_PKiPfP15HIP_vector_typeIfLj2EEffffjfiS5_IjLj3EEiiiiiiiiiiiliiliiiiil, .Lfunc_end0-_ZL15flash_attn_tileILi128ELi128ELi8ELi8ELb0EEvPKcS1_S1_S1_S1_PKiPfP15HIP_vector_typeIfLj2EEffffjfiS5_IjLj3EEiiiiiiiiiiiliiliiiiil
                                        ; -- End function
	.set _ZL15flash_attn_tileILi128ELi128ELi8ELi8ELb0EEvPKcS1_S1_S1_S1_PKiPfP15HIP_vector_typeIfLj2EEffffjfiS5_IjLj3EEiiiiiiiiiiiliiliiiiil.num_vgpr, 124
	.set _ZL15flash_attn_tileILi128ELi128ELi8ELi8ELb0EEvPKcS1_S1_S1_S1_PKiPfP15HIP_vector_typeIfLj2EEffffjfiS5_IjLj3EEiiiiiiiiiiiliiliiiiil.num_agpr, 0
	.set _ZL15flash_attn_tileILi128ELi128ELi8ELi8ELb0EEvPKcS1_S1_S1_S1_PKiPfP15HIP_vector_typeIfLj2EEffffjfiS5_IjLj3EEiiiiiiiiiiiliiliiiiil.numbered_sgpr, 50
	.set _ZL15flash_attn_tileILi128ELi128ELi8ELi8ELb0EEvPKcS1_S1_S1_S1_PKiPfP15HIP_vector_typeIfLj2EEffffjfiS5_IjLj3EEiiiiiiiiiiiliiliiiiil.num_named_barrier, 0
	.set _ZL15flash_attn_tileILi128ELi128ELi8ELi8ELb0EEvPKcS1_S1_S1_S1_PKiPfP15HIP_vector_typeIfLj2EEffffjfiS5_IjLj3EEiiiiiiiiiiiliiliiiiil.private_seg_size, 0
	.set _ZL15flash_attn_tileILi128ELi128ELi8ELi8ELb0EEvPKcS1_S1_S1_S1_PKiPfP15HIP_vector_typeIfLj2EEffffjfiS5_IjLj3EEiiiiiiiiiiiliiliiiiil.uses_vcc, 1
	.set _ZL15flash_attn_tileILi128ELi128ELi8ELi8ELb0EEvPKcS1_S1_S1_S1_PKiPfP15HIP_vector_typeIfLj2EEffffjfiS5_IjLj3EEiiiiiiiiiiiliiliiiiil.uses_flat_scratch, 0
	.set _ZL15flash_attn_tileILi128ELi128ELi8ELi8ELb0EEvPKcS1_S1_S1_S1_PKiPfP15HIP_vector_typeIfLj2EEffffjfiS5_IjLj3EEiiiiiiiiiiiliiliiiiil.has_dyn_sized_stack, 0
	.set _ZL15flash_attn_tileILi128ELi128ELi8ELi8ELb0EEvPKcS1_S1_S1_S1_PKiPfP15HIP_vector_typeIfLj2EEffffjfiS5_IjLj3EEiiiiiiiiiiiliiliiiiil.has_recursion, 0
	.set _ZL15flash_attn_tileILi128ELi128ELi8ELi8ELb0EEvPKcS1_S1_S1_S1_PKiPfP15HIP_vector_typeIfLj2EEffffjfiS5_IjLj3EEiiiiiiiiiiiliiliiiiil.has_indirect_call, 0
	.section	.AMDGPU.csdata,"",@progbits
; Kernel info:
; codeLenInByte = 32832
; TotalNumSgprs: 52
; NumVgprs: 124
; ScratchSize: 0
; MemoryBound: 0
; FloatMode: 240
; IeeeMode: 1
; LDSByteSize: 33792 bytes/workgroup (compile time only)
; SGPRBlocks: 0
; VGPRBlocks: 27
; NumSGPRsForWavesPerEU: 52
; NumVGPRsForWavesPerEU: 217
; Occupancy: 6
; WaveLimiterHint : 1
; COMPUTE_PGM_RSRC2:SCRATCH_EN: 0
; COMPUTE_PGM_RSRC2:USER_SGPR: 2
; COMPUTE_PGM_RSRC2:TRAP_HANDLER: 0
; COMPUTE_PGM_RSRC2:TGID_X_EN: 1
; COMPUTE_PGM_RSRC2:TGID_Y_EN: 1
; COMPUTE_PGM_RSRC2:TGID_Z_EN: 1
; COMPUTE_PGM_RSRC2:TIDIG_COMP_CNT: 1
	.section	.text._ZL25flash_attn_mask_to_KV_maxILi8EEvPK7__half2Piiii,"axG",@progbits,_ZL25flash_attn_mask_to_KV_maxILi8EEvPK7__half2Piiii,comdat
	.globl	_ZL25flash_attn_mask_to_KV_maxILi8EEvPK7__half2Piiii ; -- Begin function _ZL25flash_attn_mask_to_KV_maxILi8EEvPK7__half2Piiii
	.p2align	8
	.type	_ZL25flash_attn_mask_to_KV_maxILi8EEvPK7__half2Piiii,@function
_ZL25flash_attn_mask_to_KV_maxILi8EEvPK7__half2Piiii: ; @_ZL25flash_attn_mask_to_KV_maxILi8EEvPK7__half2Piiii
; %bb.0:
	s_load_b64 s[8:9], s[0:1], 0x0
	s_mov_b32 s2, exec_lo
	v_cmpx_gt_u32_e32 32, v0
; %bb.1:
	v_dual_mov_b32 v2, 1 :: v_dual_lshlrev_b32 v1, 2, v0
	ds_store_b32 v1, v2
; %bb.2:
	s_or_b32 exec_lo, exec_lo, s2
	s_clause 0x2
	s_load_b96 s[4:6], s[0:1], 0x10
	s_load_b64 s[2:3], s[0:1], 0x8
	s_load_b32 s1, s[0:1], 0x20
	v_dual_mov_b32 v2, 0 :: v_dual_and_b32 v1, 31, v0
	v_lshrrev_b32_e32 v5, 3, v0
	s_wait_dscnt 0x0
	s_barrier_signal -1
	s_delay_alu instid0(VALU_DEP_2)
	v_lshlrev_b32_e32 v6, 2, v1
	s_barrier_wait -1
	global_inv scope:SCOPE_SE
	s_wait_kmcnt 0x0
	s_mul_i32 s0, ttmp9, s5
	s_mul_i32 s6, s6, ttmp7
	s_lshl_b32 s0, s0, 3
	s_delay_alu instid0(SALU_CYCLE_1) | instskip(SKIP_2) | instid1(SALU_CYCLE_1)
	s_add_co_i32 s6, s6, s0
	v_cmp_eq_u32_e64 s0, 0, v1
	s_ashr_i32 s7, s6, 31
	s_lshl_b64 s[6:7], s[6:7], 2
	s_delay_alu instid0(SALU_CYCLE_1)
	s_add_nc_u64 s[6:7], s[8:9], s[6:7]
	s_lshl_b32 s8, s4, 8
	s_branch .LBB1_4
.LBB1_3:                                ;   in Loop: Header=BB1_4 Depth=1
	s_wait_alu 0xfffe
	s_or_b32 exec_lo, exec_lo, s9
	s_wait_dscnt 0x0
	s_barrier_signal -1
	s_barrier_wait -1
	global_inv scope:SCOPE_SE
	ds_load_b32 v1, v6
	s_wait_loadcnt_dscnt 0x0
	s_barrier_signal -1
	s_barrier_wait -1
	global_inv scope:SCOPE_SE
	v_cmp_ne_u32_e32 vcc_lo, 0, v1
	s_cmp_lg_u32 vcc_lo, exec_lo
	s_cselect_b32 s9, -1, 0
	s_wait_alu 0xfffe
	s_and_b32 vcc_lo, exec_lo, s9
	s_wait_alu 0xfffe
	s_cbranch_vccnz .LBB1_36
.LBB1_4:                                ; =>This Inner Loop Header: Depth=1
	s_mov_b32 s4, s8
	s_addk_co_i32 s8, 0xff00
	s_wait_alu 0xfffe
	s_cmp_lt_i32 s8, 0
	s_cbranch_scc1 .LBB1_35
; %bb.5:                                ;   in Loop: Header=BB1_4 Depth=1
	s_lshr_b32 s9, s8, 1
	s_wait_alu 0xfffe
	v_add_nc_u32_e32 v1, s9, v0
	s_delay_alu instid0(VALU_DEP_1) | instskip(NEXT) | instid1(VALU_DEP_1)
	v_lshlrev_b64_e32 v[3:4], 2, v[1:2]
	v_add_co_u32 v3, vcc_lo, s6, v3
	s_wait_alu 0xfffd
	s_delay_alu instid0(VALU_DEP_2) | instskip(SKIP_4) | instid1(VALU_DEP_2)
	v_add_co_ci_u32_e64 v4, null, s7, v4, vcc_lo
	global_load_b32 v3, v[3:4], off
	s_wait_loadcnt 0x0
	v_lshrrev_b32_e32 v4, 16, v3
	v_cmp_class_f16_e64 s9, v3, 0x204
	v_cmp_class_f16_e64 s10, v4, 0x204
	s_and_b32 s11, s9, s10
	s_mov_b32 s10, 0
	s_wait_alu 0xfffe
	s_and_saveexec_b32 s9, s11
	s_cbranch_execz .LBB1_33
; %bb.6:                                ;   in Loop: Header=BB1_4 Depth=1
	v_add_nc_u32_e32 v3, s5, v1
	s_mov_b32 s11, 0
	s_delay_alu instid0(VALU_DEP_1) | instskip(NEXT) | instid1(VALU_DEP_1)
	v_ashrrev_i32_e32 v4, 31, v3
	v_lshlrev_b64_e32 v[7:8], 2, v[3:4]
	s_delay_alu instid0(VALU_DEP_1) | instskip(SKIP_1) | instid1(VALU_DEP_2)
	v_add_co_u32 v7, vcc_lo, s6, v7
	s_wait_alu 0xfffd
	v_add_co_ci_u32_e64 v8, null, s7, v8, vcc_lo
	global_load_b32 v1, v[7:8], off
	s_wait_loadcnt 0x0
	v_cmp_class_f16_e64 s12, v1, 0x204
	s_and_saveexec_b32 s10, s12
	s_cbranch_execz .LBB1_32
; %bb.7:                                ;   in Loop: Header=BB1_4 Depth=1
	v_lshrrev_b32_e32 v1, 16, v1
	s_mov_b32 s12, 0
	s_delay_alu instid0(VALU_DEP_1)
	v_cmp_class_f16_e64 s13, v1, 0x204
	s_and_saveexec_b32 s11, s13
	s_cbranch_execz .LBB1_31
; %bb.8:                                ;   in Loop: Header=BB1_4 Depth=1
	v_add_nc_u32_e32 v3, s5, v3
	s_mov_b32 s13, 0
	s_delay_alu instid0(VALU_DEP_1) | instskip(NEXT) | instid1(VALU_DEP_1)
	v_ashrrev_i32_e32 v4, 31, v3
	v_lshlrev_b64_e32 v[7:8], 2, v[3:4]
	s_delay_alu instid0(VALU_DEP_1) | instskip(SKIP_1) | instid1(VALU_DEP_2)
	v_add_co_u32 v7, vcc_lo, s6, v7
	s_wait_alu 0xfffd
	v_add_co_ci_u32_e64 v8, null, s7, v8, vcc_lo
	global_load_b32 v1, v[7:8], off
	s_wait_loadcnt 0x0
	v_cmp_class_f16_e64 s14, v1, 0x204
	s_and_saveexec_b32 s12, s14
	s_cbranch_execz .LBB1_30
; %bb.9:                                ;   in Loop: Header=BB1_4 Depth=1
	v_lshrrev_b32_e32 v1, 16, v1
	s_mov_b32 s14, 0
	s_delay_alu instid0(VALU_DEP_1)
	v_cmp_class_f16_e64 s15, v1, 0x204
	s_and_saveexec_b32 s13, s15
	s_cbranch_execz .LBB1_29
; %bb.10:                               ;   in Loop: Header=BB1_4 Depth=1
	v_add_nc_u32_e32 v3, s5, v3
	s_mov_b32 s15, 0
	s_delay_alu instid0(VALU_DEP_1) | instskip(NEXT) | instid1(VALU_DEP_1)
	v_ashrrev_i32_e32 v4, 31, v3
	v_lshlrev_b64_e32 v[7:8], 2, v[3:4]
	s_delay_alu instid0(VALU_DEP_1) | instskip(SKIP_1) | instid1(VALU_DEP_2)
	v_add_co_u32 v7, vcc_lo, s6, v7
	s_wait_alu 0xfffd
	v_add_co_ci_u32_e64 v8, null, s7, v8, vcc_lo
	global_load_b32 v1, v[7:8], off
	s_wait_loadcnt 0x0
	v_cmp_class_f16_e64 s16, v1, 0x204
	s_and_saveexec_b32 s14, s16
	s_cbranch_execz .LBB1_28
; %bb.11:                               ;   in Loop: Header=BB1_4 Depth=1
	v_lshrrev_b32_e32 v1, 16, v1
	s_mov_b32 s16, 0
	s_delay_alu instid0(VALU_DEP_1)
	v_cmp_class_f16_e64 s17, v1, 0x204
	s_and_saveexec_b32 s15, s17
	s_cbranch_execz .LBB1_27
; %bb.12:                               ;   in Loop: Header=BB1_4 Depth=1
	v_add_nc_u32_e32 v3, s5, v3
	s_mov_b32 s17, 0
	s_delay_alu instid0(VALU_DEP_1) | instskip(NEXT) | instid1(VALU_DEP_1)
	v_ashrrev_i32_e32 v4, 31, v3
	v_lshlrev_b64_e32 v[7:8], 2, v[3:4]
	s_delay_alu instid0(VALU_DEP_1) | instskip(SKIP_1) | instid1(VALU_DEP_2)
	v_add_co_u32 v7, vcc_lo, s6, v7
	s_wait_alu 0xfffd
	v_add_co_ci_u32_e64 v8, null, s7, v8, vcc_lo
	global_load_b32 v1, v[7:8], off
	s_wait_loadcnt 0x0
	v_cmp_class_f16_e64 s18, v1, 0x204
	s_and_saveexec_b32 s16, s18
	s_cbranch_execz .LBB1_26
; %bb.13:                               ;   in Loop: Header=BB1_4 Depth=1
	;; [unrolled: 22-line block ×4, first 2 shown]
	v_lshrrev_b32_e32 v1, 16, v1
	s_mov_b32 s22, 0
	s_delay_alu instid0(VALU_DEP_1)
	v_cmp_class_f16_e64 s23, v1, 0x204
	s_and_saveexec_b32 s21, s23
	s_cbranch_execz .LBB1_21
; %bb.18:                               ;   in Loop: Header=BB1_4 Depth=1
	v_add_nc_u32_e32 v3, s5, v3
	s_delay_alu instid0(VALU_DEP_1) | instskip(NEXT) | instid1(VALU_DEP_1)
	v_ashrrev_i32_e32 v4, 31, v3
	v_lshlrev_b64_e32 v[3:4], 2, v[3:4]
	s_delay_alu instid0(VALU_DEP_1) | instskip(SKIP_1) | instid1(VALU_DEP_2)
	v_add_co_u32 v3, vcc_lo, s6, v3
	s_wait_alu 0xfffd
	v_add_co_ci_u32_e64 v4, null, s7, v4, vcc_lo
	global_load_b32 v1, v[3:4], off
	s_wait_loadcnt 0x0
	v_cmp_class_f16_e64 s24, v1, 0x204
	s_and_saveexec_b32 s23, s24
; %bb.19:                               ;   in Loop: Header=BB1_4 Depth=1
	v_lshrrev_b32_e32 v1, 16, v1
	s_delay_alu instid0(VALU_DEP_1)
	v_cmp_class_f16_e64 s22, v1, 0x204
	s_and_b32 s22, s22, exec_lo
; %bb.20:                               ;   in Loop: Header=BB1_4 Depth=1
	s_or_b32 exec_lo, exec_lo, s23
	s_delay_alu instid0(SALU_CYCLE_1)
	s_and_b32 s22, s22, exec_lo
.LBB1_21:                               ;   in Loop: Header=BB1_4 Depth=1
	s_or_b32 exec_lo, exec_lo, s21
	s_delay_alu instid0(SALU_CYCLE_1)
	s_and_b32 s21, s22, exec_lo
.LBB1_22:                               ;   in Loop: Header=BB1_4 Depth=1
	s_or_b32 exec_lo, exec_lo, s20
	s_delay_alu instid0(SALU_CYCLE_1)
	s_and_b32 s20, s21, exec_lo
.LBB1_23:                               ;   in Loop: Header=BB1_4 Depth=1
	s_or_b32 exec_lo, exec_lo, s19
	s_delay_alu instid0(SALU_CYCLE_1)
	s_and_b32 s19, s20, exec_lo
.LBB1_24:                               ;   in Loop: Header=BB1_4 Depth=1
	s_or_b32 exec_lo, exec_lo, s18
	s_delay_alu instid0(SALU_CYCLE_1)
	s_and_b32 s18, s19, exec_lo
.LBB1_25:                               ;   in Loop: Header=BB1_4 Depth=1
	s_or_b32 exec_lo, exec_lo, s17
	s_delay_alu instid0(SALU_CYCLE_1)
	s_and_b32 s17, s18, exec_lo
.LBB1_26:                               ;   in Loop: Header=BB1_4 Depth=1
	s_or_b32 exec_lo, exec_lo, s16
	s_delay_alu instid0(SALU_CYCLE_1)
	s_and_b32 s16, s17, exec_lo
.LBB1_27:                               ;   in Loop: Header=BB1_4 Depth=1
	s_or_b32 exec_lo, exec_lo, s15
	s_delay_alu instid0(SALU_CYCLE_1)
	s_and_b32 s15, s16, exec_lo
.LBB1_28:                               ;   in Loop: Header=BB1_4 Depth=1
	s_or_b32 exec_lo, exec_lo, s14
	s_delay_alu instid0(SALU_CYCLE_1)
	s_and_b32 s14, s15, exec_lo
.LBB1_29:                               ;   in Loop: Header=BB1_4 Depth=1
	s_or_b32 exec_lo, exec_lo, s13
	s_delay_alu instid0(SALU_CYCLE_1)
	s_and_b32 s13, s14, exec_lo
.LBB1_30:                               ;   in Loop: Header=BB1_4 Depth=1
	s_or_b32 exec_lo, exec_lo, s12
	s_delay_alu instid0(SALU_CYCLE_1)
	s_and_b32 s12, s13, exec_lo
.LBB1_31:                               ;   in Loop: Header=BB1_4 Depth=1
	s_wait_alu 0xfffe
	s_or_b32 exec_lo, exec_lo, s11
	s_delay_alu instid0(SALU_CYCLE_1)
	s_and_b32 s11, s12, exec_lo
.LBB1_32:                               ;   in Loop: Header=BB1_4 Depth=1
	s_wait_alu 0xfffe
	s_or_b32 exec_lo, exec_lo, s10
	s_delay_alu instid0(SALU_CYCLE_1)
	s_and_b32 s10, s11, exec_lo
.LBB1_33:                               ;   in Loop: Header=BB1_4 Depth=1
	s_wait_alu 0xfffe
	s_or_b32 exec_lo, exec_lo, s9
	v_cndmask_b32_e64 v1, 0, 1, s10
	s_mov_b32 s11, exec_lo
	s_delay_alu instid0(VALU_DEP_1)
	v_cmp_ne_u32_e32 vcc_lo, 0, v1
	s_and_saveexec_b32 s9, s0
	s_cbranch_execz .LBB1_3
; %bb.34:                               ;   in Loop: Header=BB1_4 Depth=1
	s_wait_alu 0xfffe
	s_cmp_eq_u32 vcc_lo, s11
	s_cselect_b32 s10, -1, 0
	s_wait_alu 0xfffe
	v_cndmask_b32_e64 v1, 0, 1, s10
	ds_store_b32 v5, v1
	s_branch .LBB1_3
.LBB1_35:                               ;   in Loop: Header=BB1_4 Depth=1
	s_cbranch_execz .LBB1_4
.LBB1_36:
	s_mov_b32 s0, exec_lo
	v_cmpx_eq_u32_e32 0, v0
	s_cbranch_execz .LBB1_38
; %bb.37:
	s_mul_i32 s0, s1, ttmp7
	v_dual_mov_b32 v0, 0 :: v_dual_mov_b32 v1, s4
	s_add_co_i32 s0, s0, ttmp9
	s_delay_alu instid0(SALU_CYCLE_1) | instskip(NEXT) | instid1(SALU_CYCLE_1)
	s_ashr_i32 s1, s0, 31
	s_lshl_b64 s[0:1], s[0:1], 2
	s_delay_alu instid0(SALU_CYCLE_1)
	s_add_nc_u64 s[0:1], s[2:3], s[0:1]
	global_store_b32 v0, v1, s[0:1]
.LBB1_38:
	s_endpgm
	.section	.rodata,"a",@progbits
	.p2align	6, 0x0
	.amdhsa_kernel _ZL25flash_attn_mask_to_KV_maxILi8EEvPK7__half2Piiii
		.amdhsa_group_segment_fixed_size 128
		.amdhsa_private_segment_fixed_size 0
		.amdhsa_kernarg_size 288
		.amdhsa_user_sgpr_count 2
		.amdhsa_user_sgpr_dispatch_ptr 0
		.amdhsa_user_sgpr_queue_ptr 0
		.amdhsa_user_sgpr_kernarg_segment_ptr 1
		.amdhsa_user_sgpr_dispatch_id 0
		.amdhsa_user_sgpr_private_segment_size 0
		.amdhsa_wavefront_size32 1
		.amdhsa_uses_dynamic_stack 0
		.amdhsa_enable_private_segment 0
		.amdhsa_system_sgpr_workgroup_id_x 1
		.amdhsa_system_sgpr_workgroup_id_y 1
		.amdhsa_system_sgpr_workgroup_id_z 0
		.amdhsa_system_sgpr_workgroup_info 0
		.amdhsa_system_vgpr_workitem_id 0
		.amdhsa_next_free_vgpr 9
		.amdhsa_next_free_sgpr 25
		.amdhsa_reserve_vcc 1
		.amdhsa_float_round_mode_32 0
		.amdhsa_float_round_mode_16_64 0
		.amdhsa_float_denorm_mode_32 3
		.amdhsa_float_denorm_mode_16_64 3
		.amdhsa_fp16_overflow 0
		.amdhsa_workgroup_processor_mode 1
		.amdhsa_memory_ordered 1
		.amdhsa_forward_progress 1
		.amdhsa_inst_pref_size 12
		.amdhsa_round_robin_scheduling 0
		.amdhsa_exception_fp_ieee_invalid_op 0
		.amdhsa_exception_fp_denorm_src 0
		.amdhsa_exception_fp_ieee_div_zero 0
		.amdhsa_exception_fp_ieee_overflow 0
		.amdhsa_exception_fp_ieee_underflow 0
		.amdhsa_exception_fp_ieee_inexact 0
		.amdhsa_exception_int_div_zero 0
	.end_amdhsa_kernel
	.section	.text._ZL25flash_attn_mask_to_KV_maxILi8EEvPK7__half2Piiii,"axG",@progbits,_ZL25flash_attn_mask_to_KV_maxILi8EEvPK7__half2Piiii,comdat
.Lfunc_end1:
	.size	_ZL25flash_attn_mask_to_KV_maxILi8EEvPK7__half2Piiii, .Lfunc_end1-_ZL25flash_attn_mask_to_KV_maxILi8EEvPK7__half2Piiii
                                        ; -- End function
	.set _ZL25flash_attn_mask_to_KV_maxILi8EEvPK7__half2Piiii.num_vgpr, 9
	.set _ZL25flash_attn_mask_to_KV_maxILi8EEvPK7__half2Piiii.num_agpr, 0
	.set _ZL25flash_attn_mask_to_KV_maxILi8EEvPK7__half2Piiii.numbered_sgpr, 25
	.set _ZL25flash_attn_mask_to_KV_maxILi8EEvPK7__half2Piiii.num_named_barrier, 0
	.set _ZL25flash_attn_mask_to_KV_maxILi8EEvPK7__half2Piiii.private_seg_size, 0
	.set _ZL25flash_attn_mask_to_KV_maxILi8EEvPK7__half2Piiii.uses_vcc, 1
	.set _ZL25flash_attn_mask_to_KV_maxILi8EEvPK7__half2Piiii.uses_flat_scratch, 0
	.set _ZL25flash_attn_mask_to_KV_maxILi8EEvPK7__half2Piiii.has_dyn_sized_stack, 0
	.set _ZL25flash_attn_mask_to_KV_maxILi8EEvPK7__half2Piiii.has_recursion, 0
	.set _ZL25flash_attn_mask_to_KV_maxILi8EEvPK7__half2Piiii.has_indirect_call, 0
	.section	.AMDGPU.csdata,"",@progbits
; Kernel info:
; codeLenInByte = 1456
; TotalNumSgprs: 27
; NumVgprs: 9
; ScratchSize: 0
; MemoryBound: 0
; FloatMode: 240
; IeeeMode: 1
; LDSByteSize: 128 bytes/workgroup (compile time only)
; SGPRBlocks: 0
; VGPRBlocks: 1
; NumSGPRsForWavesPerEU: 27
; NumVGPRsForWavesPerEU: 9
; Occupancy: 16
; WaveLimiterHint : 0
; COMPUTE_PGM_RSRC2:SCRATCH_EN: 0
; COMPUTE_PGM_RSRC2:USER_SGPR: 2
; COMPUTE_PGM_RSRC2:TRAP_HANDLER: 0
; COMPUTE_PGM_RSRC2:TGID_X_EN: 1
; COMPUTE_PGM_RSRC2:TGID_Y_EN: 1
; COMPUTE_PGM_RSRC2:TGID_Z_EN: 0
; COMPUTE_PGM_RSRC2:TIDIG_COMP_CNT: 0
	.section	.text._ZL33flash_attn_stream_k_fixup_uniformILi128ELi8ELi8EEvPfPK15HIP_vector_typeIfLj2EEiiiiiiS1_IjLj3EES5_S5_,"axG",@progbits,_ZL33flash_attn_stream_k_fixup_uniformILi128ELi8ELi8EEvPfPK15HIP_vector_typeIfLj2EEiiiiiiS1_IjLj3EES5_S5_,comdat
	.globl	_ZL33flash_attn_stream_k_fixup_uniformILi128ELi8ELi8EEvPfPK15HIP_vector_typeIfLj2EEiiiiiiS1_IjLj3EES5_S5_ ; -- Begin function _ZL33flash_attn_stream_k_fixup_uniformILi128ELi8ELi8EEvPfPK15HIP_vector_typeIfLj2EEiiiiiiS1_IjLj3EES5_S5_
	.p2align	8
	.type	_ZL33flash_attn_stream_k_fixup_uniformILi128ELi8ELi8EEvPfPK15HIP_vector_typeIfLj2EEiiiiiiS1_IjLj3EES5_S5_,@function
_ZL33flash_attn_stream_k_fixup_uniformILi128ELi8ELi8EEvPfPK15HIP_vector_typeIfLj2EEiiiiiiS1_IjLj3EES5_S5_: ; @_ZL33flash_attn_stream_k_fixup_uniformILi128ELi8ELi8EEvPfPK15HIP_vector_typeIfLj2EEiiiiiiS1_IjLj3EES5_S5_
; %bb.0:
	s_clause 0x1
	s_load_b256 s[4:11], s[0:1], 0x1c
	s_load_b128 s[12:15], s[0:1], 0x3c
	s_wait_kmcnt 0x0
	s_mul_hi_u32 s2, s7, ttmp9
	s_delay_alu instid0(SALU_CYCLE_1) | instskip(NEXT) | instid1(SALU_CYCLE_1)
	s_add_co_i32 s2, ttmp9, s2
	s_lshr_b32 s2, s2, s8
	s_delay_alu instid0(SALU_CYCLE_1) | instskip(SKIP_2) | instid1(SALU_CYCLE_1)
	s_mul_i32 s3, s2, s9
	s_load_b64 s[8:9], s[0:1], 0x10
	s_sub_co_i32 s7, ttmp9, s3
	s_mul_hi_u32 s3, s7, s10
	s_delay_alu instid0(SALU_CYCLE_1) | instskip(NEXT) | instid1(SALU_CYCLE_1)
	s_add_co_i32 s3, s7, s3
	s_lshr_b32 s3, s3, s11
	s_delay_alu instid0(SALU_CYCLE_1) | instskip(NEXT) | instid1(SALU_CYCLE_1)
	s_mul_i32 s10, s3, s12
	s_sub_co_i32 s7, s7, s10
	s_delay_alu instid0(SALU_CYCLE_1) | instskip(NEXT) | instid1(SALU_CYCLE_1)
	s_mul_hi_u32 s10, s7, s13
	s_add_co_i32 s10, s7, s10
	s_delay_alu instid0(SALU_CYCLE_1) | instskip(NEXT) | instid1(SALU_CYCLE_1)
	s_lshr_b32 s12, s10, s14
	s_mul_i32 s10, s12, s15
	s_lshl_b32 s12, s12, 3
	s_sub_co_i32 s11, s7, s10
	s_and_b32 s7, ttmp7, 0xffff
	s_lshl_b32 s13, s11, 3
	s_lshr_b32 s10, ttmp7, 16
	s_add_co_i32 s13, s13, s7
	s_wait_kmcnt 0x0
	s_cmp_lt_i32 s13, s8
	s_cselect_b32 s13, -1, 0
	s_add_co_i32 s14, s12, s10
	s_delay_alu instid0(SALU_CYCLE_1) | instskip(SKIP_1) | instid1(SALU_CYCLE_1)
	s_cmp_lt_i32 s14, s5
	s_cselect_b32 s14, -1, 0
	s_and_b32 s13, s13, s14
	s_delay_alu instid0(SALU_CYCLE_1)
	s_and_not1_b32 vcc_lo, exec_lo, s13
	s_cbranch_vccnz .LBB2_6
; %bb.1:
	s_mul_i32 s2, s2, s8
	s_mul_i32 s5, s3, s5
	s_add_co_i32 s2, s2, s7
	s_delay_alu instid0(SALU_CYCLE_1) | instskip(NEXT) | instid1(SALU_CYCLE_1)
	s_mul_i32 s2, s2, s9
	s_add_co_i32 s8, s2, s10
	s_load_b128 s[0:3], s[0:1], 0x0
	s_add_co_i32 s5, s8, s5
	s_mul_i32 s8, s9, s11
	s_add_co_i32 s5, s5, s12
	s_lshl_b32 s8, s8, 10
	s_lshl_b32 s5, s5, 7
	s_delay_alu instid0(SALU_CYCLE_1)
	s_add_co_i32 s8, s8, s5
	s_lshl_b32 s5, s7, 3
	v_or_b32_e32 v1, s8, v0
	s_mul_i32 s8, s6, ttmp9
	s_wait_alu 0xfffe
	s_add_co_i32 s9, s8, s6
	s_wait_alu 0xfffe
	s_add_co_i32 s12, s9, -2
	v_ashrrev_i32_e32 v2, 31, v1
	s_delay_alu instid0(VALU_DEP_1) | instskip(SKIP_1) | instid1(VALU_DEP_1)
	v_lshlrev_b64_e32 v[1:2], 2, v[1:2]
	s_wait_kmcnt 0x0
	v_add_co_u32 v1, vcc_lo, s0, v1
	s_delay_alu instid0(VALU_DEP_1)
	v_add_co_ci_u32_e64 v2, null, s1, v2, vcc_lo
	s_add_co_i32 s0, s5, s10
	s_lshl_b32 s1, s9, 6
	global_load_b32 v5, v[1:2], off
	s_wait_alu 0xfffe
	s_add_co_i32 s0, s0, s1
	s_wait_alu 0xfffe
	s_sub_co_i32 s0, s0, 64
	s_wait_alu 0xfffe
	s_ashr_i32 s1, s0, 31
	s_wait_alu 0xfffe
	s_lshl_b64 s[0:1], s[0:1], 3
	s_cmp_lt_i32 s12, s8
	s_wait_alu 0xfffe
	s_add_nc_u64 s[0:1], s[2:3], s[0:1]
	s_load_b32 s11, s[0:1], 0x4
	s_cbranch_scc1 .LBB2_4
; %bb.2:
	s_load_b32 s0, s[0:1], 0x0
	s_add_co_i32 s13, ttmp9, 1
	s_lshl_b32 s12, s4, 8
	s_mul_i32 s1, s6, s13
	s_lshl_b32 s6, s7, 10
	s_lshl_b32 s7, s10, 7
	s_wait_alu 0xfffe
	s_lshl_b32 s14, s1, 13
	s_add_co_i32 s6, s7, s6
	s_lshl_b32 s1, s1, 6
	s_add_co_i32 s14, s6, s14
	s_wait_alu 0xfffe
	s_add_co_i32 s1, s10, s1
	v_or_b32_e32 v0, s14, v0
	s_lshl_b32 s4, s4, 6
	s_ashr_i32 s13, s12, 31
	s_wait_alu 0xfffe
	s_add_co_i32 s1, s1, s4
	s_wait_kmcnt 0x0
	v_dual_mov_b32 v6, s11 :: v_dual_add_nc_u32 v3, 0xffffc000, v0
	s_lshl_b64 s[6:7], s[12:13], 2
	s_wait_alu 0xfffe
	s_add_co_i32 s4, s1, s5
	s_add_nc_u64 s[6:7], s[2:3], s[6:7]
	s_add_co_i32 s1, s9, -1
	s_addk_co_i32 s4, 0xff80
.LBB2_3:                                ; =>This Inner Loop Header: Depth=1
	v_ashrrev_i32_e32 v4, 31, v3
	s_ashr_i32 s5, s4, 31
	v_mov_b32_e32 v10, v6
	s_lshl_b64 s[10:11], s[4:5], 3
	s_wait_loadcnt 0x0
	v_mov_b32_e32 v9, v5
	v_lshlrev_b64_e32 v[7:8], 2, v[3:4]
	s_wait_alu 0xfffe
	s_add_nc_u64 s[10:11], s[2:3], s[10:11]
	v_max_num_f32_e64 v4, s0, s0
	s_load_b64 s[10:11], s[10:11], 0x0
	v_add_nc_u32_e32 v3, 0xffffe000, v3
	v_add_co_u32 v7, vcc_lo, s6, v7
	s_wait_alu 0xfffd
	v_add_co_ci_u32_e64 v8, null, s7, v8, vcc_lo
	v_readfirstlane_b32 s5, v4
	global_load_b32 v0, v[7:8], off
	s_wait_kmcnt 0x0
	v_max_num_f32_e64 v4, s10, s10
	s_delay_alu instid0(VALU_DEP_1) | instskip(SKIP_1) | instid1(SALU_CYCLE_3)
	v_readfirstlane_b32 s9, v4
	s_max_num_f32 s5, s5, s9
	s_sub_f32 s0, s0, s5
	s_sub_f32 s9, s10, s5
	s_wait_alu 0xfffe
	s_delay_alu instid0(SALU_CYCLE_1) | instskip(NEXT) | instid1(SALU_CYCLE_1)
	s_mul_f32 s10, s0, 0x3fb8aa3b
	s_mul_f32 s12, s9, 0x3fb8aa3b
	s_wait_alu 0xfffe
	s_delay_alu instid0(SALU_CYCLE_1)
	s_xor_b32 s13, s10, 0x80000000
	s_rndne_f32 s14, s10
	s_fmamk_f32 s13, s0, 0x3fb8aa3b, s13
	s_cmp_nlt_f32 s0, 0xc2ce8ed0
	s_rndne_f32 s15, s12
	s_wait_alu 0xfffe
	s_sub_f32 s10, s10, s14
	s_fmamk_f32 s13, s0, 0x32a5705f, s13
	s_cvt_i32_f32 s14, s14
	s_cselect_b32 vcc_lo, -1, 0
	s_cmp_ngt_f32 s0, 0x42b17218
	s_wait_alu 0xfffe
	s_add_f32 s10, s10, s13
	s_sub_f32 s13, s12, s15
	s_wait_alu 0xfffe
	s_delay_alu instid0(SALU_CYCLE_1) | instskip(SKIP_1) | instid1(TRANS32_DEP_1)
	v_s_exp_f32 s10, s10
	s_wait_alu 0xf1ff
	v_ldexp_f32 v4, s10, s14
	s_cvt_i32_f32 s10, s15
	s_delay_alu instid0(VALU_DEP_1) | instskip(SKIP_3) | instid1(VALU_DEP_1)
	v_cndmask_b32_e32 v4, 0, v4, vcc_lo
	s_cselect_b32 vcc_lo, -1, 0
	s_cmp_ge_f32 s0, 0xc1a00000
	s_wait_alu 0xfffe
	v_cndmask_b32_e32 v4, 0x7f800000, v4, vcc_lo
	s_cselect_b32 vcc_lo, -1, 0
	s_xor_b32 s0, s12, 0x80000000
	s_cmp_nlt_f32 s9, 0xc2ce8ed0
	s_wait_alu 0xfffe
	s_fmamk_f32 s0, s9, 0x3fb8aa3b, s0
	s_wait_alu 0xfffe
	s_delay_alu instid0(SALU_CYCLE_2) | instskip(SKIP_1) | instid1(SALU_CYCLE_2)
	s_fmamk_f32 s0, s9, 0x32a5705f, s0
	s_wait_alu 0xfffe
	s_add_f32 s0, s13, s0
	s_wait_alu 0xfffe
	s_delay_alu instid0(SALU_CYCLE_2) | instskip(SKIP_1) | instid1(TRANS32_DEP_1)
	v_s_exp_f32 s0, s0
	s_wait_alu 0xf1ff
	v_ldexp_f32 v7, s0, s10
	s_cselect_b32 s0, -1, 0
	s_cmp_ngt_f32 s9, 0x42b17218
	s_wait_alu 0xfffe
	s_delay_alu instid0(VALU_DEP_1) | instskip(SKIP_3) | instid1(VALU_DEP_1)
	v_cndmask_b32_e64 v7, 0, v7, s0
	s_cselect_b32 s0, -1, 0
	s_cmp_ge_f32 s9, 0xc1a00000
	s_wait_alu 0xfffe
	v_cndmask_b32_e64 v7, 0x7f800000, v7, s0
	s_cselect_b32 s0, -1, 0
	s_add_co_i32 s1, s1, -1
	s_sub_co_i32 s4, s4, 64
	s_wait_alu 0xfffe
	s_cmp_le_i32 s1, s8
	v_cndmask_b32_e64 v7, 0, v7, s0
	s_mov_b32 s0, s5
	s_wait_loadcnt 0x0
	s_delay_alu instid0(VALU_DEP_1) | instskip(NEXT) | instid1(VALU_DEP_1)
	v_dual_mul_f32 v5, v0, v7 :: v_dual_cndmask_b32 v4, 0, v4
	v_dual_mul_f32 v8, s11, v7 :: v_dual_fmac_f32 v5, v9, v4
	s_delay_alu instid0(VALU_DEP_1) | instskip(NEXT) | instid1(VALU_DEP_1)
	v_mov_b32_e32 v6, v8
	v_fmac_f32_e32 v6, v10, v4
	s_cbranch_scc0 .LBB2_3
	s_branch .LBB2_5
.LBB2_4:
	s_wait_kmcnt 0x0
	v_mov_b32_e32 v6, s11
.LBB2_5:
	s_wait_loadcnt 0x0
	s_delay_alu instid0(VALU_DEP_1) | instskip(NEXT) | instid1(VALU_DEP_1)
	v_div_scale_f32 v0, null, v6, v6, v5
	v_rcp_f32_e32 v3, v0
	s_delay_alu instid0(TRANS32_DEP_1) | instskip(NEXT) | instid1(VALU_DEP_1)
	v_fma_f32 v4, -v0, v3, 1.0
	v_fmac_f32_e32 v3, v4, v3
	v_div_scale_f32 v4, vcc_lo, v5, v6, v5
	s_delay_alu instid0(VALU_DEP_1) | instskip(NEXT) | instid1(VALU_DEP_1)
	v_mul_f32_e32 v7, v4, v3
	v_fma_f32 v8, -v0, v7, v4
	s_delay_alu instid0(VALU_DEP_1) | instskip(NEXT) | instid1(VALU_DEP_1)
	v_fmac_f32_e32 v7, v8, v3
	v_fma_f32 v0, -v0, v7, v4
	s_wait_alu 0xfffd
	s_delay_alu instid0(VALU_DEP_1) | instskip(NEXT) | instid1(VALU_DEP_1)
	v_div_fmas_f32 v0, v0, v3, v7
	v_div_fixup_f32 v0, v0, v6, v5
	global_store_b32 v[1:2], v0, off
.LBB2_6:
	s_endpgm
	.section	.rodata,"a",@progbits
	.p2align	6, 0x0
	.amdhsa_kernel _ZL33flash_attn_stream_k_fixup_uniformILi128ELi8ELi8EEvPfPK15HIP_vector_typeIfLj2EEiiiiiiS1_IjLj3EES5_S5_
		.amdhsa_group_segment_fixed_size 0
		.amdhsa_private_segment_fixed_size 0
		.amdhsa_kernarg_size 76
		.amdhsa_user_sgpr_count 2
		.amdhsa_user_sgpr_dispatch_ptr 0
		.amdhsa_user_sgpr_queue_ptr 0
		.amdhsa_user_sgpr_kernarg_segment_ptr 1
		.amdhsa_user_sgpr_dispatch_id 0
		.amdhsa_user_sgpr_private_segment_size 0
		.amdhsa_wavefront_size32 1
		.amdhsa_uses_dynamic_stack 0
		.amdhsa_enable_private_segment 0
		.amdhsa_system_sgpr_workgroup_id_x 1
		.amdhsa_system_sgpr_workgroup_id_y 1
		.amdhsa_system_sgpr_workgroup_id_z 1
		.amdhsa_system_sgpr_workgroup_info 0
		.amdhsa_system_vgpr_workitem_id 0
		.amdhsa_next_free_vgpr 11
		.amdhsa_next_free_sgpr 16
		.amdhsa_reserve_vcc 1
		.amdhsa_float_round_mode_32 0
		.amdhsa_float_round_mode_16_64 0
		.amdhsa_float_denorm_mode_32 3
		.amdhsa_float_denorm_mode_16_64 3
		.amdhsa_fp16_overflow 0
		.amdhsa_workgroup_processor_mode 1
		.amdhsa_memory_ordered 1
		.amdhsa_forward_progress 1
		.amdhsa_inst_pref_size 9
		.amdhsa_round_robin_scheduling 0
		.amdhsa_exception_fp_ieee_invalid_op 0
		.amdhsa_exception_fp_denorm_src 0
		.amdhsa_exception_fp_ieee_div_zero 0
		.amdhsa_exception_fp_ieee_overflow 0
		.amdhsa_exception_fp_ieee_underflow 0
		.amdhsa_exception_fp_ieee_inexact 0
		.amdhsa_exception_int_div_zero 0
	.end_amdhsa_kernel
	.section	.text._ZL33flash_attn_stream_k_fixup_uniformILi128ELi8ELi8EEvPfPK15HIP_vector_typeIfLj2EEiiiiiiS1_IjLj3EES5_S5_,"axG",@progbits,_ZL33flash_attn_stream_k_fixup_uniformILi128ELi8ELi8EEvPfPK15HIP_vector_typeIfLj2EEiiiiiiS1_IjLj3EES5_S5_,comdat
.Lfunc_end2:
	.size	_ZL33flash_attn_stream_k_fixup_uniformILi128ELi8ELi8EEvPfPK15HIP_vector_typeIfLj2EEiiiiiiS1_IjLj3EES5_S5_, .Lfunc_end2-_ZL33flash_attn_stream_k_fixup_uniformILi128ELi8ELi8EEvPfPK15HIP_vector_typeIfLj2EEiiiiiiS1_IjLj3EES5_S5_
                                        ; -- End function
	.set _ZL33flash_attn_stream_k_fixup_uniformILi128ELi8ELi8EEvPfPK15HIP_vector_typeIfLj2EEiiiiiiS1_IjLj3EES5_S5_.num_vgpr, 11
	.set _ZL33flash_attn_stream_k_fixup_uniformILi128ELi8ELi8EEvPfPK15HIP_vector_typeIfLj2EEiiiiiiS1_IjLj3EES5_S5_.num_agpr, 0
	.set _ZL33flash_attn_stream_k_fixup_uniformILi128ELi8ELi8EEvPfPK15HIP_vector_typeIfLj2EEiiiiiiS1_IjLj3EES5_S5_.numbered_sgpr, 16
	.set _ZL33flash_attn_stream_k_fixup_uniformILi128ELi8ELi8EEvPfPK15HIP_vector_typeIfLj2EEiiiiiiS1_IjLj3EES5_S5_.num_named_barrier, 0
	.set _ZL33flash_attn_stream_k_fixup_uniformILi128ELi8ELi8EEvPfPK15HIP_vector_typeIfLj2EEiiiiiiS1_IjLj3EES5_S5_.private_seg_size, 0
	.set _ZL33flash_attn_stream_k_fixup_uniformILi128ELi8ELi8EEvPfPK15HIP_vector_typeIfLj2EEiiiiiiS1_IjLj3EES5_S5_.uses_vcc, 1
	.set _ZL33flash_attn_stream_k_fixup_uniformILi128ELi8ELi8EEvPfPK15HIP_vector_typeIfLj2EEiiiiiiS1_IjLj3EES5_S5_.uses_flat_scratch, 0
	.set _ZL33flash_attn_stream_k_fixup_uniformILi128ELi8ELi8EEvPfPK15HIP_vector_typeIfLj2EEiiiiiiS1_IjLj3EES5_S5_.has_dyn_sized_stack, 0
	.set _ZL33flash_attn_stream_k_fixup_uniformILi128ELi8ELi8EEvPfPK15HIP_vector_typeIfLj2EEiiiiiiS1_IjLj3EES5_S5_.has_recursion, 0
	.set _ZL33flash_attn_stream_k_fixup_uniformILi128ELi8ELi8EEvPfPK15HIP_vector_typeIfLj2EEiiiiiiS1_IjLj3EES5_S5_.has_indirect_call, 0
	.section	.AMDGPU.csdata,"",@progbits
; Kernel info:
; codeLenInByte = 1140
; TotalNumSgprs: 18
; NumVgprs: 11
; ScratchSize: 0
; MemoryBound: 0
; FloatMode: 240
; IeeeMode: 1
; LDSByteSize: 0 bytes/workgroup (compile time only)
; SGPRBlocks: 0
; VGPRBlocks: 1
; NumSGPRsForWavesPerEU: 18
; NumVGPRsForWavesPerEU: 11
; Occupancy: 16
; WaveLimiterHint : 0
; COMPUTE_PGM_RSRC2:SCRATCH_EN: 0
; COMPUTE_PGM_RSRC2:USER_SGPR: 2
; COMPUTE_PGM_RSRC2:TRAP_HANDLER: 0
; COMPUTE_PGM_RSRC2:TGID_X_EN: 1
; COMPUTE_PGM_RSRC2:TGID_Y_EN: 1
; COMPUTE_PGM_RSRC2:TGID_Z_EN: 1
; COMPUTE_PGM_RSRC2:TIDIG_COMP_CNT: 0
	.section	.text._ZL33flash_attn_stream_k_fixup_generalILi128ELi8ELi8EEvPfPK15HIP_vector_typeIfLj2EEiiiiS1_IjLj3EES5_S5_S5_,"axG",@progbits,_ZL33flash_attn_stream_k_fixup_generalILi128ELi8ELi8EEvPfPK15HIP_vector_typeIfLj2EEiiiiS1_IjLj3EES5_S5_S5_,comdat
	.globl	_ZL33flash_attn_stream_k_fixup_generalILi128ELi8ELi8EEvPfPK15HIP_vector_typeIfLj2EEiiiiS1_IjLj3EES5_S5_S5_ ; -- Begin function _ZL33flash_attn_stream_k_fixup_generalILi128ELi8ELi8EEvPfPK15HIP_vector_typeIfLj2EEiiiiS1_IjLj3EES5_S5_S5_
	.p2align	8
	.type	_ZL33flash_attn_stream_k_fixup_generalILi128ELi8ELi8EEvPfPK15HIP_vector_typeIfLj2EEiiiiS1_IjLj3EES5_S5_S5_,@function
_ZL33flash_attn_stream_k_fixup_generalILi128ELi8ELi8EEvPfPK15HIP_vector_typeIfLj2EEiiiiS1_IjLj3EES5_S5_S5_: ; @_ZL33flash_attn_stream_k_fixup_generalILi128ELi8ELi8EEvPfPK15HIP_vector_typeIfLj2EEiiiiS1_IjLj3EES5_S5_S5_
; %bb.0:
	s_clause 0x1
	s_load_b128 s[4:7], s[0:1], 0x10
	s_load_b32 s16, s[0:1], 0x50
	s_mov_b32 s2, ttmp9
	s_ashr_i32 s3, ttmp9, 31
	s_mov_b32 s17, 0
	s_delay_alu instid0(SALU_CYCLE_1) | instskip(SKIP_3) | instid1(SALU_CYCLE_1)
	s_mov_b32 s8, s17
	s_wait_kmcnt 0x0
	s_ashr_i32 s19, s7, 31
	s_mov_b32 s18, s7
	s_mul_u64 s[2:3], s[18:19], s[2:3]
	s_delay_alu instid0(SALU_CYCLE_1) | instskip(NEXT) | instid1(SALU_CYCLE_1)
	s_mov_b32 s9, s3
	s_cmp_lg_u64 s[8:9], 0
	s_cbranch_scc0 .LBB3_21
; %bb.1:
	s_add_nc_u64 s[8:9], s[16:17], 0
	s_mov_b32 s15, s17
	s_xor_b64 s[8:9], s[8:9], 0
	s_mov_b32 s23, s17
	s_cvt_f32_u32 s7, s8
	s_cvt_f32_u32 s10, s9
	s_sub_nc_u64 s[12:13], 0, s[8:9]
	s_delay_alu instid0(SALU_CYCLE_2) | instskip(NEXT) | instid1(SALU_CYCLE_3)
	s_fmamk_f32 s7, s10, 0x4f800000, s7
	v_s_rcp_f32 s7, s7
	s_delay_alu instid0(TRANS32_DEP_1) | instskip(SKIP_1) | instid1(SALU_CYCLE_2)
	s_mul_f32 s7, s7, 0x5f7ffffc
	s_wait_alu 0xfffe
	s_mul_f32 s10, s7, 0x2f800000
	s_delay_alu instid0(SALU_CYCLE_3) | instskip(NEXT) | instid1(SALU_CYCLE_3)
	s_trunc_f32 s10, s10
	s_fmamk_f32 s7, s10, 0xcf800000, s7
	s_cvt_u32_f32 s11, s10
	s_wait_alu 0xfffe
	s_delay_alu instid0(SALU_CYCLE_1) | instskip(NEXT) | instid1(SALU_CYCLE_3)
	s_cvt_u32_f32 s10, s7
	s_mul_u64 s[20:21], s[12:13], s[10:11]
	s_delay_alu instid0(SALU_CYCLE_1)
	s_mul_hi_u32 s25, s10, s21
	s_mul_i32 s24, s10, s21
	s_mul_hi_u32 s14, s10, s20
	s_mul_i32 s22, s11, s20
	s_add_nc_u64 s[14:15], s[14:15], s[24:25]
	s_mul_hi_u32 s7, s11, s20
	s_mul_hi_u32 s26, s11, s21
	s_add_co_u32 s14, s14, s22
	s_wait_alu 0xfffe
	s_add_co_ci_u32 s22, s15, s7
	s_mul_i32 s20, s11, s21
	s_add_co_ci_u32 s21, s26, 0
	s_delay_alu instid0(SALU_CYCLE_1)
	s_add_nc_u64 s[14:15], s[22:23], s[20:21]
	s_mov_b32 s21, s17
	s_add_co_u32 s10, s10, s14
	s_cselect_b32 s7, -1, 0
	s_wait_alu 0xfffe
	s_cmp_lg_u32 s7, 0
	s_add_co_ci_u32 s11, s11, s15
	s_mov_b32 s15, s17
	s_mul_u64 s[12:13], s[12:13], s[10:11]
	s_delay_alu instid0(SALU_CYCLE_1)
	s_mul_hi_u32 s23, s10, s13
	s_mul_i32 s22, s10, s13
	s_mul_hi_u32 s14, s10, s12
	s_mul_i32 s20, s11, s12
	s_add_nc_u64 s[14:15], s[14:15], s[22:23]
	s_mul_hi_u32 s7, s11, s12
	s_mul_hi_u32 s24, s11, s13
	s_mul_i32 s12, s11, s13
	s_add_co_u32 s13, s14, s20
	s_wait_alu 0xfffe
	s_add_co_ci_u32 s20, s15, s7
	s_add_co_ci_u32 s13, s24, 0
	s_mov_b32 s15, s17
	s_add_nc_u64 s[12:13], s[20:21], s[12:13]
	s_delay_alu instid0(SALU_CYCLE_1) | instskip(SKIP_1) | instid1(SALU_CYCLE_1)
	s_add_co_u32 s7, s10, s12
	s_cselect_b32 s10, -1, 0
	s_cmp_lg_u32 s10, 0
	s_add_co_ci_u32 s20, s11, s13
	s_ashr_i32 s10, s3, 31
	s_delay_alu instid0(SALU_CYCLE_1) | instskip(NEXT) | instid1(SALU_CYCLE_1)
	s_mov_b32 s11, s10
	s_add_nc_u64 s[12:13], s[2:3], s[10:11]
	s_delay_alu instid0(SALU_CYCLE_1) | instskip(NEXT) | instid1(SALU_CYCLE_1)
	s_xor_b64 s[12:13], s[12:13], s[10:11]
	s_mul_hi_u32 s23, s12, s20
	s_mul_i32 s22, s12, s20
	s_wait_alu 0xfffe
	s_mul_hi_u32 s14, s12, s7
	s_mul_hi_u32 s24, s13, s7
	s_mul_i32 s7, s13, s7
	s_add_nc_u64 s[14:15], s[14:15], s[22:23]
	s_mul_hi_u32 s3, s13, s20
	s_wait_alu 0xfffe
	s_add_co_u32 s7, s14, s7
	s_mul_i32 s22, s13, s20
	s_add_co_ci_u32 s20, s15, s24
	s_add_co_ci_u32 s23, s3, 0
	s_delay_alu instid0(SALU_CYCLE_1) | instskip(NEXT) | instid1(SALU_CYCLE_1)
	s_add_nc_u64 s[14:15], s[20:21], s[22:23]
	s_mul_u64 s[20:21], s[8:9], s[14:15]
	s_delay_alu instid0(SALU_CYCLE_1)
	s_sub_co_u32 s3, s12, s20
	s_cselect_b32 s7, -1, 0
	s_sub_co_i32 s12, s13, s21
	s_wait_alu 0xfffe
	s_cmp_lg_u32 s7, 0
	s_sub_co_ci_u32 s12, s12, s9
	s_sub_co_u32 s20, s3, s8
	s_cselect_b32 s22, -1, 0
	s_delay_alu instid0(SALU_CYCLE_1) | instskip(SKIP_2) | instid1(SALU_CYCLE_1)
	s_cmp_lg_u32 s22, 0
	s_add_nc_u64 s[22:23], s[14:15], 1
	s_sub_co_ci_u32 s12, s12, 0
	s_cmp_ge_u32 s12, s9
	s_cselect_b32 s24, -1, 0
	s_cmp_ge_u32 s20, s8
	s_cselect_b32 s20, -1, 0
	s_cmp_eq_u32 s12, s9
	s_cselect_b32 s12, s20, s24
	s_add_nc_u64 s[24:25], s[14:15], 2
	s_cmp_lg_u32 s12, 0
	s_cselect_b32 s12, s24, s22
	s_cselect_b32 s20, s25, s23
	s_cmp_lg_u32 s7, 0
	s_sub_co_ci_u32 s7, s13, s21
	s_wait_alu 0xfffe
	s_cmp_ge_u32 s7, s9
	s_cselect_b32 s13, -1, 0
	s_cmp_ge_u32 s3, s8
	s_cselect_b32 s3, -1, 0
	s_cmp_eq_u32 s7, s9
	s_cselect_b32 s3, s3, s13
	s_delay_alu instid0(SALU_CYCLE_1) | instskip(SKIP_4) | instid1(SALU_CYCLE_1)
	s_cmp_lg_u32 s3, 0
	s_mov_b32 s3, s17
	s_cselect_b32 s9, s20, s15
	s_cselect_b32 s8, s12, s14
	s_xor_b64 s[10:11], s[10:11], 0
	s_xor_b64 s[8:9], s[8:9], s[10:11]
	s_delay_alu instid0(SALU_CYCLE_1)
	s_sub_nc_u64 s[20:21], s[8:9], s[10:11]
	s_and_not1_b32 vcc_lo, exec_lo, s3
	s_cbranch_vccnz .LBB3_3
.LBB3_2:
	v_cvt_f32_u32_e32 v1, s16
	s_sub_co_i32 s7, 0, s16
	s_delay_alu instid0(VALU_DEP_1) | instskip(NEXT) | instid1(TRANS32_DEP_1)
	v_rcp_iflag_f32_e32 v1, v1
	v_mul_f32_e32 v1, 0x4f7ffffe, v1
	s_delay_alu instid0(VALU_DEP_1) | instskip(NEXT) | instid1(VALU_DEP_1)
	v_cvt_u32_f32_e32 v1, v1
	v_readfirstlane_b32 s3, v1
	s_wait_alu 0xfffe
	s_mul_i32 s7, s7, s3
	s_wait_alu 0xfffe
	s_mul_hi_u32 s7, s3, s7
	s_wait_alu 0xfffe
	s_add_co_i32 s3, s3, s7
	s_delay_alu instid0(SALU_CYCLE_1) | instskip(NEXT) | instid1(SALU_CYCLE_1)
	s_mul_hi_u32 s3, s2, s3
	s_mul_i32 s7, s3, s16
	s_wait_alu 0xfffe
	s_sub_co_i32 s2, s2, s7
	s_add_co_i32 s7, s3, 1
	s_sub_co_i32 s8, s2, s16
	s_cmp_ge_u32 s2, s16
	s_wait_alu 0xfffe
	s_cselect_b32 s3, s7, s3
	s_cselect_b32 s2, s8, s2
	s_add_co_i32 s7, s3, 1
	s_cmp_ge_u32 s2, s16
	s_wait_alu 0xfffe
	s_cselect_b32 s20, s7, s3
.LBB3_3:
	s_add_co_i32 s2, ttmp9, 1
	s_mov_b32 s8, 0
	s_ashr_i32 s3, s2, 31
	s_delay_alu instid0(SALU_CYCLE_1) | instskip(NEXT) | instid1(SALU_CYCLE_1)
	s_mul_u64 s[2:3], s[18:19], s[2:3]
	s_mov_b32 s9, s3
	s_delay_alu instid0(SALU_CYCLE_1)
	s_cmp_lg_u64 s[8:9], 0
	s_cbranch_scc0 .LBB3_22
; %bb.4:
	s_add_nc_u64 s[10:11], s[16:17], 0
	s_mov_b32 s23, s8
	s_xor_b64 s[10:11], s[10:11], 0
	s_mov_b32 s27, s8
	s_cvt_f32_u32 s7, s10
	s_cvt_f32_u32 s9, s11
	s_sub_nc_u64 s[14:15], 0, s[10:11]
	s_wait_alu 0xfffe
	s_delay_alu instid0(SALU_CYCLE_1) | instskip(SKIP_1) | instid1(SALU_CYCLE_2)
	s_fmamk_f32 s7, s9, 0x4f800000, s7
	s_wait_alu 0xfffe
	v_s_rcp_f32 s7, s7
	s_delay_alu instid0(TRANS32_DEP_1) | instskip(SKIP_1) | instid1(SALU_CYCLE_2)
	s_mul_f32 s7, s7, 0x5f7ffffc
	s_wait_alu 0xfffe
	s_mul_f32 s9, s7, 0x2f800000
	s_delay_alu instid0(SALU_CYCLE_3) | instskip(NEXT) | instid1(SALU_CYCLE_3)
	s_trunc_f32 s9, s9
	s_fmamk_f32 s7, s9, 0xcf800000, s7
	s_cvt_u32_f32 s13, s9
	s_wait_alu 0xfffe
	s_delay_alu instid0(SALU_CYCLE_1) | instskip(NEXT) | instid1(SALU_CYCLE_3)
	s_cvt_u32_f32 s12, s7
	s_mul_u64 s[24:25], s[14:15], s[12:13]
	s_delay_alu instid0(SALU_CYCLE_1)
	s_mul_hi_u32 s29, s12, s25
	s_mul_i32 s28, s12, s25
	s_mul_hi_u32 s22, s12, s24
	s_mul_i32 s9, s13, s24
	s_add_nc_u64 s[22:23], s[22:23], s[28:29]
	s_mul_hi_u32 s7, s13, s24
	s_mul_hi_u32 s21, s13, s25
	s_add_co_u32 s9, s22, s9
	s_wait_alu 0xfffe
	s_add_co_ci_u32 s26, s23, s7
	s_mul_i32 s24, s13, s25
	s_add_co_ci_u32 s25, s21, 0
	s_delay_alu instid0(SALU_CYCLE_1)
	s_add_nc_u64 s[22:23], s[26:27], s[24:25]
	s_mov_b32 s25, s8
	s_add_co_u32 s12, s12, s22
	s_cselect_b32 s7, -1, 0
	s_wait_alu 0xfffe
	s_cmp_lg_u32 s7, 0
	s_add_co_ci_u32 s13, s13, s23
	s_mov_b32 s23, s8
	s_mul_u64 s[14:15], s[14:15], s[12:13]
	s_delay_alu instid0(SALU_CYCLE_1)
	s_mul_hi_u32 s27, s12, s15
	s_mul_i32 s26, s12, s15
	s_mul_hi_u32 s22, s12, s14
	s_mul_i32 s9, s13, s14
	s_add_nc_u64 s[22:23], s[22:23], s[26:27]
	s_mul_hi_u32 s7, s13, s14
	s_mul_hi_u32 s21, s13, s15
	s_add_co_u32 s9, s22, s9
	s_wait_alu 0xfffe
	s_add_co_ci_u32 s24, s23, s7
	s_mul_i32 s14, s13, s15
	s_add_co_ci_u32 s15, s21, 0
	s_mov_b32 s23, s8
	s_add_nc_u64 s[14:15], s[24:25], s[14:15]
	s_delay_alu instid0(SALU_CYCLE_1) | instskip(SKIP_1) | instid1(SALU_CYCLE_1)
	s_add_co_u32 s7, s12, s14
	s_cselect_b32 s9, -1, 0
	s_cmp_lg_u32 s9, 0
	s_add_co_ci_u32 s9, s13, s15
	s_ashr_i32 s12, s3, 31
	s_delay_alu instid0(SALU_CYCLE_1) | instskip(NEXT) | instid1(SALU_CYCLE_1)
	s_mov_b32 s13, s12
	s_add_nc_u64 s[14:15], s[2:3], s[12:13]
	s_delay_alu instid0(SALU_CYCLE_1) | instskip(NEXT) | instid1(SALU_CYCLE_1)
	s_xor_b64 s[14:15], s[14:15], s[12:13]
	s_mul_hi_u32 s27, s14, s9
	s_mul_i32 s26, s14, s9
	s_wait_alu 0xfffe
	s_mul_hi_u32 s22, s14, s7
	s_mul_hi_u32 s21, s15, s7
	s_mul_i32 s7, s15, s7
	s_add_nc_u64 s[22:23], s[22:23], s[26:27]
	s_mul_hi_u32 s3, s15, s9
	s_wait_alu 0xfffe
	s_add_co_u32 s7, s22, s7
	s_add_co_ci_u32 s24, s23, s21
	s_mul_i32 s26, s15, s9
	s_add_co_ci_u32 s27, s3, 0
	s_delay_alu instid0(SALU_CYCLE_1) | instskip(NEXT) | instid1(SALU_CYCLE_1)
	s_add_nc_u64 s[22:23], s[24:25], s[26:27]
	s_mul_u64 s[24:25], s[10:11], s[22:23]
	s_add_nc_u64 s[26:27], s[22:23], 1
	s_sub_co_u32 s3, s14, s24
	s_cselect_b32 s7, -1, 0
	s_sub_co_i32 s9, s15, s25
	s_wait_alu 0xfffe
	s_cmp_lg_u32 s7, 0
	s_add_nc_u64 s[28:29], s[22:23], 2
	s_sub_co_ci_u32 s9, s9, s11
	s_sub_co_u32 s14, s3, s10
	s_cselect_b32 s21, -1, 0
	s_delay_alu instid0(SALU_CYCLE_1) | instskip(SKIP_1) | instid1(SALU_CYCLE_1)
	s_cmp_lg_u32 s21, 0
	s_sub_co_ci_u32 s9, s9, 0
	s_cmp_ge_u32 s9, s11
	s_cselect_b32 s21, -1, 0
	s_cmp_ge_u32 s14, s10
	s_cselect_b32 s14, -1, 0
	s_cmp_eq_u32 s9, s11
	s_cselect_b32 s9, s14, s21
	s_delay_alu instid0(SALU_CYCLE_1)
	s_cmp_lg_u32 s9, 0
	s_cselect_b32 s9, s28, s26
	s_cselect_b32 s14, s29, s27
	s_cmp_lg_u32 s7, 0
	s_sub_co_ci_u32 s7, s15, s25
	s_wait_alu 0xfffe
	s_cmp_ge_u32 s7, s11
	s_cselect_b32 s15, -1, 0
	s_cmp_ge_u32 s3, s10
	s_cselect_b32 s3, -1, 0
	s_cmp_eq_u32 s7, s11
	s_cselect_b32 s3, s3, s15
	s_delay_alu instid0(SALU_CYCLE_1) | instskip(SKIP_3) | instid1(SALU_CYCLE_1)
	s_cmp_lg_u32 s3, 0
	s_cselect_b32 s11, s14, s23
	s_cselect_b32 s10, s9, s22
	s_xor_b64 s[12:13], s[12:13], 0
	s_xor_b64 s[10:11], s[10:11], s[12:13]
	s_delay_alu instid0(SALU_CYCLE_1)
	s_sub_nc_u64 s[10:11], s[10:11], s[12:13]
	s_load_b96 s[12:14], s[0:1], 0x44
	s_and_not1_b32 vcc_lo, exec_lo, s8
	s_cbranch_vccnz .LBB3_6
.LBB3_5:
	v_cvt_f32_u32_e32 v1, s16
	s_sub_co_i32 s7, 0, s16
	s_delay_alu instid0(VALU_DEP_1) | instskip(NEXT) | instid1(TRANS32_DEP_1)
	v_rcp_iflag_f32_e32 v1, v1
	v_mul_f32_e32 v1, 0x4f7ffffe, v1
	s_delay_alu instid0(VALU_DEP_1) | instskip(NEXT) | instid1(VALU_DEP_1)
	v_cvt_u32_f32_e32 v1, v1
	v_readfirstlane_b32 s3, v1
	s_wait_alu 0xfffe
	s_mul_i32 s7, s7, s3
	s_wait_alu 0xfffe
	s_mul_hi_u32 s7, s3, s7
	s_wait_alu 0xfffe
	s_add_co_i32 s3, s3, s7
	s_delay_alu instid0(SALU_CYCLE_1) | instskip(NEXT) | instid1(SALU_CYCLE_1)
	s_mul_hi_u32 s3, s2, s3
	s_mul_i32 s7, s3, s16
	s_wait_alu 0xfffe
	s_sub_co_i32 s2, s2, s7
	s_add_co_i32 s7, s3, 1
	s_sub_co_i32 s8, s2, s16
	s_cmp_ge_u32 s2, s16
	s_wait_alu 0xfffe
	s_cselect_b32 s3, s7, s3
	s_cselect_b32 s2, s8, s2
	s_add_co_i32 s7, s3, 1
	s_cmp_ge_u32 s2, s16
	s_wait_alu 0xfffe
	s_cselect_b32 s10, s7, s3
.LBB3_6:
	s_mov_b32 s21, 0
	s_wait_kmcnt 0x0
	s_mov_b32 s22, s12
	s_mov_b32 s23, s21
	s_cmp_eq_u32 s20, s10
	s_mul_u64 s[2:3], s[20:21], s[22:23]
	s_cselect_b32 s7, -1, 0
	s_add_co_i32 s2, s3, s20
	s_mov_b32 s11, s21
	s_lshr_b32 s12, s2, s13
	s_mul_u64 s[2:3], s[10:11], s[22:23]
	s_mul_i32 s2, s12, s14
	s_delay_alu instid0(SALU_CYCLE_1) | instskip(SKIP_2) | instid1(SALU_CYCLE_1)
	s_cmp_eq_u32 s2, s20
	s_cselect_b32 s2, -1, 0
	s_add_co_i32 s3, s3, s10
	s_lshr_b32 s3, s3, s13
	s_delay_alu instid0(SALU_CYCLE_1)
	s_cmp_eq_u32 s12, s3
	s_mul_i32 s3, s3, s14
	s_cselect_b32 s8, -1, 0
	s_cmp_lg_u32 s3, s10
	s_cselect_b32 s3, -1, 0
	s_wait_alu 0xfffe
	s_or_b32 s2, s7, s2
	s_and_b32 s3, s8, s3
	s_delay_alu instid0(SALU_CYCLE_1) | instskip(NEXT) | instid1(SALU_CYCLE_1)
	s_or_b32 s2, s2, s3
	s_and_b32 vcc_lo, exec_lo, s2
	s_cbranch_vccnz .LBB3_24
; %bb.7:
	s_load_b256 s[24:31], s[0:1], 0x20
	s_mov_b32 s3, s21
	s_wait_kmcnt 0x0
	s_mov_b32 s2, s24
	s_delay_alu instid0(SALU_CYCLE_1) | instskip(NEXT) | instid1(SALU_CYCLE_1)
	s_mul_u64 s[2:3], s[20:21], s[2:3]
	s_add_co_i32 s2, s3, s20
	s_delay_alu instid0(SALU_CYCLE_1) | instskip(SKIP_2) | instid1(SALU_CYCLE_1)
	s_lshr_b32 s7, s2, s25
	s_load_b32 s2, s[0:1], 0x40
	s_mul_i32 s3, s7, s26
	s_sub_co_i32 s3, s20, s3
	s_delay_alu instid0(SALU_CYCLE_1) | instskip(NEXT) | instid1(SALU_CYCLE_1)
	s_mul_hi_u32 s8, s3, s27
	s_add_co_i32 s8, s3, s8
	s_delay_alu instid0(SALU_CYCLE_1) | instskip(NEXT) | instid1(SALU_CYCLE_1)
	s_lshr_b32 s8, s8, s28
	s_mul_i32 s9, s8, s29
	s_delay_alu instid0(SALU_CYCLE_1) | instskip(NEXT) | instid1(SALU_CYCLE_1)
	s_sub_co_i32 s9, s3, s9
	s_mul_hi_u32 s3, s9, s30
	s_delay_alu instid0(SALU_CYCLE_1) | instskip(NEXT) | instid1(SALU_CYCLE_1)
	s_add_co_i32 s3, s9, s3
	s_lshr_b32 s24, s3, s31
	s_mov_b32 s3, s21
	s_wait_kmcnt 0x0
	s_mul_i32 s2, s24, s2
	s_lshl_b32 s21, s24, 3
	s_sub_co_i32 s2, s9, s2
	s_delay_alu instid0(SALU_CYCLE_1) | instskip(SKIP_2) | instid1(SALU_CYCLE_1)
	s_mul_u64 s[10:11], s[2:3], s[22:23]
	s_lshr_b32 s3, ttmp7, 16
	s_add_co_i32 s2, s2, s11
	s_lshr_b32 s15, s2, s13
	s_and_b32 s2, ttmp7, 0xffff
	s_lshl_b32 s9, s15, 3
	s_delay_alu instid0(SALU_CYCLE_1) | instskip(NEXT) | instid1(SALU_CYCLE_1)
	s_add_co_i32 s9, s9, s2
	s_cmp_lt_i32 s9, s4
	s_cselect_b32 s9, -1, 0
	s_add_co_i32 s10, s21, s3
	s_delay_alu instid0(SALU_CYCLE_1) | instskip(SKIP_1) | instid1(SALU_CYCLE_1)
	s_cmp_lt_i32 s10, s6
	s_cselect_b32 s10, -1, 0
	s_and_b32 s9, s9, s10
	s_delay_alu instid0(SALU_CYCLE_1)
	s_and_not1_b32 vcc_lo, exec_lo, s9
	s_cbranch_vccnz .LBB3_24
; %bb.8:
	s_mul_i32 s4, s7, s4
	s_mul_i32 s6, s8, s6
	s_add_co_i32 s4, s4, s2
	s_load_b128 s[8:11], s[0:1], 0x0
	s_mul_i32 s4, s4, s5
	s_mul_i32 s1, s5, s15
	s_add_co_i32 s4, s4, s3
	s_lshl_b32 s1, s1, 10
	s_add_co_i32 s0, s4, s6
	s_lshl_b32 s15, s2, 3
	s_add_co_i32 s0, s0, s21
	s_add_co_i32 s15, s15, s3
	s_lshl_b32 s0, s0, 7
	v_cvt_f32_u32_e32 v4, s16
	s_add_co_i32 s1, s1, s0
	s_add_co_i32 s34, ttmp9, -1
	v_or_b32_e32 v1, s1, v0
	s_add_nc_u64 s[0:1], s[16:17], 0
	v_rcp_iflag_f32_e32 v4, v4
	s_wait_alu 0xfffe
	s_xor_b64 s[6:7], s[0:1], 0
	s_lshl_b32 s0, ttmp9, 6
	v_ashrrev_i32_e32 v2, 31, v1
	s_wait_alu 0xfffe
	s_cvt_f32_u32 s1, s6
	s_cvt_f32_u32 s2, s7
	s_add_co_i32 s0, s15, s0
	v_lshl_or_b32 v0, s15, 7, v0
	v_lshlrev_b64_e32 v[1:2], 2, v[1:2]
	s_wait_alu 0xfffe
	s_fmamk_f32 s2, s2, 0x4f800000, s1
	s_ashr_i32 s1, s0, 31
	s_sub_nc_u64 s[30:31], 0, s[6:7]
	s_wait_alu 0xfffe
	s_lshl_b64 s[0:1], s[0:1], 3
	v_s_rcp_f32 s2, s2
	s_wait_kmcnt 0x0
	v_add_co_u32 v1, vcc_lo, s8, v1
	s_delay_alu instid0(VALU_DEP_1)
	v_add_co_ci_u32_e64 v2, null, s9, v2, vcc_lo
	s_wait_alu 0xfffe
	s_add_nc_u64 s[0:1], s[10:11], s[0:1]
	s_mov_b32 s8, 0
	s_load_b64 s[26:27], s[0:1], 0x0
	global_load_b32 v3, v[1:2], off
	s_mul_f32 s2, s2, 0x5f7ffffc
	v_mul_f32_e32 v4, 0x4f7ffffe, v4
	s_lshl_b32 s0, s16, 8
	s_wait_alu 0xfffe
	s_mul_f32 s1, s2, 0x2f800000
	s_wait_alu 0xfffe
	s_delay_alu instid0(SALU_CYCLE_2)
	s_trunc_f32 s3, s1
	s_mov_b32 s1, s8
	s_wait_alu 0xfffe
	s_lshl_b64 s[0:1], s[0:1], 2
	s_fmamk_f32 s2, s3, 0xcf800000, s2
	s_cvt_u32_f32 s29, s3
	s_wait_alu 0xfffe
	s_add_nc_u64 s[24:25], s[10:11], s[0:1]
	s_cvt_u32_f32 s28, s2
	s_wait_kmcnt 0x0
	v_mov_b32_e32 v5, s27
	v_cvt_u32_f32_e32 v4, v4
.LBB3_9:                                ; =>This Inner Loop Header: Depth=1
	s_wait_alu 0xfffe
	s_ashr_i32 s35, s34, 31
	s_mov_b32 s2, -1
	s_wait_alu 0xfffe
	s_mul_u64 s[0:1], s[34:35], s[18:19]
                                        ; implicit-def: $sgpr38_sgpr39
	s_wait_alu 0xfffe
	s_mov_b32 s9, s1
	s_wait_alu 0xfffe
	s_cmp_lg_u64 s[8:9], 0
	s_cbranch_scc0 .LBB3_11
; %bb.10:                               ;   in Loop: Header=BB3_9 Depth=1
	s_mul_u64 s[2:3], s[30:31], s[28:29]
	s_mov_b32 s37, s8
	s_wait_alu 0xfffe
	s_mul_hi_u32 s5, s28, s3
	s_mul_i32 s4, s28, s3
	s_mul_hi_u32 s36, s28, s2
	s_mul_hi_u32 s9, s29, s2
	s_wait_alu 0xfffe
	s_add_nc_u64 s[4:5], s[36:37], s[4:5]
	s_mul_i32 s2, s29, s2
	s_mul_hi_u32 s17, s29, s3
	s_wait_alu 0xfffe
	s_add_co_u32 s2, s4, s2
	s_add_co_ci_u32 s2, s5, s9
	s_add_co_ci_u32 s5, s17, 0
	s_mul_i32 s4, s29, s3
	s_mov_b32 s3, s8
	s_mov_b32 s39, s8
	s_wait_alu 0xfffe
	s_add_nc_u64 s[2:3], s[2:3], s[4:5]
	s_wait_alu 0xfffe
	s_add_co_u32 s2, s28, s2
	s_cselect_b32 s4, -1, 0
	s_wait_alu 0xfffe
	s_cmp_lg_u32 s4, 0
	s_add_co_ci_u32 s3, s29, s3
	s_wait_alu 0xfffe
	s_mul_u64 s[4:5], s[30:31], s[2:3]
	s_wait_alu 0xfffe
	s_mul_hi_u32 s37, s2, s5
	s_mul_i32 s36, s2, s5
	s_mul_hi_u32 s38, s2, s4
	s_mul_hi_u32 s9, s3, s4
	s_mul_i32 s4, s3, s4
	s_wait_alu 0xfffe
	s_add_nc_u64 s[36:37], s[38:39], s[36:37]
	s_mul_hi_u32 s17, s3, s5
	s_wait_alu 0xfffe
	s_add_co_u32 s4, s36, s4
	s_add_co_ci_u32 s4, s37, s9
	s_add_co_ci_u32 s37, s17, 0
	s_mul_i32 s36, s3, s5
	s_mov_b32 s5, s8
	s_wait_alu 0xfffe
	s_add_nc_u64 s[4:5], s[4:5], s[36:37]
	s_mov_b32 s37, s8
	s_wait_alu 0xfffe
	s_add_co_u32 s9, s2, s4
	s_cselect_b32 s2, -1, 0
	s_wait_alu 0xfffe
	s_cmp_lg_u32 s2, 0
	s_add_co_ci_u32 s17, s3, s5
	s_ashr_i32 s2, s1, 31
	s_wait_alu 0xfffe
	s_mov_b32 s3, s2
	s_wait_alu 0xfffe
	s_add_nc_u64 s[4:5], s[0:1], s[2:3]
	s_wait_alu 0xfffe
	s_xor_b64 s[4:5], s[4:5], s[2:3]
	s_wait_alu 0xfffe
	s_mul_hi_u32 s39, s4, s17
	s_mul_i32 s38, s4, s17
	s_mul_hi_u32 s36, s4, s9
	s_mul_i32 s21, s5, s9
	s_wait_alu 0xfffe
	s_add_nc_u64 s[36:37], s[36:37], s[38:39]
	s_mul_hi_u32 s9, s5, s9
	s_mul_hi_u32 s1, s5, s17
	s_wait_alu 0xfffe
	s_add_co_u32 s21, s36, s21
	s_add_co_ci_u32 s36, s37, s9
	s_add_co_ci_u32 s39, s1, 0
	s_mul_i32 s38, s5, s17
	s_mov_b32 s37, s8
	s_wait_alu 0xfffe
	s_add_nc_u64 s[36:37], s[36:37], s[38:39]
	s_wait_alu 0xfffe
	s_mul_u64 s[38:39], s[6:7], s[36:37]
	s_add_nc_u64 s[40:41], s[36:37], 1
	s_sub_co_u32 s1, s4, s38
	s_cselect_b32 s4, -1, 0
	s_sub_co_i32 s9, s5, s39
	s_wait_alu 0xfffe
	s_cmp_lg_u32 s4, 0
	s_add_nc_u64 s[42:43], s[36:37], 2
	s_sub_co_ci_u32 s9, s9, s7
	s_sub_co_u32 s17, s1, s6
	s_cselect_b32 s21, -1, 0
	s_delay_alu instid0(SALU_CYCLE_1)
	s_cmp_lg_u32 s21, 0
	s_wait_alu 0xfffe
	s_sub_co_ci_u32 s9, s9, 0
	s_wait_alu 0xfffe
	s_cmp_ge_u32 s9, s7
	s_cselect_b32 s21, -1, 0
	s_cmp_ge_u32 s17, s6
	s_cselect_b32 s17, -1, 0
	s_cmp_eq_u32 s9, s7
	s_wait_alu 0xfffe
	s_cselect_b32 s9, s17, s21
	s_wait_alu 0xfffe
	s_cmp_lg_u32 s9, 0
	s_cselect_b32 s9, s42, s40
	s_cselect_b32 s17, s43, s41
	s_cmp_lg_u32 s4, 0
	s_sub_co_ci_u32 s4, s5, s39
	s_wait_alu 0xfffe
	s_cmp_ge_u32 s4, s7
	s_cselect_b32 s5, -1, 0
	s_cmp_ge_u32 s1, s6
	s_cselect_b32 s1, -1, 0
	s_cmp_eq_u32 s4, s7
	s_wait_alu 0xfffe
	s_cselect_b32 s1, s1, s5
	s_wait_alu 0xfffe
	s_cmp_lg_u32 s1, 0
	s_cselect_b32 s5, s17, s37
	s_cselect_b32 s4, s9, s36
	s_xor_b64 s[2:3], s[2:3], 0
	s_wait_alu 0xfffe
	s_xor_b64 s[4:5], s[4:5], s[2:3]
	s_wait_alu 0xfffe
	s_sub_nc_u64 s[38:39], s[4:5], s[2:3]
	s_mov_b32 s2, 0
.LBB3_11:                               ;   in Loop: Header=BB3_9 Depth=1
	s_wait_alu 0xfffe
	s_and_not1_b32 vcc_lo, exec_lo, s2
	s_wait_alu 0xfffe
	s_cbranch_vccnz .LBB3_13
; %bb.12:                               ;   in Loop: Header=BB3_9 Depth=1
	v_readfirstlane_b32 s1, v4
	s_sub_co_i32 s2, 0, s16
	s_wait_alu 0xfffe
	s_mul_i32 s2, s2, s1
	s_wait_alu 0xfffe
	s_mul_hi_u32 s2, s1, s2
	s_wait_alu 0xfffe
	s_add_co_i32 s1, s1, s2
	s_wait_alu 0xfffe
	s_mul_hi_u32 s1, s0, s1
	s_wait_alu 0xfffe
	s_mul_i32 s2, s1, s16
	s_wait_alu 0xfffe
	s_sub_co_i32 s0, s0, s2
	s_add_co_i32 s2, s1, 1
	s_wait_alu 0xfffe
	s_sub_co_i32 s3, s0, s16
	s_cmp_ge_u32 s0, s16
	s_cselect_b32 s1, s2, s1
	s_wait_alu 0xfffe
	s_cselect_b32 s0, s3, s0
	s_add_co_i32 s2, s1, 1
	s_wait_alu 0xfffe
	s_cmp_ge_u32 s0, s16
	s_cselect_b32 s38, s2, s1
.LBB3_13:                               ;   in Loop: Header=BB3_9 Depth=1
	v_readfirstlane_b32 s9, v0
	s_cmp_lg_u32 s20, s38
	s_mov_b32 s0, -1
                                        ; implicit-def: $sgpr21
                                        ; implicit-def: $vgpr6
                                        ; implicit-def: $vgpr7
                                        ; implicit-def: $sgpr17
                                        ; implicit-def: $sgpr27
	s_cbranch_scc1 .LBB3_16
; %bb.14:                               ;   in Loop: Header=BB3_9 Depth=1
	s_wait_alu 0xfffe
	s_and_not1_b32 vcc_lo, exec_lo, s0
	s_wait_alu 0xfffe
	s_cbranch_vccz .LBB3_19
.LBB3_15:                               ;   in Loop: Header=BB3_9 Depth=1
	s_and_not1_b32 vcc_lo, exec_lo, s21
	s_wait_alu 0xfffe
	s_cbranch_vccnz .LBB3_20
	s_branch .LBB3_23
.LBB3_16:                               ;   in Loop: Header=BB3_9 Depth=1
	s_add_co_i32 s0, s34, s16
	s_mov_b32 s1, s8
	s_wait_alu 0xfffe
	s_lshl_b32 s0, s0, 6
	v_max_num_f32_e64 v6, s26, s26
	s_wait_alu 0xfffe
	s_add_co_i32 s0, s0, s15
	s_mov_b32 s39, s8
	s_wait_alu 0xfffe
	s_lshl_b64 s[0:1], s[0:1], 3
	s_mul_u64 s[40:41], s[38:39], s[22:23]
	s_wait_alu 0xfffe
	s_add_nc_u64 s[0:1], s[10:11], s[0:1]
	s_mov_b32 s27, s20
	s_load_b64 s[36:37], s[0:1], 0x0
	v_readfirstlane_b32 s0, v6
	s_wait_kmcnt 0x0
	v_max_num_f32_e64 v7, s36, s36
	s_delay_alu instid0(VALU_DEP_1) | instskip(SKIP_2) | instid1(SALU_CYCLE_2)
	v_readfirstlane_b32 s1, v7
	s_max_num_f32 s9, s0, s1
	s_wait_alu 0xfffe
	s_sub_f32 s33, s26, s9
	s_sub_f32 s35, s36, s9
	s_wait_alu 0xfffe
	s_delay_alu instid0(SALU_CYCLE_1)
	s_cmp_nlt_f32 s33, 0xc2ce8ed0
	s_cselect_b32 s0, -1, 0
	s_cmp_ngt_f32 s33, 0x42b17218
	s_cselect_b32 s1, -1, 0
	s_cmp_ge_f32 s33, 0xc1a00000
	s_cselect_b32 s2, -1, 0
	s_cmp_nlt_f32 s35, 0xc2ce8ed0
	s_cselect_b32 s3, -1, 0
	s_cmp_ngt_f32 s35, 0x42b17218
	s_cselect_b32 s4, -1, 0
	s_cmp_ge_f32 s35, 0xc1a00000
	s_cselect_b32 s5, -1, 0
	s_add_co_i32 s17, s41, s38
	s_wait_alu 0xfffe
	s_lshr_b32 s17, s17, s13
	s_wait_alu 0xfffe
	s_mul_i32 s21, s17, s14
	s_delay_alu instid0(SALU_CYCLE_1)
	s_cmp_eq_u32 s21, s38
	s_cselect_b32 s21, -1, 0
	s_cmp_lt_u32 s17, s12
	s_cselect_b32 s17, -1, 0
	s_wait_alu 0xfffe
	s_or_b32 s17, s17, s21
	s_mov_b32 s21, -1
	s_wait_alu 0xfffe
	s_and_b32 vcc_lo, exec_lo, s17
	s_mov_b32 s17, s34
	s_wait_alu 0xfffe
	s_cbranch_vccnz .LBB3_18
; %bb.17:                               ;   in Loop: Header=BB3_9 Depth=1
	s_add_co_i32 s17, s34, -1
	s_mov_b32 s21, 0
	s_mov_b32 s27, s38
.LBB3_18:                               ;   in Loop: Header=BB3_9 Depth=1
	v_lshl_add_u32 v6, s34, 13, v0
	s_mul_f32 s36, s35, 0x3fb8aa3b
	s_mul_f32 s38, s33, 0x3fb8aa3b
	s_wait_alu 0xfffe
	s_delay_alu instid0(SALU_CYCLE_1)
	s_xor_b32 s39, s36, 0x80000000
	v_ashrrev_i32_e32 v7, 31, v6
	s_rndne_f32 s40, s36
	s_fmamk_f32 s39, s35, 0x3fb8aa3b, s39
	s_xor_b32 s41, s38, 0x80000000
	s_rndne_f32 s42, s38
	v_lshlrev_b64_e32 v[6:7], 2, v[6:7]
	s_sub_f32 s36, s36, s40
	s_fmamk_f32 s35, s35, 0x32a5705f, s39
	s_fmamk_f32 s39, s33, 0x3fb8aa3b, s41
	s_sub_f32 s38, s38, s42
	s_delay_alu instid0(VALU_DEP_1)
	v_add_co_u32 v6, vcc_lo, s24, v6
	s_wait_alu 0xfffd
	v_add_co_ci_u32_e64 v7, null, s25, v7, vcc_lo
	s_wait_alu 0xfffe
	s_add_f32 s35, s36, s35
	s_fmamk_f32 s33, s33, 0x32a5705f, s39
	s_cvt_i32_f32 s36, s40
	global_load_b32 v6, v[6:7], off
	s_wait_alu 0xfffe
	v_s_exp_f32 s35, s35
	s_add_f32 s33, s38, s33
	s_wait_alu 0xfffe
	s_delay_alu instid0(SALU_CYCLE_2) | instskip(NEXT) | instid1(TRANS32_DEP_2)
	v_s_exp_f32 s33, s33
	v_ldexp_f32 v7, s35, s36
	s_cvt_i32_f32 s35, s42
	s_wait_alu 0xf1fe
	s_delay_alu instid0(TRANS32_DEP_1) | instid1(SALU_CYCLE_2)
	v_ldexp_f32 v8, s33, s35
	s_delay_alu instid0(VALU_DEP_2) | instskip(NEXT) | instid1(VALU_DEP_2)
	v_cndmask_b32_e64 v7, 0, v7, s3
	v_cndmask_b32_e64 v8, 0, v8, s0
	s_delay_alu instid0(VALU_DEP_2) | instskip(NEXT) | instid1(VALU_DEP_2)
	v_cndmask_b32_e64 v7, 0x7f800000, v7, s4
	v_cndmask_b32_e64 v8, 0x7f800000, v8, s1
	;; [unrolled: 3-line block ×3, first 2 shown]
	s_wait_loadcnt 0x0
	s_delay_alu instid0(VALU_DEP_2) | instskip(SKIP_1) | instid1(VALU_DEP_1)
	v_mul_f32_e32 v6, v6, v7
	v_mul_f32_e32 v7, s37, v7
	v_fmac_f32_e32 v7, v5, v8
	s_delay_alu instid0(VALU_DEP_3)
	v_fmac_f32_e32 v6, v3, v8
	s_cbranch_execnz .LBB3_15
.LBB3_19:                               ;   in Loop: Header=BB3_9 Depth=1
	s_wait_loadcnt 0x0
	v_dual_mov_b32 v7, v5 :: v_dual_mov_b32 v6, v3
	s_add_co_i32 s17, s34, -1
	s_mov_b32 s27, s20
	s_mov_b32 s9, s26
	s_cbranch_execz .LBB3_23
.LBB3_20:                               ;   in Loop: Header=BB3_9 Depth=1
	v_mov_b32_e32 v5, v7
	s_wait_loadcnt 0x0
	v_mov_b32_e32 v3, v6
	s_wait_alu 0xfffe
	s_mov_b32 s20, s27
	s_mov_b32 s34, s17
	;; [unrolled: 1-line block ×3, first 2 shown]
	s_branch .LBB3_9
.LBB3_21:
                                        ; implicit-def: $sgpr20_sgpr21
	s_branch .LBB3_2
.LBB3_22:
                                        ; implicit-def: $sgpr10_sgpr11
	s_load_b96 s[12:14], s[0:1], 0x44
	s_branch .LBB3_5
.LBB3_23:
	v_div_scale_f32 v0, null, v7, v7, v6
	s_wait_loadcnt 0x0
	s_delay_alu instid0(VALU_DEP_1) | instskip(NEXT) | instid1(TRANS32_DEP_1)
	v_rcp_f32_e32 v3, v0
	v_fma_f32 v4, -v0, v3, 1.0
	s_delay_alu instid0(VALU_DEP_1) | instskip(SKIP_1) | instid1(VALU_DEP_1)
	v_fmac_f32_e32 v3, v4, v3
	v_div_scale_f32 v4, vcc_lo, v6, v7, v6
	v_mul_f32_e32 v5, v4, v3
	s_delay_alu instid0(VALU_DEP_1) | instskip(NEXT) | instid1(VALU_DEP_1)
	v_fma_f32 v8, -v0, v5, v4
	v_fmac_f32_e32 v5, v8, v3
	s_delay_alu instid0(VALU_DEP_1) | instskip(SKIP_1) | instid1(VALU_DEP_1)
	v_fma_f32 v0, -v0, v5, v4
	s_wait_alu 0xfffd
	v_div_fmas_f32 v0, v0, v3, v5
	s_delay_alu instid0(VALU_DEP_1)
	v_div_fixup_f32 v0, v0, v7, v6
	global_store_b32 v[1:2], v0, off
.LBB3_24:
	s_endpgm
	.section	.rodata,"a",@progbits
	.p2align	6, 0x0
	.amdhsa_kernel _ZL33flash_attn_stream_k_fixup_generalILi128ELi8ELi8EEvPfPK15HIP_vector_typeIfLj2EEiiiiS1_IjLj3EES5_S5_S5_
		.amdhsa_group_segment_fixed_size 0
		.amdhsa_private_segment_fixed_size 0
		.amdhsa_kernarg_size 336
		.amdhsa_user_sgpr_count 2
		.amdhsa_user_sgpr_dispatch_ptr 0
		.amdhsa_user_sgpr_queue_ptr 0
		.amdhsa_user_sgpr_kernarg_segment_ptr 1
		.amdhsa_user_sgpr_dispatch_id 0
		.amdhsa_user_sgpr_private_segment_size 0
		.amdhsa_wavefront_size32 1
		.amdhsa_uses_dynamic_stack 0
		.amdhsa_enable_private_segment 0
		.amdhsa_system_sgpr_workgroup_id_x 1
		.amdhsa_system_sgpr_workgroup_id_y 1
		.amdhsa_system_sgpr_workgroup_id_z 1
		.amdhsa_system_sgpr_workgroup_info 0
		.amdhsa_system_vgpr_workitem_id 0
		.amdhsa_next_free_vgpr 9
		.amdhsa_next_free_sgpr 44
		.amdhsa_reserve_vcc 1
		.amdhsa_float_round_mode_32 0
		.amdhsa_float_round_mode_16_64 0
		.amdhsa_float_denorm_mode_32 3
		.amdhsa_float_denorm_mode_16_64 3
		.amdhsa_fp16_overflow 0
		.amdhsa_workgroup_processor_mode 1
		.amdhsa_memory_ordered 1
		.amdhsa_forward_progress 1
		.amdhsa_inst_pref_size 28
		.amdhsa_round_robin_scheduling 0
		.amdhsa_exception_fp_ieee_invalid_op 0
		.amdhsa_exception_fp_denorm_src 0
		.amdhsa_exception_fp_ieee_div_zero 0
		.amdhsa_exception_fp_ieee_overflow 0
		.amdhsa_exception_fp_ieee_underflow 0
		.amdhsa_exception_fp_ieee_inexact 0
		.amdhsa_exception_int_div_zero 0
	.end_amdhsa_kernel
	.section	.text._ZL33flash_attn_stream_k_fixup_generalILi128ELi8ELi8EEvPfPK15HIP_vector_typeIfLj2EEiiiiS1_IjLj3EES5_S5_S5_,"axG",@progbits,_ZL33flash_attn_stream_k_fixup_generalILi128ELi8ELi8EEvPfPK15HIP_vector_typeIfLj2EEiiiiS1_IjLj3EES5_S5_S5_,comdat
.Lfunc_end3:
	.size	_ZL33flash_attn_stream_k_fixup_generalILi128ELi8ELi8EEvPfPK15HIP_vector_typeIfLj2EEiiiiS1_IjLj3EES5_S5_S5_, .Lfunc_end3-_ZL33flash_attn_stream_k_fixup_generalILi128ELi8ELi8EEvPfPK15HIP_vector_typeIfLj2EEiiiiS1_IjLj3EES5_S5_S5_
                                        ; -- End function
	.set _ZL33flash_attn_stream_k_fixup_generalILi128ELi8ELi8EEvPfPK15HIP_vector_typeIfLj2EEiiiiS1_IjLj3EES5_S5_S5_.num_vgpr, 9
	.set _ZL33flash_attn_stream_k_fixup_generalILi128ELi8ELi8EEvPfPK15HIP_vector_typeIfLj2EEiiiiS1_IjLj3EES5_S5_S5_.num_agpr, 0
	.set _ZL33flash_attn_stream_k_fixup_generalILi128ELi8ELi8EEvPfPK15HIP_vector_typeIfLj2EEiiiiS1_IjLj3EES5_S5_S5_.numbered_sgpr, 44
	.set _ZL33flash_attn_stream_k_fixup_generalILi128ELi8ELi8EEvPfPK15HIP_vector_typeIfLj2EEiiiiS1_IjLj3EES5_S5_S5_.num_named_barrier, 0
	.set _ZL33flash_attn_stream_k_fixup_generalILi128ELi8ELi8EEvPfPK15HIP_vector_typeIfLj2EEiiiiS1_IjLj3EES5_S5_S5_.private_seg_size, 0
	.set _ZL33flash_attn_stream_k_fixup_generalILi128ELi8ELi8EEvPfPK15HIP_vector_typeIfLj2EEiiiiS1_IjLj3EES5_S5_S5_.uses_vcc, 1
	.set _ZL33flash_attn_stream_k_fixup_generalILi128ELi8ELi8EEvPfPK15HIP_vector_typeIfLj2EEiiiiS1_IjLj3EES5_S5_S5_.uses_flat_scratch, 0
	.set _ZL33flash_attn_stream_k_fixup_generalILi128ELi8ELi8EEvPfPK15HIP_vector_typeIfLj2EEiiiiS1_IjLj3EES5_S5_S5_.has_dyn_sized_stack, 0
	.set _ZL33flash_attn_stream_k_fixup_generalILi128ELi8ELi8EEvPfPK15HIP_vector_typeIfLj2EEiiiiS1_IjLj3EES5_S5_S5_.has_recursion, 0
	.set _ZL33flash_attn_stream_k_fixup_generalILi128ELi8ELi8EEvPfPK15HIP_vector_typeIfLj2EEiiiiS1_IjLj3EES5_S5_S5_.has_indirect_call, 0
	.section	.AMDGPU.csdata,"",@progbits
; Kernel info:
; codeLenInByte = 3548
; TotalNumSgprs: 46
; NumVgprs: 9
; ScratchSize: 0
; MemoryBound: 0
; FloatMode: 240
; IeeeMode: 1
; LDSByteSize: 0 bytes/workgroup (compile time only)
; SGPRBlocks: 0
; VGPRBlocks: 1
; NumSGPRsForWavesPerEU: 46
; NumVGPRsForWavesPerEU: 9
; Occupancy: 16
; WaveLimiterHint : 0
; COMPUTE_PGM_RSRC2:SCRATCH_EN: 0
; COMPUTE_PGM_RSRC2:USER_SGPR: 2
; COMPUTE_PGM_RSRC2:TRAP_HANDLER: 0
; COMPUTE_PGM_RSRC2:TGID_X_EN: 1
; COMPUTE_PGM_RSRC2:TGID_Y_EN: 1
; COMPUTE_PGM_RSRC2:TGID_Z_EN: 1
; COMPUTE_PGM_RSRC2:TIDIG_COMP_CNT: 0
	.section	.text._ZL26flash_attn_combine_resultsILi128EEvPKfPK15HIP_vector_typeIfLj2EEPfi,"axG",@progbits,_ZL26flash_attn_combine_resultsILi128EEvPKfPK15HIP_vector_typeIfLj2EEPfi,comdat
	.globl	_ZL26flash_attn_combine_resultsILi128EEvPKfPK15HIP_vector_typeIfLj2EEPfi ; -- Begin function _ZL26flash_attn_combine_resultsILi128EEvPKfPK15HIP_vector_typeIfLj2EEPfi
	.p2align	8
	.type	_ZL26flash_attn_combine_resultsILi128EEvPKfPK15HIP_vector_typeIfLj2EEPfi,@function
_ZL26flash_attn_combine_resultsILi128EEvPKfPK15HIP_vector_typeIfLj2EEPfi: ; @_ZL26flash_attn_combine_resultsILi128EEvPKfPK15HIP_vector_typeIfLj2EEPfi
; %bb.0:
	s_clause 0x2
	s_load_b64 s[2:3], s[0:1], 0x20
	s_load_b96 s[8:10], s[0:1], 0x10
	s_load_b128 s[4:7], s[0:1], 0x0
	s_lshr_b32 s0, ttmp7, 16
	v_lshlrev_b32_e32 v5, 2, v0
	s_mov_b32 s12, exec_lo
	s_wait_kmcnt 0x0
	s_mul_i32 s0, s2, s0
	s_and_b32 s2, ttmp7, 0xffff
	s_add_co_i32 s0, s0, ttmp9
	s_lshl_b32 s1, s10, 1
	s_mul_i32 s11, s0, s3
	s_delay_alu instid0(SALU_CYCLE_1) | instskip(NEXT) | instid1(SALU_CYCLE_1)
	s_add_co_i32 s11, s11, s2
	s_mul_i32 s2, s11, s10
	v_cmpx_gt_i32_e64 s1, v0
	s_cbranch_execz .LBB4_3
; %bb.1:
	s_ashr_i32 s3, s2, 31
	v_dual_mov_b32 v4, v0 :: v_dual_add_nc_u32 v3, 0, v5
	s_lshl_b64 s[14:15], s[2:3], 3
	s_mov_b32 s3, 0
	s_add_nc_u64 s[6:7], s[6:7], s[14:15]
	s_delay_alu instid0(SALU_CYCLE_1)
	v_add_co_u32 v1, s0, s6, v5
	s_wait_alu 0xf1ff
	v_add_co_ci_u32_e64 v2, null, s7, 0, s0
.LBB4_2:                                ; =>This Inner Loop Header: Depth=1
	global_load_b32 v6, v[1:2], off
	v_add_nc_u32_e32 v4, 0x80, v4
	v_add_co_u32 v1, vcc_lo, 0x200, v1
	s_wait_alu 0xfffd
	v_add_co_ci_u32_e64 v2, null, 0, v2, vcc_lo
	s_delay_alu instid0(VALU_DEP_3)
	v_cmp_le_i32_e64 s0, s1, v4
	s_or_b32 s3, s0, s3
	s_wait_loadcnt 0x0
	ds_store_b32 v3, v6
	v_add_nc_u32_e32 v3, 0x200, v3
	s_and_not1_b32 exec_lo, exec_lo, s3
	s_cbranch_execnz .LBB4_2
.LBB4_3:
	s_or_b32 exec_lo, exec_lo, s12
	v_mov_b32_e32 v1, 0
	s_wait_dscnt 0x0
	s_barrier_signal -1
	s_barrier_wait -1
	global_inv scope:SCOPE_SE
	ds_load_b32 v6, v1
	s_cmp_lt_i32 s10, 2
	s_cbranch_scc1 .LBB4_11
; %bb.4:
	s_add_co_i32 s1, s10, -2
	s_add_co_i32 s0, s10, -1
	s_wait_alu 0xfffe
	s_cmp_lt_u32 s1, 7
	s_cbranch_scc1 .LBB4_8
; %bb.5:
	s_mov_b32 s3, 0
	s_add_co_i32 s1, 0, 8
	s_and_b32 s6, s0, -8
.LBB4_6:                                ; =>This Inner Loop Header: Depth=1
	s_wait_alu 0xfffe
	v_mov_b32_e32 v9, s1
	s_mov_b32 s7, s3
	s_add_co_i32 s3, s3, 8
	s_add_co_i32 s1, s1, 64
	s_cmp_eq_u32 s6, s3
	ds_load_2addr_b32 v[1:2], v9 offset1:2
	ds_load_2addr_b32 v[3:4], v9 offset0:4 offset1:6
	ds_load_2addr_b32 v[7:8], v9 offset0:8 offset1:10
	;; [unrolled: 1-line block ×3, first 2 shown]
	s_wait_dscnt 0x3
	v_max3_num_f32 v1, v6, v1, v2
	s_wait_dscnt 0x2
	s_delay_alu instid0(VALU_DEP_1) | instskip(SKIP_1) | instid1(VALU_DEP_1)
	v_max3_num_f32 v1, v1, v3, v4
	s_wait_dscnt 0x1
	v_max3_num_f32 v1, v1, v7, v8
	s_wait_dscnt 0x0
	s_delay_alu instid0(VALU_DEP_1)
	v_max3_num_f32 v6, v1, v9, v10
	s_cbranch_scc0 .LBB4_6
; %bb.7:
	s_wait_alu 0xfffe
	s_add_co_i32 s1, s7, 9
	s_and_b32 s0, s0, 7
	s_wait_alu 0xfffe
	s_cmp_eq_u32 s0, 0
	s_cbranch_scc0 .LBB4_9
	s_branch .LBB4_11
.LBB4_8:
	s_mov_b32 s1, 1
	s_and_b32 s0, s0, 7
	s_wait_alu 0xfffe
	s_cmp_eq_u32 s0, 0
	s_cbranch_scc1 .LBB4_11
.LBB4_9:
	s_lshl_b32 s1, s1, 3
	s_wait_alu 0xfffe
	s_add_co_i32 s1, s1, 0
.LBB4_10:                               ; =>This Inner Loop Header: Depth=1
	s_wait_dscnt 0x0
	s_wait_alu 0xfffe
	s_delay_alu instid0(VALU_DEP_1)
	v_dual_mov_b32 v1, s1 :: v_dual_max_num_f32 v2, v6, v6
	s_add_co_i32 s0, s0, -1
	s_add_co_i32 s1, s1, 8
	s_wait_alu 0xfffe
	s_cmp_lg_u32 s0, 0
	ds_load_b32 v1, v1
	s_wait_dscnt 0x0
	v_max_num_f32_e32 v1, v1, v1
	s_delay_alu instid0(VALU_DEP_1)
	v_max_num_f32_e32 v6, v2, v1
	s_cbranch_scc1 .LBB4_10
.LBB4_11:
	s_cmp_lt_i32 s10, 1
	s_cbranch_scc1 .LBB4_16
; %bb.12:
	s_lshl_b32 s0, s2, 7
	s_wait_alu 0xfffe
	s_ashr_i32 s1, s0, 31
	s_wait_alu 0xfffe
	s_lshl_b64 s[0:1], s[0:1], 2
	s_cmp_lt_u32 s10, 8
	s_wait_alu 0xfffe
	s_add_nc_u64 s[6:7], s[4:5], s[0:1]
	s_cbranch_scc1 .LBB4_17
; %bb.13:
	v_or_b32_e32 v1, 0x380, v0
	v_dual_mov_b32 v4, 0 :: v_dual_mov_b32 v7, 0
	v_mov_b32_e32 v8, 0
	s_and_b32 s12, s10, 0x7ffffff8
	s_mov_b32 s13, 0
	s_mov_b32 s14, 0
.LBB4_14:                               ; =>This Inner Loop Header: Depth=1
	v_dual_mov_b32 v2, v4 :: v_dual_add_nc_u32 v3, 0xfffffc80, v1
	v_mov_b32_e32 v21, s14
	s_add_co_i32 s13, s13, 8
	s_add_co_i32 s14, s14, 64
	s_delay_alu instid0(VALU_DEP_2) | instskip(SKIP_3) | instid1(VALU_DEP_2)
	v_lshlrev_b64_e32 v[9:10], 2, v[3:4]
	v_add_nc_u32_e32 v3, 0xfffffd00, v1
	v_lshlrev_b64_e32 v[11:12], 2, v[1:2]
	s_cmp_eq_u32 s12, s13
	v_lshlrev_b64_e32 v[13:14], 2, v[3:4]
	s_wait_alu 0xfffe
	v_add_co_u32 v9, vcc_lo, s6, v9
	s_wait_alu 0xfffd
	v_add_co_ci_u32_e64 v10, null, s7, v10, vcc_lo
	v_add_nc_u32_e32 v3, 0xfffffd80, v1
	v_add_co_u32 v13, vcc_lo, s6, v13
	global_load_b32 v25, v[9:10], off
	s_wait_alu 0xfffd
	v_add_co_ci_u32_e64 v14, null, s7, v14, vcc_lo
	v_lshlrev_b64_e32 v[15:16], 2, v[3:4]
	v_add_nc_u32_e32 v3, 0xfffffe00, v1
	global_load_b32 v26, v[13:14], off
	v_add_co_u32 v13, vcc_lo, s6, v15
	s_wait_alu 0xfffd
	v_add_co_ci_u32_e64 v14, null, s7, v16, vcc_lo
	v_lshlrev_b64_e32 v[9:10], 2, v[3:4]
	v_add_nc_u32_e32 v3, 0xfffffe80, v1
	global_load_b32 v27, v[13:14], off
	v_add_co_u32 v9, vcc_lo, s6, v9
	v_lshlrev_b64_e32 v[15:16], 2, v[3:4]
	v_add_nc_u32_e32 v3, 0xffffff00, v1
	s_wait_alu 0xfffd
	v_add_co_ci_u32_e64 v10, null, s7, v10, vcc_lo
	global_load_b32 v28, v[9:10], off
	v_lshlrev_b64_e32 v[13:14], 2, v[3:4]
	v_add_nc_u32_e32 v3, 0xffffff80, v1
	v_add_co_u32 v9, vcc_lo, s6, v15
	s_wait_alu 0xfffd
	v_add_co_ci_u32_e64 v10, null, s7, v16, vcc_lo
	s_delay_alu instid0(VALU_DEP_4)
	v_add_co_u32 v13, vcc_lo, s6, v13
	v_lshlrev_b64_e32 v[2:3], 2, v[3:4]
	s_wait_alu 0xfffd
	v_add_co_ci_u32_e64 v14, null, s7, v14, vcc_lo
	s_clause 0x1
	global_load_b32 v29, v[9:10], off
	global_load_b32 v30, v[13:14], off
	v_add_co_u32 v2, vcc_lo, s6, v2
	s_wait_alu 0xfffd
	v_add_co_ci_u32_e64 v3, null, s7, v3, vcc_lo
	v_add_co_u32 v9, vcc_lo, s6, v11
	s_wait_alu 0xfffd
	v_add_co_ci_u32_e64 v10, null, s7, v12, vcc_lo
	s_clause 0x1
	global_load_b32 v2, v[2:3], off
	global_load_b32 v3, v[9:10], off
	ds_load_2addr_b64 v[9:12], v21 offset1:1
	ds_load_2addr_b64 v[13:16], v21 offset0:2 offset1:3
	ds_load_2addr_b64 v[17:20], v21 offset0:4 offset1:5
	;; [unrolled: 1-line block ×3, first 2 shown]
	v_add_nc_u32_e32 v1, 0x400, v1
	s_wait_dscnt 0x1
	v_sub_f32_e32 v19, v19, v6
	v_sub_f32_e32 v11, v11, v6
	s_wait_dscnt 0x0
	v_sub_f32_e32 v23, v23, v6
	s_delay_alu instid0(VALU_DEP_3) | instskip(NEXT) | instid1(VALU_DEP_3)
	v_dual_sub_f32 v13, v13, v6 :: v_dual_mul_f32 v36, 0x3fb8aa3b, v19
	v_mul_f32_e32 v32, 0x3fb8aa3b, v11
	s_delay_alu instid0(VALU_DEP_2) | instskip(SKIP_1) | instid1(VALU_DEP_4)
	v_dual_mul_f32 v38, 0x3fb8aa3b, v23 :: v_dual_mul_f32 v33, 0x3fb8aa3b, v13
	v_cmp_ngt_f32_e32 vcc_lo, 0xc2ce8ed0, v13
	v_xor_b32_e32 v49, 0x80000000, v36
	s_delay_alu instid0(VALU_DEP_4) | instskip(SKIP_4) | instid1(VALU_DEP_4)
	v_xor_b32_e32 v41, 0x80000000, v32
	v_rndne_f32_e32 v42, v32
	v_xor_b32_e32 v43, 0x80000000, v33
	v_rndne_f32_e32 v44, v33
	v_rndne_f32_e32 v50, v36
	v_dual_fmac_f32 v41, 0x3fb8aa3b, v11 :: v_dual_sub_f32 v32, v32, v42
	s_delay_alu instid0(VALU_DEP_4) | instskip(NEXT) | instid1(VALU_DEP_4)
	v_fmac_f32_e32 v43, 0x3fb8aa3b, v13
	v_sub_f32_e32 v33, v33, v44
	v_cvt_i32_f32_e32 v42, v42
	s_delay_alu instid0(VALU_DEP_4) | instskip(SKIP_3) | instid1(VALU_DEP_4)
	v_fmac_f32_e32 v41, 0x32a5705f, v11
	v_sub_f32_e32 v15, v15, v6
	v_fmac_f32_e32 v43, 0x32a5705f, v13
	v_cvt_i32_f32_e32 v44, v44
	v_dual_fmac_f32 v49, 0x3fb8aa3b, v19 :: v_dual_add_f32 v32, v32, v41
	s_delay_alu instid0(VALU_DEP_4) | instskip(NEXT) | instid1(VALU_DEP_4)
	v_dual_sub_f32 v9, v9, v6 :: v_dual_mul_f32 v34, 0x3fb8aa3b, v15
	v_add_f32_e32 v33, v33, v43
	v_cmp_ngt_f32_e64 s0, 0xc2ce8ed0, v15
	s_delay_alu instid0(VALU_DEP_4) | instskip(NEXT) | instid1(VALU_DEP_3)
	v_exp_f32_e32 v32, v32
	v_mul_f32_e32 v31, 0x3fb8aa3b, v9
	v_xor_b32_e32 v45, 0x80000000, v34
	v_rndne_f32_e32 v46, v34
	v_exp_f32_e32 v33, v33
	v_cmp_ngt_f32_e64 s5, 0xc2ce8ed0, v9
	v_xor_b32_e32 v39, 0x80000000, v31
	v_rndne_f32_e32 v40, v31
	v_dual_fmac_f32 v45, 0x3fb8aa3b, v15 :: v_dual_sub_f32 v34, v34, v46
	s_delay_alu instid0(TRANS32_DEP_2) | instskip(NEXT) | instid1(VALU_DEP_4)
	v_ldexp_f32 v32, v32, v42
	v_fmac_f32_e32 v39, 0x3fb8aa3b, v9
	s_delay_alu instid0(VALU_DEP_4)
	v_sub_f32_e32 v31, v31, v40
	v_cvt_i32_f32_e32 v40, v40
	v_fmac_f32_e32 v45, 0x32a5705f, v15
	v_sub_f32_e32 v17, v17, v6
	v_fmac_f32_e32 v39, 0x32a5705f, v9
	v_ldexp_f32 v33, v33, v44
	v_cvt_i32_f32_e32 v46, v46
	v_add_f32_e32 v34, v34, v45
	s_delay_alu instid0(VALU_DEP_4) | instskip(SKIP_2) | instid1(VALU_DEP_4)
	v_dual_sub_f32 v36, v36, v50 :: v_dual_add_f32 v31, v31, v39
	v_fmac_f32_e32 v49, 0x32a5705f, v19
	v_xor_b32_e32 v53, 0x80000000, v38
	v_exp_f32_e32 v34, v34
	v_cvt_i32_f32_e32 v50, v50
	v_exp_f32_e32 v31, v31
	v_add_f32_e32 v36, v36, v49
	v_cmp_ngt_f32_e64 s1, 0xc2ce8ed0, v17
	v_rndne_f32_e32 v54, v38
	v_cmp_ngt_f32_e64 s2, 0xc2ce8ed0, v19
	s_delay_alu instid0(VALU_DEP_4) | instskip(NEXT) | instid1(TRANS32_DEP_3)
	v_exp_f32_e32 v36, v36
	v_ldexp_f32 v34, v34, v46
	s_delay_alu instid0(VALU_DEP_3) | instskip(NEXT) | instid1(TRANS32_DEP_2)
	v_sub_f32_e32 v38, v38, v54
	v_ldexp_f32 v31, v31, v40
	v_cvt_i32_f32_e32 v54, v54
	s_wait_alu 0xf1ff
	s_delay_alu instid0(VALU_DEP_2) | instskip(SKIP_1) | instid1(TRANS32_DEP_1)
	v_cndmask_b32_e64 v31, 0, v31, s5
	v_cmp_ngt_f32_e64 s5, 0xc2ce8ed0, v11
	v_ldexp_f32 v36, v36, v50
	s_wait_alu 0xf1ff
	s_delay_alu instid0(VALU_DEP_2) | instskip(SKIP_2) | instid1(VALU_DEP_1)
	v_cndmask_b32_e64 v32, 0, v32, s5
	v_cmp_nlt_f32_e64 s5, 0x42b17218, v9
	s_wait_alu 0xf1ff
	v_cndmask_b32_e64 v9, 0x7f800000, v31, s5
	s_wait_alu 0xfffd
	v_cndmask_b32_e32 v31, 0, v33, vcc_lo
	v_cmp_nlt_f32_e32 vcc_lo, 0x42b17218, v11
	s_wait_alu 0xfffd
	v_dual_fmac_f32 v8, v9, v10 :: v_dual_cndmask_b32 v11, 0x7f800000, v32
	v_cmp_nlt_f32_e32 vcc_lo, 0x42b17218, v13
	s_delay_alu instid0(VALU_DEP_2)
	v_fmac_f32_e32 v8, v11, v12
	s_wait_alu 0xfffd
	v_cndmask_b32_e32 v10, 0x7f800000, v31, vcc_lo
	v_cmp_nlt_f32_e32 vcc_lo, 0x42b17218, v15
	v_fmac_f32_e32 v53, 0x3fb8aa3b, v23
	v_cmp_ngt_f32_e64 s4, 0xc2ce8ed0, v23
	s_delay_alu instid0(VALU_DEP_2) | instskip(NEXT) | instid1(VALU_DEP_1)
	v_dual_fmac_f32 v8, v10, v14 :: v_dual_fmac_f32 v53, 0x32a5705f, v23
	v_dual_sub_f32 v21, v21, v6 :: v_dual_add_f32 v38, v38, v53
	s_delay_alu instid0(VALU_DEP_1) | instskip(NEXT) | instid1(VALU_DEP_2)
	v_cmp_ngt_f32_e64 s3, 0xc2ce8ed0, v21
	v_exp_f32_e32 v38, v38
	s_delay_alu instid0(TRANS32_DEP_1) | instskip(SKIP_4) | instid1(VALU_DEP_1)
	v_ldexp_f32 v38, v38, v54
	s_wait_loadcnt 0x7
	v_fmac_f32_e32 v7, v25, v9
	v_cndmask_b32_e64 v9, 0, v34, s0
	s_wait_alu 0xfffd
	v_cndmask_b32_e32 v9, 0x7f800000, v9, vcc_lo
	s_wait_loadcnt 0x6
	v_fmac_f32_e32 v7, v26, v11
	v_cmp_nlt_f32_e32 vcc_lo, 0x42b17218, v17
	s_delay_alu instid0(VALU_DEP_3) | instskip(SKIP_1) | instid1(VALU_DEP_3)
	v_dual_fmac_f32 v8, v9, v16 :: v_dual_mul_f32 v35, 0x3fb8aa3b, v17
	s_wait_loadcnt 0x5
	v_fmac_f32_e32 v7, v27, v10
	s_delay_alu instid0(VALU_DEP_2) | instskip(SKIP_2) | instid1(VALU_DEP_3)
	v_xor_b32_e32 v47, 0x80000000, v35
	v_rndne_f32_e32 v48, v35
	v_cndmask_b32_e64 v10, 0, v36, s2
	v_fmac_f32_e32 v47, 0x3fb8aa3b, v17
	s_delay_alu instid0(VALU_DEP_3) | instskip(SKIP_1) | instid1(VALU_DEP_3)
	v_sub_f32_e32 v35, v35, v48
	v_cvt_i32_f32_e32 v48, v48
	v_fmac_f32_e32 v47, 0x32a5705f, v17
	s_wait_loadcnt 0x4
	v_fmac_f32_e32 v7, v28, v9
	s_delay_alu instid0(VALU_DEP_2) | instskip(NEXT) | instid1(VALU_DEP_1)
	v_add_f32_e32 v35, v35, v47
	v_exp_f32_e32 v35, v35
	s_delay_alu instid0(TRANS32_DEP_1) | instskip(NEXT) | instid1(VALU_DEP_1)
	v_ldexp_f32 v35, v35, v48
	v_cndmask_b32_e64 v11, 0, v35, s1
	s_wait_alu 0xfffd
	s_delay_alu instid0(VALU_DEP_1) | instskip(SKIP_1) | instid1(VALU_DEP_2)
	v_cndmask_b32_e32 v11, 0x7f800000, v11, vcc_lo
	v_cmp_nlt_f32_e32 vcc_lo, 0x42b17218, v19
	v_fmac_f32_e32 v8, v11, v18
	s_wait_alu 0xfffd
	v_cndmask_b32_e32 v10, 0x7f800000, v10, vcc_lo
	v_mul_f32_e32 v37, 0x3fb8aa3b, v21
	s_wait_loadcnt 0x3
	v_fmac_f32_e32 v7, v29, v11
	v_cmp_nlt_f32_e32 vcc_lo, 0x42b17218, v21
	s_wait_alu 0xf1ff
	v_cndmask_b32_e64 v11, 0, v38, s4
	v_fmac_f32_e32 v8, v10, v20
	v_xor_b32_e32 v51, 0x80000000, v37
	v_rndne_f32_e32 v52, v37
	s_wait_loadcnt 0x2
	v_fmac_f32_e32 v7, v30, v10
	s_delay_alu instid0(VALU_DEP_3) | instskip(NEXT) | instid1(VALU_DEP_3)
	v_fmac_f32_e32 v51, 0x3fb8aa3b, v21
	v_sub_f32_e32 v37, v37, v52
	v_cvt_i32_f32_e32 v52, v52
	s_delay_alu instid0(VALU_DEP_3) | instskip(NEXT) | instid1(VALU_DEP_1)
	v_fmac_f32_e32 v51, 0x32a5705f, v21
	v_add_f32_e32 v37, v37, v51
	s_delay_alu instid0(VALU_DEP_1) | instskip(NEXT) | instid1(TRANS32_DEP_1)
	v_exp_f32_e32 v37, v37
	v_ldexp_f32 v37, v37, v52
	s_delay_alu instid0(VALU_DEP_1) | instskip(SKIP_1) | instid1(VALU_DEP_1)
	v_cndmask_b32_e64 v9, 0, v37, s3
	s_wait_alu 0xfffd
	v_cndmask_b32_e32 v9, 0x7f800000, v9, vcc_lo
	v_cmp_nlt_f32_e32 vcc_lo, 0x42b17218, v23
	s_delay_alu instid0(VALU_DEP_2) | instskip(SKIP_4) | instid1(VALU_DEP_1)
	v_fmac_f32_e32 v8, v9, v22
	s_wait_loadcnt 0x1
	s_wait_alu 0xfffd
	v_dual_cndmask_b32 v10, 0x7f800000, v11 :: v_dual_fmac_f32 v7, v2, v9
	s_wait_loadcnt 0x0
	v_dual_fmac_f32 v8, v10, v24 :: v_dual_fmac_f32 v7, v3, v10
	s_cbranch_scc0 .LBB4_14
; %bb.15:
	s_and_b32 s0, s10, 7
	s_wait_alu 0xfffe
	s_cmp_eq_u32 s0, 0
	s_cbranch_scc0 .LBB4_18
	s_branch .LBB4_20
.LBB4_16:
	v_mov_b32_e32 v0, 0x7fc00000
	s_branch .LBB4_21
.LBB4_17:
	v_dual_mov_b32 v7, 0 :: v_dual_mov_b32 v8, 0
	s_mov_b32 s12, 0
	s_and_b32 s0, s10, 7
	s_wait_alu 0xfffe
	s_cmp_eq_u32 s0, 0
	s_cbranch_scc1 .LBB4_20
.LBB4_18:
	v_lshl_or_b32 v0, s12, 7, v0
	v_mov_b32_e32 v1, 0
	s_lshl_b32 s1, s12, 3
	s_wait_alu 0xfffe
	s_add_co_i32 s1, s1, 0
.LBB4_19:                               ; =>This Inner Loop Header: Depth=1
	s_delay_alu instid0(VALU_DEP_1) | instskip(SKIP_2) | instid1(VALU_DEP_2)
	v_lshlrev_b64_e32 v[2:3], 2, v[0:1]
	s_add_co_i32 s0, s0, -1
	v_add_nc_u32_e32 v0, 0x80, v0
	v_add_co_u32 v2, vcc_lo, s6, v2
	s_wait_alu 0xfffd
	s_delay_alu instid0(VALU_DEP_3)
	v_add_co_ci_u32_e64 v3, null, s7, v3, vcc_lo
	global_load_b32 v4, v[2:3], off
	s_wait_alu 0xfffe
	v_mov_b32_e32 v2, s1
	s_add_co_i32 s1, s1, 8
	s_cmp_lg_u32 s0, 0
	ds_load_b64 v[2:3], v2
	s_wait_dscnt 0x0
	v_sub_f32_e32 v2, v2, v6
	s_delay_alu instid0(VALU_DEP_1) | instskip(SKIP_1) | instid1(VALU_DEP_2)
	v_mul_f32_e32 v9, 0x3fb8aa3b, v2
	v_cmp_ngt_f32_e32 vcc_lo, 0xc2ce8ed0, v2
	v_xor_b32_e32 v10, 0x80000000, v9
	v_rndne_f32_e32 v11, v9
	s_delay_alu instid0(VALU_DEP_1) | instskip(NEXT) | instid1(VALU_DEP_1)
	v_dual_fmac_f32 v10, 0x3fb8aa3b, v2 :: v_dual_sub_f32 v9, v9, v11
	v_fmac_f32_e32 v10, 0x32a5705f, v2
	s_delay_alu instid0(VALU_DEP_1) | instskip(SKIP_1) | instid1(VALU_DEP_2)
	v_add_f32_e32 v9, v9, v10
	v_cvt_i32_f32_e32 v10, v11
	v_exp_f32_e32 v9, v9
	s_delay_alu instid0(TRANS32_DEP_1) | instskip(SKIP_1) | instid1(VALU_DEP_1)
	v_ldexp_f32 v9, v9, v10
	s_wait_alu 0xfffd
	v_cndmask_b32_e32 v9, 0, v9, vcc_lo
	v_cmp_nlt_f32_e32 vcc_lo, 0x42b17218, v2
	s_wait_alu 0xfffd
	s_delay_alu instid0(VALU_DEP_2) | instskip(SKIP_1) | instid1(VALU_DEP_1)
	v_cndmask_b32_e32 v2, 0x7f800000, v9, vcc_lo
	s_wait_loadcnt 0x0
	v_dual_fmac_f32 v8, v2, v3 :: v_dual_fmac_f32 v7, v4, v2
	s_cbranch_scc1 .LBB4_19
.LBB4_20:
	s_delay_alu instid0(VALU_DEP_1) | instskip(NEXT) | instid1(VALU_DEP_1)
	v_div_scale_f32 v0, null, v8, v8, v7
	v_rcp_f32_e32 v1, v0
	s_delay_alu instid0(TRANS32_DEP_1) | instskip(NEXT) | instid1(VALU_DEP_1)
	v_fma_f32 v2, -v0, v1, 1.0
	v_fmac_f32_e32 v1, v2, v1
	v_div_scale_f32 v2, vcc_lo, v7, v8, v7
	s_delay_alu instid0(VALU_DEP_1) | instskip(NEXT) | instid1(VALU_DEP_1)
	v_mul_f32_e32 v3, v2, v1
	v_fma_f32 v4, -v0, v3, v2
	s_delay_alu instid0(VALU_DEP_1) | instskip(NEXT) | instid1(VALU_DEP_1)
	v_fmac_f32_e32 v3, v4, v1
	v_fma_f32 v0, -v0, v3, v2
	s_wait_alu 0xfffd
	s_delay_alu instid0(VALU_DEP_1) | instskip(NEXT) | instid1(VALU_DEP_1)
	v_div_fmas_f32 v0, v0, v1, v3
	v_div_fixup_f32 v0, v0, v8, v7
.LBB4_21:
	s_lshl_b32 s0, s11, 7
	s_wait_alu 0xfffe
	s_ashr_i32 s1, s0, 31
	s_wait_alu 0xfffe
	s_lshl_b64 s[0:1], s[0:1], 2
	s_wait_alu 0xfffe
	s_add_nc_u64 s[0:1], s[8:9], s[0:1]
	global_store_b32 v5, v0, s[0:1]
	s_endpgm
	.section	.rodata,"a",@progbits
	.p2align	6, 0x0
	.amdhsa_kernel _ZL26flash_attn_combine_resultsILi128EEvPKfPK15HIP_vector_typeIfLj2EEPfi
		.amdhsa_group_segment_fixed_size 0
		.amdhsa_private_segment_fixed_size 0
		.amdhsa_kernarg_size 288
		.amdhsa_user_sgpr_count 2
		.amdhsa_user_sgpr_dispatch_ptr 0
		.amdhsa_user_sgpr_queue_ptr 0
		.amdhsa_user_sgpr_kernarg_segment_ptr 1
		.amdhsa_user_sgpr_dispatch_id 0
		.amdhsa_user_sgpr_private_segment_size 0
		.amdhsa_wavefront_size32 1
		.amdhsa_uses_dynamic_stack 0
		.amdhsa_enable_private_segment 0
		.amdhsa_system_sgpr_workgroup_id_x 1
		.amdhsa_system_sgpr_workgroup_id_y 1
		.amdhsa_system_sgpr_workgroup_id_z 1
		.amdhsa_system_sgpr_workgroup_info 0
		.amdhsa_system_vgpr_workitem_id 0
		.amdhsa_next_free_vgpr 55
		.amdhsa_next_free_sgpr 16
		.amdhsa_reserve_vcc 1
		.amdhsa_float_round_mode_32 0
		.amdhsa_float_round_mode_16_64 0
		.amdhsa_float_denorm_mode_32 3
		.amdhsa_float_denorm_mode_16_64 3
		.amdhsa_fp16_overflow 0
		.amdhsa_workgroup_processor_mode 1
		.amdhsa_memory_ordered 1
		.amdhsa_forward_progress 1
		.amdhsa_inst_pref_size 21
		.amdhsa_round_robin_scheduling 0
		.amdhsa_exception_fp_ieee_invalid_op 0
		.amdhsa_exception_fp_denorm_src 0
		.amdhsa_exception_fp_ieee_div_zero 0
		.amdhsa_exception_fp_ieee_overflow 0
		.amdhsa_exception_fp_ieee_underflow 0
		.amdhsa_exception_fp_ieee_inexact 0
		.amdhsa_exception_int_div_zero 0
	.end_amdhsa_kernel
	.section	.text._ZL26flash_attn_combine_resultsILi128EEvPKfPK15HIP_vector_typeIfLj2EEPfi,"axG",@progbits,_ZL26flash_attn_combine_resultsILi128EEvPKfPK15HIP_vector_typeIfLj2EEPfi,comdat
.Lfunc_end4:
	.size	_ZL26flash_attn_combine_resultsILi128EEvPKfPK15HIP_vector_typeIfLj2EEPfi, .Lfunc_end4-_ZL26flash_attn_combine_resultsILi128EEvPKfPK15HIP_vector_typeIfLj2EEPfi
                                        ; -- End function
	.set _ZL26flash_attn_combine_resultsILi128EEvPKfPK15HIP_vector_typeIfLj2EEPfi.num_vgpr, 55
	.set _ZL26flash_attn_combine_resultsILi128EEvPKfPK15HIP_vector_typeIfLj2EEPfi.num_agpr, 0
	.set _ZL26flash_attn_combine_resultsILi128EEvPKfPK15HIP_vector_typeIfLj2EEPfi.numbered_sgpr, 16
	.set _ZL26flash_attn_combine_resultsILi128EEvPKfPK15HIP_vector_typeIfLj2EEPfi.num_named_barrier, 0
	.set _ZL26flash_attn_combine_resultsILi128EEvPKfPK15HIP_vector_typeIfLj2EEPfi.private_seg_size, 0
	.set _ZL26flash_attn_combine_resultsILi128EEvPKfPK15HIP_vector_typeIfLj2EEPfi.uses_vcc, 1
	.set _ZL26flash_attn_combine_resultsILi128EEvPKfPK15HIP_vector_typeIfLj2EEPfi.uses_flat_scratch, 0
	.set _ZL26flash_attn_combine_resultsILi128EEvPKfPK15HIP_vector_typeIfLj2EEPfi.has_dyn_sized_stack, 0
	.set _ZL26flash_attn_combine_resultsILi128EEvPKfPK15HIP_vector_typeIfLj2EEPfi.has_recursion, 0
	.set _ZL26flash_attn_combine_resultsILi128EEvPKfPK15HIP_vector_typeIfLj2EEPfi.has_indirect_call, 0
	.section	.AMDGPU.csdata,"",@progbits
; Kernel info:
; codeLenInByte = 2564
; TotalNumSgprs: 18
; NumVgprs: 55
; ScratchSize: 0
; MemoryBound: 0
; FloatMode: 240
; IeeeMode: 1
; LDSByteSize: 0 bytes/workgroup (compile time only)
; SGPRBlocks: 0
; VGPRBlocks: 6
; NumSGPRsForWavesPerEU: 18
; NumVGPRsForWavesPerEU: 55
; Occupancy: 16
; WaveLimiterHint : 0
; COMPUTE_PGM_RSRC2:SCRATCH_EN: 0
; COMPUTE_PGM_RSRC2:USER_SGPR: 2
; COMPUTE_PGM_RSRC2:TRAP_HANDLER: 0
; COMPUTE_PGM_RSRC2:TGID_X_EN: 1
; COMPUTE_PGM_RSRC2:TGID_Y_EN: 1
; COMPUTE_PGM_RSRC2:TGID_Z_EN: 1
; COMPUTE_PGM_RSRC2:TIDIG_COMP_CNT: 0
	.section	.text._ZL15flash_attn_tileILi128ELi128ELi4ELi8ELb0EEvPKcS1_S1_S1_S1_PKiPfP15HIP_vector_typeIfLj2EEffffjfiS5_IjLj3EEiiiiiiiiiiiliiliiiiil,"axG",@progbits,_ZL15flash_attn_tileILi128ELi128ELi4ELi8ELb0EEvPKcS1_S1_S1_S1_PKiPfP15HIP_vector_typeIfLj2EEffffjfiS5_IjLj3EEiiiiiiiiiiiliiliiiiil,comdat
	.globl	_ZL15flash_attn_tileILi128ELi128ELi4ELi8ELb0EEvPKcS1_S1_S1_S1_PKiPfP15HIP_vector_typeIfLj2EEffffjfiS5_IjLj3EEiiiiiiiiiiiliiliiiiil ; -- Begin function _ZL15flash_attn_tileILi128ELi128ELi4ELi8ELb0EEvPKcS1_S1_S1_S1_PKiPfP15HIP_vector_typeIfLj2EEffffjfiS5_IjLj3EEiiiiiiiiiiiliiliiiiil
	.p2align	8
	.type	_ZL15flash_attn_tileILi128ELi128ELi4ELi8ELb0EEvPKcS1_S1_S1_S1_PKiPfP15HIP_vector_typeIfLj2EEffffjfiS5_IjLj3EEiiiiiiiiiiiliiliiiiil,@function
_ZL15flash_attn_tileILi128ELi128ELi4ELi8ELb0EEvPKcS1_S1_S1_S1_PKiPfP15HIP_vector_typeIfLj2EEffffjfiS5_IjLj3EEiiiiiiiiiiiliiliiiiil: ; @_ZL15flash_attn_tileILi128ELi128ELi4ELi8ELb0EEvPKcS1_S1_S1_S1_PKiPfP15HIP_vector_typeIfLj2EEffffjfiS5_IjLj3EEiiiiiiiiiiiliiliiiiil
; %bb.0:
	s_clause 0x1
	s_load_b128 s[20:23], s[0:1], 0x5c
	s_load_b64 s[30:31], s[0:1], 0x80
	s_lshr_b32 s5, ttmp7, 16
	s_load_b64 s[36:37], s[0:1], 0xb8
	s_mov_b64 s[34:35], 0
	s_wait_kmcnt 0x0
	s_ashr_i32 s2, s23, 31
	s_delay_alu instid0(SALU_CYCLE_1) | instskip(NEXT) | instid1(SALU_CYCLE_1)
	s_lshr_b32 s2, s2, 29
	s_add_co_i32 s2, s23, s2
	s_delay_alu instid0(SALU_CYCLE_1) | instskip(NEXT) | instid1(SALU_CYCLE_1)
	s_ashr_i32 s2, s2, 3
	s_cvt_f32_u32 s3, s2
	s_sub_co_i32 s4, 0, s2
	s_delay_alu instid0(SALU_CYCLE_2) | instskip(NEXT) | instid1(TRANS32_DEP_1)
	v_rcp_iflag_f32_e32 v1, s3
	v_readfirstlane_b32 s3, v1
	s_mul_f32 s3, s3, 0x4f7ffffe
	s_wait_alu 0xfffe
	s_delay_alu instid0(SALU_CYCLE_2) | instskip(SKIP_1) | instid1(SALU_CYCLE_2)
	s_cvt_u32_f32 s3, s3
	s_wait_alu 0xfffe
	s_mul_i32 s4, s4, s3
	s_delay_alu instid0(SALU_CYCLE_1) | instskip(NEXT) | instid1(SALU_CYCLE_1)
	s_mul_hi_u32 s4, s3, s4
	s_add_co_i32 s3, s3, s4
	s_wait_alu 0xfffe
	s_mul_hi_u32 s3, s5, s3
	s_wait_alu 0xfffe
	s_mul_i32 s4, s3, s2
	s_add_co_i32 s6, s3, 1
	s_sub_co_i32 s4, s5, s4
	s_delay_alu instid0(SALU_CYCLE_1)
	s_sub_co_i32 s7, s4, s2
	s_cmp_ge_u32 s4, s2
	s_cselect_b32 s3, s6, s3
	s_cselect_b32 s4, s7, s4
	s_wait_alu 0xfffe
	s_add_co_i32 s6, s3, 1
	s_cmp_ge_u32 s4, s2
	s_cselect_b32 s28, s6, s3
	s_abs_i32 s2, s31
	s_abs_i32 s7, s23
	s_wait_alu 0xfffe
	s_cvt_f32_u32 s3, s2
	s_sub_co_i32 s4, 0, s2
	s_lshl_b32 s5, s5, 3
	s_mul_i32 s6, s28, s23
	s_wait_alu 0xfffe
	v_rcp_iflag_f32_e32 v1, s3
	s_sub_co_i32 s33, s5, s6
	s_delay_alu instid0(TRANS32_DEP_1) | instskip(SKIP_2) | instid1(SALU_CYCLE_2)
	v_readfirstlane_b32 s3, v1
	s_mul_f32 s3, s3, 0x4f7ffffe
	s_wait_alu 0xfffe
	s_cvt_u32_f32 s3, s3
	s_wait_alu 0xfffe
	s_delay_alu instid0(SALU_CYCLE_2) | instskip(NEXT) | instid1(SALU_CYCLE_1)
	s_mul_i32 s4, s4, s3
	s_mul_hi_u32 s4, s3, s4
	s_delay_alu instid0(SALU_CYCLE_1)
	s_add_co_i32 s3, s3, s4
	s_xor_b32 s4, s23, s31
	s_wait_alu 0xfffe
	s_mul_hi_u32 s3, s7, s3
	s_ashr_i32 s24, s4, 31
	s_wait_alu 0xfffe
	s_mul_i32 s5, s3, s2
	s_delay_alu instid0(SALU_CYCLE_1)
	s_sub_co_i32 s4, s7, s5
	s_add_co_i32 s5, s3, 1
	s_sub_co_i32 s6, s4, s2
	s_cmp_ge_u32 s4, s2
	s_cselect_b32 s3, s5, s3
	s_cselect_b32 s4, s6, s4
	s_wait_alu 0xfffe
	s_add_co_i32 s5, s3, 1
	s_cmp_ge_u32 s4, s2
	s_cselect_b32 s2, s5, s3
	s_load_b512 s[4:19], s[0:1], 0x0
	s_xor_b32 s2, s2, s24
	s_mov_b32 s3, 0
	s_wait_alu 0xfffe
	s_sub_co_i32 s38, s2, s24
	s_delay_alu instid0(SALU_CYCLE_1) | instskip(NEXT) | instid1(SALU_CYCLE_1)
	s_abs_i32 s31, s38
	s_cvt_f32_u32 s2, s31
	s_wait_alu 0xfffe
	s_delay_alu instid0(SALU_CYCLE_2) | instskip(SKIP_2) | instid1(TRANS32_DEP_1)
	v_rcp_iflag_f32_e32 v1, s2
	s_wait_kmcnt 0x0
	s_cmp_eq_u64 s[10:11], 0
	v_readfirstlane_b32 s2, v1
	s_cbranch_scc1 .LBB5_2
; %bb.1:
	s_abs_i32 s26, s36
	s_delay_alu instid0(SALU_CYCLE_1) | instskip(NEXT) | instid1(SALU_CYCLE_3)
	s_cvt_f32_u32 s24, s26
	v_rcp_iflag_f32_e32 v1, s24
	s_delay_alu instid0(TRANS32_DEP_1) | instskip(SKIP_2) | instid1(SALU_CYCLE_2)
	v_readfirstlane_b32 s24, v1
	s_mul_f32 s24, s24, 0x4f7ffffe
	s_wait_alu 0xfffe
	s_cvt_u32_f32 s27, s24
	s_sub_co_i32 s24, 0, s26
	s_wait_alu 0xfffe
	s_delay_alu instid0(SALU_CYCLE_1) | instskip(SKIP_4) | instid1(SALU_CYCLE_1)
	s_mul_i32 s24, s24, s27
	s_wait_alu 0xfffe
	s_mul_hi_u32 s29, s27, s24
	s_load_b64 s[24:25], s[0:1], 0xc8
	s_add_co_i32 s27, s27, s29
	s_mul_hi_u32 s27, s28, s27
	s_delay_alu instid0(SALU_CYCLE_1) | instskip(NEXT) | instid1(SALU_CYCLE_1)
	s_mul_i32 s27, s27, s26
	s_sub_co_i32 s27, s28, s27
	s_delay_alu instid0(SALU_CYCLE_1) | instskip(SKIP_2) | instid1(SALU_CYCLE_1)
	s_sub_co_i32 s29, s27, s26
	s_cmp_ge_u32 s27, s26
	s_cselect_b32 s27, s29, s27
	s_sub_co_i32 s29, s27, s26
	s_cmp_ge_u32 s27, s26
	s_cselect_b32 s26, s29, s27
	s_delay_alu instid0(SALU_CYCLE_1)
	s_ashr_i32 s27, s26, 31
	s_wait_kmcnt 0x0
	s_mul_u64 s[24:25], s[24:25], s[26:27]
	s_wait_alu 0xfffe
	s_add_nc_u64 s[34:35], s[10:11], s[24:25]
.LBB5_2:
	v_lshrrev_b32_e32 v1, 10, v0
	s_load_b96 s[24:26], s[0:1], 0x70
	s_delay_alu instid0(VALU_DEP_1) | instskip(NEXT) | instid1(VALU_DEP_1)
	v_bfe_u32 v1, v1, 1, 9
	v_lshl_add_u32 v12, ttmp9, 2, v1
	v_bfe_u32 v1, v0, 10, 10
	s_delay_alu instid0(VALU_DEP_2) | instskip(NEXT) | instid1(VALU_DEP_2)
	v_mul_hi_u32 v3, s20, v12
	v_lshlrev_b32_e32 v2, 2, v1
	s_delay_alu instid0(VALU_DEP_1)
	v_or_b32_e32 v28, 3, v2
	s_wait_kmcnt 0x0
	s_mul_i32 s10, s28, s26
	s_ashr_i32 s27, s25, 31
	s_mov_b32 s26, s25
	v_or_b32_e32 v26, 1, v2
	v_and_b32_e32 v19, 7, v28
	s_lshr_b64 s[40:41], s[26:27], 2
	v_or_b32_e32 v27, 2, v2
	s_mul_i32 s20, s33, s25
	v_and_b32_e32 v11, 5, v26
	v_mad_co_u64_u32 v[9:10], null, s40, v19, 0
	v_and_b32_e32 v13, 0x3ff, v0
	v_add_nc_u32_e32 v0, v12, v3
	v_and_b32_e32 v18, 6, v27
	s_ashr_i32 s25, s24, 31
	v_mad_co_u64_u32 v[5:6], null, s40, v11, 0
	s_delay_alu instid0(VALU_DEP_3)
	v_lshrrev_b32_e32 v0, s21, v0
	s_wait_alu 0xfffe
	s_lshr_b64 s[42:43], s[24:25], 2
	v_mad_co_u64_u32 v[7:8], null, s40, v18, 0
	s_lshr_b32 s24, s25, 2
	v_mul_lo_u32 v0, v0, s22
	s_lshr_b32 s25, s27, 2
	s_ashr_i32 s11, s10, 31
	s_ashr_i32 s21, s20, 31
	s_add_nc_u64 s[4:5], s[4:5], s[10:11]
	s_cmp_eq_u64 s[14:15], 0
	s_wait_alu 0xfffe
	s_add_nc_u64 s[4:5], s[4:5], s[20:21]
	v_sub_nc_u32_e32 v0, v12, v0
	s_delay_alu instid0(VALU_DEP_1) | instskip(NEXT) | instid1(VALU_DEP_1)
	v_mad_co_u64_u32 v[3:4], null, s42, v0, 0
	v_mad_co_u64_u32 v[16:17], null, s24, v0, v[4:5]
	;; [unrolled: 1-line block ×3, first 2 shown]
	v_dual_mov_b32 v4, v10 :: v_dual_and_b32 v33, 4, v2
	v_mad_co_u64_u32 v[10:11], null, s25, v11, v[6:7]
	s_delay_alu instid0(VALU_DEP_3) | instskip(NEXT) | instid1(VALU_DEP_3)
	v_mov_b32_e32 v8, v17
	v_mad_co_u64_u32 v[18:19], null, s25, v19, v[4:5]
	v_mov_b32_e32 v4, v16
	v_mul_lo_u32 v20, s25, v33
	v_mad_co_u64_u32 v[14:15], null, s40, v33, 0
	v_lshlrev_b32_e32 v11, 4, v13
	s_delay_alu instid0(VALU_DEP_4)
	v_lshlrev_b64_e32 v[3:4], 2, v[3:4]
	v_mov_b32_e32 v6, v10
	v_mov_b32_e32 v10, v18
	v_lshlrev_b64_e32 v[16:17], 2, v[7:8]
	v_or_b32_e32 v15, v15, v20
	v_add_co_u32 v3, vcc_lo, s4, v3
	s_delay_alu instid0(VALU_DEP_1) | instskip(NEXT) | instid1(VALU_DEP_3)
	v_add_co_ci_u32_e64 v4, null, s5, v4, vcc_lo
	v_lshlrev_b64_e32 v[14:15], 2, v[14:15]
	s_delay_alu instid0(VALU_DEP_3)
	v_add_co_u32 v20, vcc_lo, v3, v11
	v_lshlrev_b64_e32 v[5:6], 2, v[5:6]
	s_wait_alu 0xfffd
	v_add_co_ci_u32_e64 v21, null, 0, v4, vcc_lo
	v_lshlrev_b64_e32 v[8:9], 2, v[9:10]
	v_add_co_u32 v3, vcc_lo, v20, v14
	s_wait_alu 0xfffd
	s_delay_alu instid0(VALU_DEP_3)
	v_add_co_ci_u32_e64 v4, null, v21, v15, vcc_lo
	v_add_co_u32 v10, vcc_lo, v20, v5
	s_wait_alu 0xfffd
	v_add_co_ci_u32_e64 v11, null, v21, v6, vcc_lo
	v_add_co_u32 v18, vcc_lo, v20, v16
	s_wait_alu 0xfffd
	;; [unrolled: 3-line block ×3, first 2 shown]
	v_add_co_ci_u32_e64 v9, null, v21, v9, vcc_lo
	s_clause 0x3
	global_load_b128 v[4:7], v[3:4], off
	global_load_b128 v[14:17], v[10:11], off
	;; [unrolled: 1-line block ×4, first 2 shown]
	s_load_b32 s4, s[0:1], 0x40
	v_lshlrev_b32_e32 v11, 3, v13
	v_lshlrev_b32_e32 v3, 10, v1
	s_delay_alu instid0(VALU_DEP_2) | instskip(NEXT) | instid1(VALU_DEP_1)
	v_add_nc_u32_e32 v8, 0x6800, v11
	v_add_nc_u32_e32 v10, v8, v3
	v_lshl_add_u32 v26, v26, 8, v8
	v_lshl_add_u32 v27, v27, 8, v8
	;; [unrolled: 1-line block ×3, first 2 shown]
	s_wait_loadcnt 0x3
	s_wait_kmcnt 0x0
	v_fma_mixlo_f16 v4, s4, v4, 0
	v_fma_mixlo_f16 v5, s4, v5, 0
	v_fma_mixlo_f16 v6, s4, v6, 0
	v_fma_mixlo_f16 v7, s4, v7, 0
	s_wait_loadcnt 0x2
	v_fma_mixlo_f16 v8, s4, v14, 0
	v_fma_mixlo_f16 v9, s4, v15, 0
	v_fma_mixlo_f16 v14, s4, v16, 0
	v_fma_mixlo_f16 v15, s4, v17, 0
	s_wait_loadcnt 0x1
	;; [unrolled: 5-line block ×3, first 2 shown]
	v_fma_mixlo_f16 v20, s4, v22, 0
	v_fma_mixlo_f16 v21, s4, v23, 0
	v_lshlrev_b32_e32 v5, 16, v5
	v_and_b32_e32 v4, 0xffff, v4
	v_lshlrev_b32_e32 v7, 16, v7
	v_and_b32_e32 v6, 0xffff, v6
	v_lshlrev_b32_e32 v9, 16, v9
	v_and_b32_e32 v8, 0xffff, v8
	v_lshlrev_b32_e32 v17, 16, v17
	v_and_b32_e32 v16, 0xffff, v16
	v_fma_mixlo_f16 v22, s4, v24, 0
	v_fma_mixlo_f16 v23, s4, v25, 0
	v_lshlrev_b32_e32 v15, 16, v15
	v_and_b32_e32 v14, 0xffff, v14
	v_lshlrev_b32_e32 v21, 16, v21
	v_and_b32_e32 v20, 0xffff, v20
	v_or_b32_e32 v4, v5, v4
	v_or3_b32 v5, v7, v6, 0
	v_or_b32_e32 v6, v9, v8
	v_lshlrev_b32_e32 v19, 16, v19
	v_and_b32_e32 v18, 0xffff, v18
	v_or_b32_e32 v8, v17, v16
	v_lshlrev_b32_e32 v23, 16, v23
	v_and_b32_e32 v22, 0xffff, v22
	v_or3_b32 v7, v15, v14, 0
	v_or_b32_e32 v14, v21, v20
	v_or3_b32 v4, 0, 0, v4
	v_or3_b32 v6, 0, 0, v6
	;; [unrolled: 1-line block ×6, first 2 shown]
	ds_store_b64 v10, v[4:5]
	ds_store_b64 v26, v[6:7]
	;; [unrolled: 1-line block ×4, first 2 shown]
	s_wait_dscnt 0x0
	s_barrier_signal -1
	s_barrier_wait -1
	global_inv scope:SCOPE_SE
	s_cbranch_scc1 .LBB5_4
; %bb.3:
	s_load_b32 s4, s[0:1], 0xd0
	s_mov_b32 s5, 0
	s_wait_kmcnt 0x0
	s_mul_i32 s4, s4, s28
	s_wait_alu 0xfffe
	s_add_co_i32 s4, s4, ttmp9
	s_wait_alu 0xfffe
	s_lshl_b64 s[4:5], s[4:5], 2
	s_wait_alu 0xfffe
	s_add_nc_u64 s[4:5], s[14:15], s[4:5]
	s_load_b32 s30, s[4:5], 0x0
.LBB5_4:
	s_and_b32 s10, ttmp7, 0xffff
	v_mbcnt_lo_u32_b32 v34, -1, 0
	s_lshl_b32 s14, s10, 7
	s_wait_kmcnt 0x0
	s_cmp_lt_i32 s14, s30
	s_cbranch_scc1 .LBB5_7
; %bb.5:
	v_mbcnt_lo_u32_b32 v4, -1, 0
	v_mov_b32_e32 v35, 32
	s_delay_alu instid0(VALU_DEP_2)
	v_xor_b32_e32 v40, 16, v4
	v_xor_b32_e32 v39, 8, v4
	;; [unrolled: 1-line block ×5, first 2 shown]
	v_lshlrev_b32_e32 v32, 2, v13
	s_mov_b32 s29, 0
	s_cbranch_execz .LBB5_8
; %bb.6:
	v_dual_mov_b32 v72, 0 :: v_dual_mov_b32 v41, 0
	v_dual_mov_b32 v3, 0xfeffffff :: v_dual_mov_b32 v2, 0xfeffffff
	;; [unrolled: 1-line block ×8, first 2 shown]
	s_branch .LBB5_11
.LBB5_7:
                                        ; implicit-def: $vgpr4
                                        ; implicit-def: $vgpr35
                                        ; implicit-def: $vgpr40
                                        ; implicit-def: $vgpr39
                                        ; implicit-def: $vgpr38
                                        ; implicit-def: $vgpr37
                                        ; implicit-def: $vgpr36
	v_lshlrev_b32_e32 v32, 2, v13
	s_mov_b32 s29, 0
.LBB5_8:
	s_mul_f32 s2, s2, 0x4f7ffffe
	s_clause 0x1
	s_load_b128 s[24:27], s[0:1], 0x98
	s_load_b64 s[4:5], s[0:1], 0x8c
	s_sub_co_i32 s15, 0, s31
	s_mov_b32 s21, s3
	s_cvt_u32_f32 s11, s2
	s_abs_i32 s2, s33
	s_ashr_i32 s40, s38, 31
	s_load_b64 s[38:39], s[0:1], 0xa8
	s_mul_i32 s15, s15, s11
	s_ashr_i32 s36, s33, 31
	s_mul_hi_u32 s15, s11, s15
	v_lshrrev_b32_e32 v4, 3, v13
	s_add_co_i32 s20, s11, s15
	s_ashr_i32 s11, s37, 1
	s_wait_alu 0xfffe
	s_mul_u64 s[20:21], s[2:3], s[20:21]
	s_xor_b32 s15, s36, s40
	s_wait_alu 0xfffe
	s_mul_i32 s3, s21, s31
	s_add_co_i32 s36, s21, 1
	s_wait_alu 0xfffe
	s_sub_co_i32 s2, s2, s3
	v_dual_mov_b32 v67, 0 :: v_dual_add_nc_u32 v2, v4, v2
	s_wait_kmcnt 0x0
	s_ashr_i32 s20, s26, 2
	s_ashr_i32 s26, s4, 2
	s_wait_alu 0xfffe
	s_sub_co_i32 s3, s2, s31
	s_cmp_ge_u32 s2, s31
	v_mul_lo_u32 v4, s26, v2
	s_cselect_b32 s4, s36, s21
	s_wait_alu 0xfffe
	s_cselect_b32 s2, s3, s2
	s_add_co_i32 s21, s4, 1
	s_wait_alu 0xfffe
	s_cmp_ge_u32 s2, s31
	s_mul_u64 s[2:3], s[24:25], s[28:29]
	s_cselect_b32 s4, s21, s4
	v_lshrrev_b32_e32 v7, 4, v13
	s_wait_alu 0xfffe
	s_xor_b32 s4, s4, s15
	s_mul_u64 s[24:25], s[38:39], s[28:29]
	s_wait_alu 0xfffe
	s_sub_co_i32 s15, s4, s15
	s_add_nc_u64 s[2:3], s[6:7], s[2:3]
	s_mul_i32 s4, s15, s5
	s_add_nc_u64 s[6:7], s[8:9], s[24:25]
	s_wait_alu 0xfffe
	s_ashr_i32 s5, s4, 31
	v_lshl_add_u32 v8, v1, 1, v7
	s_wait_alu 0xfffe
	s_add_nc_u64 s[24:25], s[2:3], s[4:5]
	s_lshl_b32 s2, s26, 5
	v_dual_mov_b32 v73, 0 :: v_dual_and_b32 v28, 60, v32
	s_wait_alu 0xfffe
	v_dual_mov_b32 v69, 0 :: v_dual_add_nc_u32 v6, s2, v4
	v_mul_lo_u32 v20, s20, v8
	v_dual_mov_b32 v35, 32 :: v_dual_and_b32 v14, 28, v32
	s_delay_alu instid0(VALU_DEP_3) | instskip(SKIP_1) | instid1(VALU_DEP_3)
	v_add_nc_u32_e32 v1, s2, v6
	v_dual_mov_b32 v70, 0 :: v_dual_lshlrev_b32 v9, 2, v28
	v_dual_mov_b32 v66, 0 :: v_dual_lshlrev_b32 v5, 2, v14
	v_dual_mov_b32 v72, 0 :: v_dual_add_nc_u32 v49, 0x6800, v3
	s_delay_alu instid0(VALU_DEP_3)
	v_lshl_or_b32 v51, v8, 8, v9
	v_mad_co_u64_u32 v[8:9], null, v0, s11, v[13:14]
	v_mov_b32_e32 v0, 0xfeffffff
	v_add_nc_u32_e32 v18, s2, v1
	s_lshl_b32 s2, s20, 4
	v_add_nc_u32_e32 v52, 0x4800, v3
	s_wait_alu 0xfffe
	v_dual_mov_b32 v3, 0xfeffffff :: v_dual_add_nc_u32 v22, s2, v20
	v_mad_u32_u24 v45, 0x90, v2, v5
	v_ashrrev_i32_e32 v2, 31, v1
	s_delay_alu instid0(VALU_DEP_3)
	v_dual_mov_b32 v41, 0 :: v_dual_add_nc_u32 v24, s2, v22
	v_ashrrev_i32_e32 v5, 31, v4
	v_ashrrev_i32_e32 v7, 31, v6
	;; [unrolled: 1-line block ×4, first 2 shown]
	v_add_nc_u32_e32 v26, s2, v24
	v_ashrrev_i32_e32 v25, 31, v24
	v_lshlrev_b64_e32 v[16:17], 2, v[1:2]
	v_mov_b32_e32 v1, 0xfeffffff
	v_ashrrev_i32_e32 v19, 31, v18
	v_ashrrev_i32_e32 v27, 31, v26
	s_mul_i32 s8, s15, s27
	v_lshlrev_b64_e32 v[9:10], 2, v[4:5]
	v_lshlrev_b32_e32 v56, 2, v14
	v_lshlrev_b64_e32 v[14:15], 2, v[6:7]
	v_lshlrev_b64_e32 v[18:19], 2, v[18:19]
	;; [unrolled: 1-line block ×6, first 2 shown]
	v_dual_mov_b32 v71, 0 :: v_dual_add_nc_u32 v46, 0x1200, v45
	v_dual_mov_b32 v68, 0 :: v_dual_add_nc_u32 v47, 0x2400, v45
	;; [unrolled: 1-line block ×3, first 2 shown]
	v_mul_u32_u24_e32 v50, 0x90, v13
	v_dual_mov_b32 v44, 0 :: v_dual_add_nc_u32 v53, 0x1000, v51
	v_add_nc_u32_e32 v54, 0x2000, v51
	v_dual_mov_b32 v42, 0 :: v_dual_add_nc_u32 v55, 0x3000, v51
	v_xor_b32_e32 v40, 16, v34
	v_xor_b32_e32 v39, 8, v34
	;; [unrolled: 1-line block ×5, first 2 shown]
	v_dual_mov_b32 v2, 0xfeffffff :: v_dual_add_nc_u32 v57, v52, v11
	v_lshlrev_b32_e32 v58, 2, v28
	v_add_nc_u32_e32 v59, 0x800, v11
	v_add_nc_u32_e32 v60, 0x1000, v11
	;; [unrolled: 1-line block ×7, first 2 shown]
	s_ashr_i32 s9, s8, 31
	s_ashr_i32 s27, s26, 31
	s_add_nc_u64 s[36:37], s[6:7], s[8:9]
	s_ashr_i32 s21, s20, 31
	s_add_nc_u64 s[38:39], s[0:1], 0xd0
.LBB5_9:                                ; =>This Inner Loop Header: Depth=1
	s_ashr_i32 s15, s14, 31
	v_mov_b32_e32 v81, 0
	s_wait_alu 0xfffe
	s_mul_u64 s[2:3], s[14:15], s[26:27]
	v_mov_b32_e32 v88, 0
	s_wait_alu 0xfffe
	s_lshl_b64 s[2:3], s[2:3], 2
	v_mov_b32_e32 v86, 0
	s_wait_alu 0xfffe
	s_add_nc_u64 s[2:3], s[24:25], s[2:3]
	v_mov_b32_e32 v87, 0
	s_wait_alu 0xfffe
	v_add_co_u32 v4, vcc_lo, s2, v9
	s_wait_alu 0xfffd
	v_add_co_ci_u32_e64 v5, null, s3, v10, vcc_lo
	v_mov_b32_e32 v89, 0
	s_delay_alu instid0(VALU_DEP_3) | instskip(SKIP_1) | instid1(VALU_DEP_3)
	v_add_co_u32 v4, vcc_lo, v4, v56
	s_wait_alu 0xfffd
	v_add_co_ci_u32_e64 v5, null, 0, v5, vcc_lo
	v_add_co_u32 v6, vcc_lo, s2, v14
	s_wait_alu 0xfffd
	v_add_co_ci_u32_e64 v7, null, s3, v15, vcc_lo
	global_load_b128 v[28:31], v[4:5], off
	v_add_co_u32 v6, vcc_lo, v6, v56
	s_wait_alu 0xfffd
	v_add_co_ci_u32_e64 v7, null, 0, v7, vcc_lo
	s_wait_loadcnt 0x0
	ds_store_b128 v45, v[28:31]
	global_load_b128 v[28:31], v[6:7], off
	s_wait_loadcnt 0x0
	ds_store_b128 v46, v[28:31]
	v_add_co_u32 v28, vcc_lo, s2, v16
	s_wait_alu 0xfffd
	v_add_co_ci_u32_e64 v29, null, s3, v17, vcc_lo
	s_delay_alu instid0(VALU_DEP_2) | instskip(SKIP_1) | instid1(VALU_DEP_2)
	v_add_co_u32 v28, vcc_lo, v28, v56
	s_wait_alu 0xfffd
	v_add_co_ci_u32_e64 v29, null, 0, v29, vcc_lo
	v_add_co_u32 v30, vcc_lo, s2, v18
	s_wait_alu 0xfffd
	v_add_co_ci_u32_e64 v31, null, s3, v19, vcc_lo
	global_load_b128 v[74:77], v[28:29], off
	v_add_co_u32 v30, vcc_lo, v30, v56
	s_wait_alu 0xfffd
	v_add_co_ci_u32_e64 v31, null, 0, v31, vcc_lo
	s_wait_loadcnt 0x0
	ds_store_b128 v47, v[74:77]
	global_load_b128 v[74:77], v[30:31], off
	s_wait_loadcnt 0x0
	ds_store_b128 v48, v[74:77]
	s_wait_dscnt 0x0
	s_barrier_signal -1
	s_barrier_wait -1
	global_inv scope:SCOPE_SE
	ds_load_b128 v[77:80], v50
	ds_load_b128 v[90:93], v49
	ds_load_b128 v[94:97], v49 offset:256
	ds_load_b128 v[98:101], v49 offset:512
	;; [unrolled: 1-line block ×6, first 2 shown]
	v_mov_b32_e32 v76, 0
	s_wait_dscnt 0x6
	;;#ASMSTART
	v_dot2_f32_f16 v81, v77, v90, v81
	;;#ASMEND
	;;#ASMSTART
	v_dot2_f32_f16 v81, v78, v91, v81
	;;#ASMEND
	;; [unrolled: 3-line block ×4, first 2 shown]
	s_wait_dscnt 0x5
	;;#ASMSTART
	v_dot2_f32_f16 v76, v77, v94, v76
	;;#ASMEND
	;;#ASMSTART
	v_dot2_f32_f16 v76, v78, v95, v76
	;;#ASMEND
	;; [unrolled: 3-line block ×3, first 2 shown]
	v_dual_mov_b32 v75, 0 :: v_dual_mov_b32 v74, 0
	;;#ASMSTART
	v_dot2_f32_f16 v76, v80, v97, v76
	;;#ASMEND
	s_wait_dscnt 0x4
	;;#ASMSTART
	v_dot2_f32_f16 v75, v77, v98, v75
	;;#ASMEND
	;;#ASMSTART
	v_dot2_f32_f16 v75, v78, v99, v75
	;;#ASMEND
	;; [unrolled: 3-line block ×4, first 2 shown]
	s_wait_dscnt 0x3
	;;#ASMSTART
	v_dot2_f32_f16 v74, v77, v102, v74
	;;#ASMEND
	;;#ASMSTART
	v_dot2_f32_f16 v74, v78, v103, v74
	;;#ASMEND
	;; [unrolled: 3-line block ×4, first 2 shown]
	v_mov_b32_e32 v79, 0
	s_wait_dscnt 0x2
	;;#ASMSTART
	v_dot2_f32_f16 v88, v82, v90, v88
	;;#ASMEND
	;;#ASMSTART
	v_dot2_f32_f16 v88, v83, v91, v88
	;;#ASMEND
	;;#ASMSTART
	v_dot2_f32_f16 v88, v84, v92, v88
	;;#ASMEND
	;;#ASMSTART
	v_dot2_f32_f16 v88, v85, v93, v88
	;;#ASMEND
	;;#ASMSTART
	v_dot2_f32_f16 v79, v82, v94, v79
	;;#ASMEND
	;;#ASMSTART
	v_dot2_f32_f16 v79, v83, v95, v79
	;;#ASMEND
	;;#ASMSTART
	v_dot2_f32_f16 v79, v84, v96, v79
	;;#ASMEND
	v_dual_mov_b32 v78, 0 :: v_dual_mov_b32 v77, 0
	;;#ASMSTART
	v_dot2_f32_f16 v79, v85, v97, v79
	;;#ASMEND
	;;#ASMSTART
	v_dot2_f32_f16 v78, v82, v98, v78
	;;#ASMEND
	;; [unrolled: 3-line block ×8, first 2 shown]
	v_dual_mov_b32 v84, 0 :: v_dual_mov_b32 v83, 0
	;;#ASMSTART
	v_dot2_f32_f16 v77, v85, v105, v77
	;;#ASMEND
	s_wait_dscnt 0x1
	;;#ASMSTART
	v_dot2_f32_f16 v84, v106, v90, v84
	;;#ASMEND
	;;#ASMSTART
	v_dot2_f32_f16 v84, v107, v91, v84
	;;#ASMEND
	;;#ASMSTART
	v_dot2_f32_f16 v84, v108, v92, v84
	;;#ASMEND
	;;#ASMSTART
	v_dot2_f32_f16 v84, v109, v93, v84
	;;#ASMEND
	;;#ASMSTART
	v_dot2_f32_f16 v83, v106, v94, v83
	;;#ASMEND
	;;#ASMSTART
	v_dot2_f32_f16 v83, v107, v95, v83
	;;#ASMEND
	;;#ASMSTART
	v_dot2_f32_f16 v83, v108, v96, v83
	;;#ASMEND
	v_mov_b32_e32 v82, 0
	;;#ASMSTART
	v_dot2_f32_f16 v83, v109, v97, v83
	;;#ASMEND
	;;#ASMSTART
	v_dot2_f32_f16 v82, v106, v98, v82
	;;#ASMEND
	;; [unrolled: 3-line block ×4, first 2 shown]
	v_mov_b32_e32 v80, 0
	;;#ASMSTART
	v_dot2_f32_f16 v82, v109, v101, v82
	;;#ASMEND
	;;#ASMSTART
	v_dot2_f32_f16 v80, v106, v102, v80
	;;#ASMEND
	;; [unrolled: 3-line block ×5, first 2 shown]
	s_wait_dscnt 0x0
	;;#ASMSTART
	v_dot2_f32_f16 v89, v110, v90, v89
	;;#ASMEND
	;;#ASMSTART
	v_dot2_f32_f16 v89, v111, v91, v89
	;;#ASMEND
	;; [unrolled: 3-line block ×8, first 2 shown]
	v_mov_b32_e32 v85, 0
	;;#ASMSTART
	v_dot2_f32_f16 v86, v110, v98, v86
	;;#ASMEND
	;;#ASMSTART
	v_dot2_f32_f16 v86, v111, v99, v86
	;;#ASMEND
	;; [unrolled: 3-line block ×8, first 2 shown]
	ds_load_b128 v[90:93], v50 offset:16
	ds_load_b128 v[94:97], v49 offset:16
	;; [unrolled: 1-line block ×8, first 2 shown]
	s_wait_dscnt 0x6
	;;#ASMSTART
	v_dot2_f32_f16 v81, v90, v94, v81
	;;#ASMEND
	;;#ASMSTART
	v_dot2_f32_f16 v81, v91, v95, v81
	;;#ASMEND
	;;#ASMSTART
	v_dot2_f32_f16 v81, v92, v96, v81
	;;#ASMEND
	;;#ASMSTART
	v_dot2_f32_f16 v81, v93, v97, v81
	;;#ASMEND
	s_wait_dscnt 0x5
	;;#ASMSTART
	v_dot2_f32_f16 v76, v90, v98, v76
	;;#ASMEND
	;;#ASMSTART
	v_dot2_f32_f16 v76, v91, v99, v76
	;;#ASMEND
	;;#ASMSTART
	v_dot2_f32_f16 v76, v92, v100, v76
	;;#ASMEND
	;;#ASMSTART
	v_dot2_f32_f16 v76, v93, v101, v76
	;;#ASMEND
	;; [unrolled: 13-line block ×5, first 2 shown]
	;;#ASMSTART
	v_dot2_f32_f16 v79, v110, v98, v79
	;;#ASMEND
	;;#ASMSTART
	v_dot2_f32_f16 v79, v111, v99, v79
	;;#ASMEND
	;; [unrolled: 3-line block ×12, first 2 shown]
	s_wait_dscnt 0x1
	;;#ASMSTART
	v_dot2_f32_f16 v84, v114, v94, v84
	;;#ASMEND
	;;#ASMSTART
	v_dot2_f32_f16 v84, v115, v95, v84
	;;#ASMEND
	;; [unrolled: 3-line block ×16, first 2 shown]
	s_wait_dscnt 0x0
	;;#ASMSTART
	v_dot2_f32_f16 v89, v118, v94, v89
	;;#ASMEND
	;;#ASMSTART
	v_dot2_f32_f16 v89, v119, v95, v89
	;;#ASMEND
	;; [unrolled: 3-line block ×16, first 2 shown]
	ds_load_b128 v[90:93], v50 offset:32
	ds_load_b128 v[94:97], v49 offset:32
	;; [unrolled: 1-line block ×8, first 2 shown]
	s_wait_dscnt 0x6
	;;#ASMSTART
	v_dot2_f32_f16 v81, v90, v94, v81
	;;#ASMEND
	;;#ASMSTART
	v_dot2_f32_f16 v81, v91, v95, v81
	;;#ASMEND
	;;#ASMSTART
	v_dot2_f32_f16 v81, v92, v96, v81
	;;#ASMEND
	;;#ASMSTART
	v_dot2_f32_f16 v81, v93, v97, v81
	;;#ASMEND
	s_wait_dscnt 0x5
	;;#ASMSTART
	v_dot2_f32_f16 v76, v90, v98, v76
	;;#ASMEND
	;;#ASMSTART
	v_dot2_f32_f16 v76, v91, v99, v76
	;;#ASMEND
	;;#ASMSTART
	v_dot2_f32_f16 v76, v92, v100, v76
	;;#ASMEND
	;;#ASMSTART
	v_dot2_f32_f16 v76, v93, v101, v76
	;;#ASMEND
	;; [unrolled: 13-line block ×5, first 2 shown]
	;;#ASMSTART
	v_dot2_f32_f16 v79, v110, v98, v79
	;;#ASMEND
	;;#ASMSTART
	v_dot2_f32_f16 v79, v111, v99, v79
	;;#ASMEND
	;; [unrolled: 3-line block ×12, first 2 shown]
	s_wait_dscnt 0x1
	;;#ASMSTART
	v_dot2_f32_f16 v84, v114, v94, v84
	;;#ASMEND
	;;#ASMSTART
	v_dot2_f32_f16 v84, v115, v95, v84
	;;#ASMEND
	;; [unrolled: 3-line block ×16, first 2 shown]
	s_wait_dscnt 0x0
	;;#ASMSTART
	v_dot2_f32_f16 v89, v118, v94, v89
	;;#ASMEND
	;;#ASMSTART
	v_dot2_f32_f16 v89, v119, v95, v89
	;;#ASMEND
	;; [unrolled: 3-line block ×16, first 2 shown]
	ds_load_b128 v[90:93], v50 offset:48
	ds_load_b128 v[94:97], v49 offset:48
	;; [unrolled: 1-line block ×8, first 2 shown]
	s_wait_dscnt 0x6
	;;#ASMSTART
	v_dot2_f32_f16 v81, v90, v94, v81
	;;#ASMEND
	;;#ASMSTART
	v_dot2_f32_f16 v81, v91, v95, v81
	;;#ASMEND
	;;#ASMSTART
	v_dot2_f32_f16 v81, v92, v96, v81
	;;#ASMEND
	;;#ASMSTART
	v_dot2_f32_f16 v81, v93, v97, v81
	;;#ASMEND
	s_wait_dscnt 0x5
	;;#ASMSTART
	v_dot2_f32_f16 v76, v90, v98, v76
	;;#ASMEND
	;;#ASMSTART
	v_dot2_f32_f16 v76, v91, v99, v76
	;;#ASMEND
	;;#ASMSTART
	v_dot2_f32_f16 v76, v92, v100, v76
	;;#ASMEND
	;;#ASMSTART
	v_dot2_f32_f16 v76, v93, v101, v76
	;;#ASMEND
	;; [unrolled: 13-line block ×5, first 2 shown]
	;;#ASMSTART
	v_dot2_f32_f16 v79, v110, v98, v79
	;;#ASMEND
	;;#ASMSTART
	v_dot2_f32_f16 v79, v111, v99, v79
	;;#ASMEND
	;; [unrolled: 3-line block ×12, first 2 shown]
	s_wait_dscnt 0x1
	;;#ASMSTART
	v_dot2_f32_f16 v84, v114, v94, v84
	;;#ASMEND
	;;#ASMSTART
	v_dot2_f32_f16 v84, v115, v95, v84
	;;#ASMEND
	;; [unrolled: 3-line block ×16, first 2 shown]
	s_wait_dscnt 0x0
	;;#ASMSTART
	v_dot2_f32_f16 v89, v118, v94, v89
	;;#ASMEND
	;;#ASMSTART
	v_dot2_f32_f16 v89, v119, v95, v89
	;;#ASMEND
	;;#ASMSTART
	v_dot2_f32_f16 v89, v120, v96, v89
	;;#ASMEND
	;;#ASMSTART
	v_dot2_f32_f16 v89, v121, v97, v89
	;;#ASMEND
	;;#ASMSTART
	v_dot2_f32_f16 v87, v118, v98, v87
	;;#ASMEND
	;;#ASMSTART
	v_dot2_f32_f16 v87, v119, v99, v87
	;;#ASMEND
	;;#ASMSTART
	v_dot2_f32_f16 v87, v120, v100, v87
	;;#ASMEND
	;;#ASMSTART
	v_dot2_f32_f16 v87, v121, v101, v87
	;;#ASMEND
	;;#ASMSTART
	v_dot2_f32_f16 v86, v118, v102, v86
	;;#ASMEND
	;;#ASMSTART
	v_dot2_f32_f16 v86, v119, v103, v86
	;;#ASMEND
	;;#ASMSTART
	v_dot2_f32_f16 v86, v120, v104, v86
	;;#ASMEND
	;;#ASMSTART
	v_dot2_f32_f16 v86, v121, v105, v86
	;;#ASMEND
	;;#ASMSTART
	v_dot2_f32_f16 v85, v118, v106, v85
	;;#ASMEND
	;;#ASMSTART
	v_dot2_f32_f16 v85, v119, v107, v85
	;;#ASMEND
	;;#ASMSTART
	v_dot2_f32_f16 v85, v120, v108, v85
	;;#ASMEND
	;;#ASMSTART
	v_dot2_f32_f16 v85, v121, v109, v85
	;;#ASMEND
	ds_load_b128 v[90:93], v50 offset:64
	ds_load_b128 v[94:97], v49 offset:64
	;; [unrolled: 1-line block ×8, first 2 shown]
	s_wait_dscnt 0x6
	;;#ASMSTART
	v_dot2_f32_f16 v81, v90, v94, v81
	;;#ASMEND
	;;#ASMSTART
	v_dot2_f32_f16 v81, v91, v95, v81
	;;#ASMEND
	;;#ASMSTART
	v_dot2_f32_f16 v81, v92, v96, v81
	;;#ASMEND
	;;#ASMSTART
	v_dot2_f32_f16 v81, v93, v97, v81
	;;#ASMEND
	s_wait_dscnt 0x5
	;;#ASMSTART
	v_dot2_f32_f16 v76, v90, v98, v76
	;;#ASMEND
	;;#ASMSTART
	v_dot2_f32_f16 v76, v91, v99, v76
	;;#ASMEND
	;;#ASMSTART
	v_dot2_f32_f16 v76, v92, v100, v76
	;;#ASMEND
	;;#ASMSTART
	v_dot2_f32_f16 v76, v93, v101, v76
	;;#ASMEND
	;; [unrolled: 13-line block ×5, first 2 shown]
	;;#ASMSTART
	v_dot2_f32_f16 v79, v110, v98, v79
	;;#ASMEND
	;;#ASMSTART
	v_dot2_f32_f16 v79, v111, v99, v79
	;;#ASMEND
	;; [unrolled: 3-line block ×12, first 2 shown]
	s_wait_dscnt 0x1
	;;#ASMSTART
	v_dot2_f32_f16 v84, v114, v94, v84
	;;#ASMEND
	;;#ASMSTART
	v_dot2_f32_f16 v84, v115, v95, v84
	;;#ASMEND
	;; [unrolled: 3-line block ×16, first 2 shown]
	s_wait_dscnt 0x0
	;;#ASMSTART
	v_dot2_f32_f16 v89, v118, v94, v89
	;;#ASMEND
	;;#ASMSTART
	v_dot2_f32_f16 v89, v119, v95, v89
	;;#ASMEND
	;; [unrolled: 3-line block ×16, first 2 shown]
	ds_load_b128 v[90:93], v50 offset:80
	ds_load_b128 v[94:97], v49 offset:80
	;; [unrolled: 1-line block ×8, first 2 shown]
	s_wait_dscnt 0x6
	;;#ASMSTART
	v_dot2_f32_f16 v81, v90, v94, v81
	;;#ASMEND
	;;#ASMSTART
	v_dot2_f32_f16 v81, v91, v95, v81
	;;#ASMEND
	;;#ASMSTART
	v_dot2_f32_f16 v81, v92, v96, v81
	;;#ASMEND
	;;#ASMSTART
	v_dot2_f32_f16 v81, v93, v97, v81
	;;#ASMEND
	s_wait_dscnt 0x5
	;;#ASMSTART
	v_dot2_f32_f16 v76, v90, v98, v76
	;;#ASMEND
	;;#ASMSTART
	v_dot2_f32_f16 v76, v91, v99, v76
	;;#ASMEND
	;;#ASMSTART
	v_dot2_f32_f16 v76, v92, v100, v76
	;;#ASMEND
	;;#ASMSTART
	v_dot2_f32_f16 v76, v93, v101, v76
	;;#ASMEND
	s_wait_dscnt 0x4
	;;#ASMSTART
	v_dot2_f32_f16 v75, v90, v102, v75
	;;#ASMEND
	;;#ASMSTART
	v_dot2_f32_f16 v75, v91, v103, v75
	;;#ASMEND
	;;#ASMSTART
	v_dot2_f32_f16 v75, v92, v104, v75
	;;#ASMEND
	;;#ASMSTART
	v_dot2_f32_f16 v75, v93, v105, v75
	;;#ASMEND
	s_wait_dscnt 0x3
	;;#ASMSTART
	v_dot2_f32_f16 v74, v90, v106, v74
	;;#ASMEND
	;;#ASMSTART
	v_dot2_f32_f16 v74, v91, v107, v74
	;;#ASMEND
	;;#ASMSTART
	v_dot2_f32_f16 v74, v92, v108, v74
	;;#ASMEND
	;;#ASMSTART
	v_dot2_f32_f16 v74, v93, v109, v74
	;;#ASMEND
	s_wait_dscnt 0x2
	;;#ASMSTART
	v_dot2_f32_f16 v88, v110, v94, v88
	;;#ASMEND
	;;#ASMSTART
	v_dot2_f32_f16 v88, v111, v95, v88
	;;#ASMEND
	;;#ASMSTART
	v_dot2_f32_f16 v88, v112, v96, v88
	;;#ASMEND
	;;#ASMSTART
	v_dot2_f32_f16 v88, v113, v97, v88
	;;#ASMEND
	;;#ASMSTART
	v_dot2_f32_f16 v79, v110, v98, v79
	;;#ASMEND
	;;#ASMSTART
	v_dot2_f32_f16 v79, v111, v99, v79
	;;#ASMEND
	;;#ASMSTART
	v_dot2_f32_f16 v79, v112, v100, v79
	;;#ASMEND
	;;#ASMSTART
	v_dot2_f32_f16 v79, v113, v101, v79
	;;#ASMEND
	;;#ASMSTART
	v_dot2_f32_f16 v78, v110, v102, v78
	;;#ASMEND
	;;#ASMSTART
	v_dot2_f32_f16 v78, v111, v103, v78
	;;#ASMEND
	;;#ASMSTART
	v_dot2_f32_f16 v78, v112, v104, v78
	;;#ASMEND
	;;#ASMSTART
	v_dot2_f32_f16 v78, v113, v105, v78
	;;#ASMEND
	;;#ASMSTART
	v_dot2_f32_f16 v77, v110, v106, v77
	;;#ASMEND
	;;#ASMSTART
	v_dot2_f32_f16 v77, v111, v107, v77
	;;#ASMEND
	;;#ASMSTART
	v_dot2_f32_f16 v77, v112, v108, v77
	;;#ASMEND
	;;#ASMSTART
	v_dot2_f32_f16 v77, v113, v109, v77
	;;#ASMEND
	s_wait_dscnt 0x1
	;;#ASMSTART
	v_dot2_f32_f16 v84, v114, v94, v84
	;;#ASMEND
	;;#ASMSTART
	v_dot2_f32_f16 v84, v115, v95, v84
	;;#ASMEND
	;; [unrolled: 3-line block ×16, first 2 shown]
	s_wait_dscnt 0x0
	;;#ASMSTART
	v_dot2_f32_f16 v89, v118, v94, v89
	;;#ASMEND
	;;#ASMSTART
	v_dot2_f32_f16 v89, v119, v95, v89
	;;#ASMEND
	;; [unrolled: 3-line block ×16, first 2 shown]
	ds_load_b128 v[90:93], v50 offset:96
	ds_load_b128 v[94:97], v49 offset:96
	;; [unrolled: 1-line block ×8, first 2 shown]
	s_wait_dscnt 0x6
	;;#ASMSTART
	v_dot2_f32_f16 v81, v90, v94, v81
	;;#ASMEND
	;;#ASMSTART
	v_dot2_f32_f16 v81, v91, v95, v81
	;;#ASMEND
	;;#ASMSTART
	v_dot2_f32_f16 v81, v92, v96, v81
	;;#ASMEND
	;;#ASMSTART
	v_dot2_f32_f16 v81, v93, v97, v81
	;;#ASMEND
	s_wait_dscnt 0x5
	;;#ASMSTART
	v_dot2_f32_f16 v76, v90, v98, v76
	;;#ASMEND
	;;#ASMSTART
	v_dot2_f32_f16 v76, v91, v99, v76
	;;#ASMEND
	;;#ASMSTART
	v_dot2_f32_f16 v76, v92, v100, v76
	;;#ASMEND
	;;#ASMSTART
	v_dot2_f32_f16 v76, v93, v101, v76
	;;#ASMEND
	;; [unrolled: 13-line block ×5, first 2 shown]
	;;#ASMSTART
	v_dot2_f32_f16 v79, v110, v98, v79
	;;#ASMEND
	;;#ASMSTART
	v_dot2_f32_f16 v79, v111, v99, v79
	;;#ASMEND
	;; [unrolled: 3-line block ×12, first 2 shown]
	s_wait_dscnt 0x1
	;;#ASMSTART
	v_dot2_f32_f16 v84, v114, v94, v84
	;;#ASMEND
	;;#ASMSTART
	v_dot2_f32_f16 v84, v115, v95, v84
	;;#ASMEND
	;; [unrolled: 3-line block ×16, first 2 shown]
	s_wait_dscnt 0x0
	;;#ASMSTART
	v_dot2_f32_f16 v89, v118, v94, v89
	;;#ASMEND
	;;#ASMSTART
	v_dot2_f32_f16 v89, v119, v95, v89
	;;#ASMEND
	;; [unrolled: 3-line block ×16, first 2 shown]
	ds_load_b128 v[90:93], v50 offset:112
	ds_load_b128 v[94:97], v49 offset:112
	;; [unrolled: 1-line block ×8, first 2 shown]
	s_wait_dscnt 0x6
	;;#ASMSTART
	v_dot2_f32_f16 v81, v90, v94, v81
	;;#ASMEND
	;;#ASMSTART
	v_dot2_f32_f16 v81, v91, v95, v81
	;;#ASMEND
	;;#ASMSTART
	v_dot2_f32_f16 v81, v92, v96, v81
	;;#ASMEND
	;;#ASMSTART
	v_dot2_f32_f16 v81, v93, v97, v81
	;;#ASMEND
	s_wait_dscnt 0x5
	;;#ASMSTART
	v_dot2_f32_f16 v76, v90, v98, v76
	;;#ASMEND
	;;#ASMSTART
	v_dot2_f32_f16 v76, v91, v99, v76
	;;#ASMEND
	;;#ASMSTART
	v_dot2_f32_f16 v76, v92, v100, v76
	;;#ASMEND
	;;#ASMSTART
	v_dot2_f32_f16 v76, v93, v101, v76
	;;#ASMEND
	;; [unrolled: 13-line block ×5, first 2 shown]
	;;#ASMSTART
	v_dot2_f32_f16 v79, v110, v98, v79
	;;#ASMEND
	;;#ASMSTART
	v_dot2_f32_f16 v79, v111, v99, v79
	;;#ASMEND
	;; [unrolled: 3-line block ×12, first 2 shown]
	s_wait_dscnt 0x1
	;;#ASMSTART
	v_dot2_f32_f16 v84, v114, v94, v84
	;;#ASMEND
	;;#ASMSTART
	v_dot2_f32_f16 v84, v115, v95, v84
	;;#ASMEND
	;; [unrolled: 3-line block ×16, first 2 shown]
	s_wait_dscnt 0x0
	;;#ASMSTART
	v_dot2_f32_f16 v89, v118, v94, v89
	;;#ASMEND
	;;#ASMSTART
	v_dot2_f32_f16 v89, v119, v95, v89
	;;#ASMEND
	;; [unrolled: 3-line block ×16, first 2 shown]
	s_wait_loadcnt 0x0
	s_barrier_signal -1
	s_barrier_wait -1
	global_inv scope:SCOPE_SE
	s_clause 0x1
	global_load_b128 v[90:93], v[4:5], off offset:128
	global_load_b128 v[4:7], v[6:7], off offset:128
	s_wait_loadcnt 0x1
	ds_store_b128 v45, v[90:93]
	s_wait_loadcnt 0x0
	ds_store_b128 v46, v[4:7]
	global_load_b128 v[4:7], v[28:29], off offset:128
	s_wait_loadcnt 0x0
	ds_store_b128 v47, v[4:7]
	global_load_b128 v[4:7], v[30:31], off offset:128
	s_wait_loadcnt 0x0
	ds_store_b128 v48, v[4:7]
	s_wait_dscnt 0x0
	s_barrier_signal -1
	s_barrier_wait -1
	global_inv scope:SCOPE_SE
	ds_load_b128 v[4:7], v50
	ds_load_b128 v[28:31], v49 offset:128
	ds_load_b128 v[90:93], v49 offset:384
	;; [unrolled: 1-line block ×7, first 2 shown]
	s_wait_dscnt 0x6
	;;#ASMSTART
	v_dot2_f32_f16 v81, v4, v28, v81
	;;#ASMEND
	;;#ASMSTART
	v_dot2_f32_f16 v81, v5, v29, v81
	;;#ASMEND
	;;#ASMSTART
	v_dot2_f32_f16 v81, v6, v30, v81
	;;#ASMEND
	;;#ASMSTART
	v_dot2_f32_f16 v81, v7, v31, v81
	;;#ASMEND
	s_wait_dscnt 0x5
	;;#ASMSTART
	v_dot2_f32_f16 v76, v4, v90, v76
	;;#ASMEND
	;;#ASMSTART
	v_dot2_f32_f16 v76, v5, v91, v76
	;;#ASMEND
	;;#ASMSTART
	v_dot2_f32_f16 v76, v6, v92, v76
	;;#ASMEND
	;;#ASMSTART
	v_dot2_f32_f16 v76, v7, v93, v76
	;;#ASMEND
	;; [unrolled: 13-line block ×5, first 2 shown]
	;;#ASMSTART
	v_dot2_f32_f16 v79, v102, v90, v79
	;;#ASMEND
	;;#ASMSTART
	v_dot2_f32_f16 v79, v103, v91, v79
	;;#ASMEND
	;; [unrolled: 3-line block ×12, first 2 shown]
	s_wait_dscnt 0x1
	;;#ASMSTART
	v_dot2_f32_f16 v84, v106, v28, v84
	;;#ASMEND
	;;#ASMSTART
	v_dot2_f32_f16 v84, v107, v29, v84
	;;#ASMEND
	;; [unrolled: 3-line block ×16, first 2 shown]
	s_wait_dscnt 0x0
	;;#ASMSTART
	v_dot2_f32_f16 v89, v110, v28, v89
	;;#ASMEND
	;;#ASMSTART
	v_dot2_f32_f16 v89, v111, v29, v89
	;;#ASMEND
	;; [unrolled: 3-line block ×16, first 2 shown]
	ds_load_b128 v[4:7], v50 offset:16
	ds_load_b128 v[28:31], v49 offset:144
	;; [unrolled: 1-line block ×8, first 2 shown]
	s_wait_dscnt 0x6
	;;#ASMSTART
	v_dot2_f32_f16 v81, v4, v28, v81
	;;#ASMEND
	;;#ASMSTART
	v_dot2_f32_f16 v81, v5, v29, v81
	;;#ASMEND
	;;#ASMSTART
	v_dot2_f32_f16 v81, v6, v30, v81
	;;#ASMEND
	;;#ASMSTART
	v_dot2_f32_f16 v81, v7, v31, v81
	;;#ASMEND
	s_wait_dscnt 0x5
	;;#ASMSTART
	v_dot2_f32_f16 v76, v4, v90, v76
	;;#ASMEND
	;;#ASMSTART
	v_dot2_f32_f16 v76, v5, v91, v76
	;;#ASMEND
	;;#ASMSTART
	v_dot2_f32_f16 v76, v6, v92, v76
	;;#ASMEND
	;;#ASMSTART
	v_dot2_f32_f16 v76, v7, v93, v76
	;;#ASMEND
	;; [unrolled: 13-line block ×5, first 2 shown]
	;;#ASMSTART
	v_dot2_f32_f16 v79, v102, v90, v79
	;;#ASMEND
	;;#ASMSTART
	v_dot2_f32_f16 v79, v103, v91, v79
	;;#ASMEND
	;; [unrolled: 3-line block ×12, first 2 shown]
	s_wait_dscnt 0x1
	;;#ASMSTART
	v_dot2_f32_f16 v84, v106, v28, v84
	;;#ASMEND
	;;#ASMSTART
	v_dot2_f32_f16 v84, v107, v29, v84
	;;#ASMEND
	;; [unrolled: 3-line block ×16, first 2 shown]
	s_wait_dscnt 0x0
	;;#ASMSTART
	v_dot2_f32_f16 v89, v110, v28, v89
	;;#ASMEND
	;;#ASMSTART
	v_dot2_f32_f16 v89, v111, v29, v89
	;;#ASMEND
	;; [unrolled: 3-line block ×16, first 2 shown]
	ds_load_b128 v[4:7], v50 offset:32
	ds_load_b128 v[28:31], v49 offset:160
	;; [unrolled: 1-line block ×8, first 2 shown]
	s_wait_dscnt 0x6
	;;#ASMSTART
	v_dot2_f32_f16 v81, v4, v28, v81
	;;#ASMEND
	;;#ASMSTART
	v_dot2_f32_f16 v81, v5, v29, v81
	;;#ASMEND
	;;#ASMSTART
	v_dot2_f32_f16 v81, v6, v30, v81
	;;#ASMEND
	;;#ASMSTART
	v_dot2_f32_f16 v81, v7, v31, v81
	;;#ASMEND
	s_wait_dscnt 0x5
	;;#ASMSTART
	v_dot2_f32_f16 v76, v4, v90, v76
	;;#ASMEND
	;;#ASMSTART
	v_dot2_f32_f16 v76, v5, v91, v76
	;;#ASMEND
	;;#ASMSTART
	v_dot2_f32_f16 v76, v6, v92, v76
	;;#ASMEND
	;;#ASMSTART
	v_dot2_f32_f16 v76, v7, v93, v76
	;;#ASMEND
	;; [unrolled: 13-line block ×5, first 2 shown]
	;;#ASMSTART
	v_dot2_f32_f16 v79, v102, v90, v79
	;;#ASMEND
	;;#ASMSTART
	v_dot2_f32_f16 v79, v103, v91, v79
	;;#ASMEND
	;; [unrolled: 3-line block ×12, first 2 shown]
	s_wait_dscnt 0x1
	;;#ASMSTART
	v_dot2_f32_f16 v84, v106, v28, v84
	;;#ASMEND
	;;#ASMSTART
	v_dot2_f32_f16 v84, v107, v29, v84
	;;#ASMEND
	;; [unrolled: 3-line block ×16, first 2 shown]
	s_wait_dscnt 0x0
	;;#ASMSTART
	v_dot2_f32_f16 v89, v110, v28, v89
	;;#ASMEND
	;;#ASMSTART
	v_dot2_f32_f16 v89, v111, v29, v89
	;;#ASMEND
	;; [unrolled: 3-line block ×16, first 2 shown]
	ds_load_b128 v[4:7], v50 offset:48
	ds_load_b128 v[28:31], v49 offset:176
	;; [unrolled: 1-line block ×8, first 2 shown]
	s_wait_dscnt 0x6
	;;#ASMSTART
	v_dot2_f32_f16 v81, v4, v28, v81
	;;#ASMEND
	;;#ASMSTART
	v_dot2_f32_f16 v81, v5, v29, v81
	;;#ASMEND
	;;#ASMSTART
	v_dot2_f32_f16 v81, v6, v30, v81
	;;#ASMEND
	;;#ASMSTART
	v_dot2_f32_f16 v81, v7, v31, v81
	;;#ASMEND
	s_wait_dscnt 0x5
	;;#ASMSTART
	v_dot2_f32_f16 v76, v4, v90, v76
	;;#ASMEND
	;;#ASMSTART
	v_dot2_f32_f16 v76, v5, v91, v76
	;;#ASMEND
	;;#ASMSTART
	v_dot2_f32_f16 v76, v6, v92, v76
	;;#ASMEND
	;;#ASMSTART
	v_dot2_f32_f16 v76, v7, v93, v76
	;;#ASMEND
	;; [unrolled: 13-line block ×5, first 2 shown]
	;;#ASMSTART
	v_dot2_f32_f16 v79, v102, v90, v79
	;;#ASMEND
	;;#ASMSTART
	v_dot2_f32_f16 v79, v103, v91, v79
	;;#ASMEND
	;; [unrolled: 3-line block ×12, first 2 shown]
	s_wait_dscnt 0x1
	;;#ASMSTART
	v_dot2_f32_f16 v84, v106, v28, v84
	;;#ASMEND
	;;#ASMSTART
	v_dot2_f32_f16 v84, v107, v29, v84
	;;#ASMEND
	;; [unrolled: 3-line block ×16, first 2 shown]
	s_wait_dscnt 0x0
	;;#ASMSTART
	v_dot2_f32_f16 v89, v110, v28, v89
	;;#ASMEND
	;;#ASMSTART
	v_dot2_f32_f16 v89, v111, v29, v89
	;;#ASMEND
	;; [unrolled: 3-line block ×16, first 2 shown]
	ds_load_b128 v[4:7], v50 offset:64
	ds_load_b128 v[28:31], v49 offset:192
	;; [unrolled: 1-line block ×8, first 2 shown]
	s_wait_dscnt 0x6
	;;#ASMSTART
	v_dot2_f32_f16 v81, v4, v28, v81
	;;#ASMEND
	;;#ASMSTART
	v_dot2_f32_f16 v81, v5, v29, v81
	;;#ASMEND
	;;#ASMSTART
	v_dot2_f32_f16 v81, v6, v30, v81
	;;#ASMEND
	;;#ASMSTART
	v_dot2_f32_f16 v81, v7, v31, v81
	;;#ASMEND
	s_wait_dscnt 0x5
	;;#ASMSTART
	v_dot2_f32_f16 v76, v4, v90, v76
	;;#ASMEND
	;;#ASMSTART
	v_dot2_f32_f16 v76, v5, v91, v76
	;;#ASMEND
	;;#ASMSTART
	v_dot2_f32_f16 v76, v6, v92, v76
	;;#ASMEND
	;;#ASMSTART
	v_dot2_f32_f16 v76, v7, v93, v76
	;;#ASMEND
	;; [unrolled: 13-line block ×5, first 2 shown]
	;;#ASMSTART
	v_dot2_f32_f16 v79, v102, v90, v79
	;;#ASMEND
	;;#ASMSTART
	v_dot2_f32_f16 v79, v103, v91, v79
	;;#ASMEND
	;; [unrolled: 3-line block ×12, first 2 shown]
	s_wait_dscnt 0x1
	;;#ASMSTART
	v_dot2_f32_f16 v84, v106, v28, v84
	;;#ASMEND
	;;#ASMSTART
	v_dot2_f32_f16 v84, v107, v29, v84
	;;#ASMEND
	;; [unrolled: 3-line block ×16, first 2 shown]
	s_wait_dscnt 0x0
	;;#ASMSTART
	v_dot2_f32_f16 v89, v110, v28, v89
	;;#ASMEND
	;;#ASMSTART
	v_dot2_f32_f16 v89, v111, v29, v89
	;;#ASMEND
	;;#ASMSTART
	v_dot2_f32_f16 v89, v112, v30, v89
	;;#ASMEND
	;;#ASMSTART
	v_dot2_f32_f16 v89, v113, v31, v89
	;;#ASMEND
	;;#ASMSTART
	v_dot2_f32_f16 v87, v110, v90, v87
	;;#ASMEND
	;;#ASMSTART
	v_dot2_f32_f16 v87, v111, v91, v87
	;;#ASMEND
	;;#ASMSTART
	v_dot2_f32_f16 v87, v112, v92, v87
	;;#ASMEND
	;;#ASMSTART
	v_dot2_f32_f16 v87, v113, v93, v87
	;;#ASMEND
	;;#ASMSTART
	v_dot2_f32_f16 v86, v110, v94, v86
	;;#ASMEND
	;;#ASMSTART
	v_dot2_f32_f16 v86, v111, v95, v86
	;;#ASMEND
	;;#ASMSTART
	v_dot2_f32_f16 v86, v112, v96, v86
	;;#ASMEND
	;;#ASMSTART
	v_dot2_f32_f16 v86, v113, v97, v86
	;;#ASMEND
	;;#ASMSTART
	v_dot2_f32_f16 v85, v110, v98, v85
	;;#ASMEND
	;;#ASMSTART
	v_dot2_f32_f16 v85, v111, v99, v85
	;;#ASMEND
	;;#ASMSTART
	v_dot2_f32_f16 v85, v112, v100, v85
	;;#ASMEND
	;;#ASMSTART
	v_dot2_f32_f16 v85, v113, v101, v85
	;;#ASMEND
	ds_load_b128 v[4:7], v50 offset:80
	ds_load_b128 v[28:31], v49 offset:208
	;; [unrolled: 1-line block ×8, first 2 shown]
	s_wait_dscnt 0x6
	;;#ASMSTART
	v_dot2_f32_f16 v81, v4, v28, v81
	;;#ASMEND
	;;#ASMSTART
	v_dot2_f32_f16 v81, v5, v29, v81
	;;#ASMEND
	;;#ASMSTART
	v_dot2_f32_f16 v81, v6, v30, v81
	;;#ASMEND
	;;#ASMSTART
	v_dot2_f32_f16 v81, v7, v31, v81
	;;#ASMEND
	s_wait_dscnt 0x5
	;;#ASMSTART
	v_dot2_f32_f16 v76, v4, v90, v76
	;;#ASMEND
	;;#ASMSTART
	v_dot2_f32_f16 v76, v5, v91, v76
	;;#ASMEND
	;;#ASMSTART
	v_dot2_f32_f16 v76, v6, v92, v76
	;;#ASMEND
	;;#ASMSTART
	v_dot2_f32_f16 v76, v7, v93, v76
	;;#ASMEND
	;; [unrolled: 13-line block ×5, first 2 shown]
	;;#ASMSTART
	v_dot2_f32_f16 v79, v102, v90, v79
	;;#ASMEND
	;;#ASMSTART
	v_dot2_f32_f16 v79, v103, v91, v79
	;;#ASMEND
	;; [unrolled: 3-line block ×12, first 2 shown]
	s_wait_dscnt 0x1
	;;#ASMSTART
	v_dot2_f32_f16 v84, v106, v28, v84
	;;#ASMEND
	;;#ASMSTART
	v_dot2_f32_f16 v84, v107, v29, v84
	;;#ASMEND
	;;#ASMSTART
	v_dot2_f32_f16 v84, v108, v30, v84
	;;#ASMEND
	;;#ASMSTART
	v_dot2_f32_f16 v84, v109, v31, v84
	;;#ASMEND
	;;#ASMSTART
	v_dot2_f32_f16 v83, v106, v90, v83
	;;#ASMEND
	;;#ASMSTART
	v_dot2_f32_f16 v83, v107, v91, v83
	;;#ASMEND
	;;#ASMSTART
	v_dot2_f32_f16 v83, v108, v92, v83
	;;#ASMEND
	;;#ASMSTART
	v_dot2_f32_f16 v83, v109, v93, v83
	;;#ASMEND
	;;#ASMSTART
	v_dot2_f32_f16 v82, v106, v94, v82
	;;#ASMEND
	;;#ASMSTART
	v_dot2_f32_f16 v82, v107, v95, v82
	;;#ASMEND
	;;#ASMSTART
	v_dot2_f32_f16 v82, v108, v96, v82
	;;#ASMEND
	;;#ASMSTART
	v_dot2_f32_f16 v82, v109, v97, v82
	;;#ASMEND
	;;#ASMSTART
	v_dot2_f32_f16 v80, v106, v98, v80
	;;#ASMEND
	;;#ASMSTART
	v_dot2_f32_f16 v80, v107, v99, v80
	;;#ASMEND
	;;#ASMSTART
	v_dot2_f32_f16 v80, v108, v100, v80
	;;#ASMEND
	;;#ASMSTART
	v_dot2_f32_f16 v80, v109, v101, v80
	;;#ASMEND
	s_wait_dscnt 0x0
	;;#ASMSTART
	v_dot2_f32_f16 v89, v110, v28, v89
	;;#ASMEND
	;;#ASMSTART
	v_dot2_f32_f16 v89, v111, v29, v89
	;;#ASMEND
	;; [unrolled: 3-line block ×16, first 2 shown]
	ds_load_b128 v[4:7], v50 offset:96
	ds_load_b128 v[28:31], v49 offset:224
	ds_load_b128 v[90:93], v49 offset:480
	ds_load_b128 v[94:97], v49 offset:736
	ds_load_b128 v[98:101], v49 offset:992
	ds_load_b128 v[102:105], v50 offset:4704
	ds_load_b128 v[106:109], v50 offset:9312
	ds_load_b128 v[110:113], v50 offset:13920
	s_wait_dscnt 0x6
	;;#ASMSTART
	v_dot2_f32_f16 v81, v4, v28, v81
	;;#ASMEND
	;;#ASMSTART
	v_dot2_f32_f16 v81, v5, v29, v81
	;;#ASMEND
	;;#ASMSTART
	v_dot2_f32_f16 v81, v6, v30, v81
	;;#ASMEND
	;;#ASMSTART
	v_dot2_f32_f16 v81, v7, v31, v81
	;;#ASMEND
	s_wait_dscnt 0x5
	;;#ASMSTART
	v_dot2_f32_f16 v76, v4, v90, v76
	;;#ASMEND
	;;#ASMSTART
	v_dot2_f32_f16 v76, v5, v91, v76
	;;#ASMEND
	;;#ASMSTART
	v_dot2_f32_f16 v76, v6, v92, v76
	;;#ASMEND
	;;#ASMSTART
	v_dot2_f32_f16 v76, v7, v93, v76
	;;#ASMEND
	;; [unrolled: 13-line block ×5, first 2 shown]
	;;#ASMSTART
	v_dot2_f32_f16 v79, v102, v90, v79
	;;#ASMEND
	;;#ASMSTART
	v_dot2_f32_f16 v79, v103, v91, v79
	;;#ASMEND
	;; [unrolled: 3-line block ×12, first 2 shown]
	s_wait_dscnt 0x1
	;;#ASMSTART
	v_dot2_f32_f16 v84, v106, v28, v84
	;;#ASMEND
	;;#ASMSTART
	v_dot2_f32_f16 v84, v107, v29, v84
	;;#ASMEND
	;; [unrolled: 3-line block ×16, first 2 shown]
	s_wait_dscnt 0x0
	;;#ASMSTART
	v_dot2_f32_f16 v89, v110, v28, v89
	;;#ASMEND
	;;#ASMSTART
	v_dot2_f32_f16 v89, v111, v29, v89
	;;#ASMEND
	;; [unrolled: 3-line block ×16, first 2 shown]
	ds_load_b128 v[4:7], v50 offset:112
	ds_load_b128 v[28:31], v49 offset:240
	;; [unrolled: 1-line block ×8, first 2 shown]
	s_wait_dscnt 0x6
	;;#ASMSTART
	v_dot2_f32_f16 v81, v4, v28, v81
	;;#ASMEND
	;;#ASMSTART
	v_dot2_f32_f16 v81, v5, v29, v81
	;;#ASMEND
	;;#ASMSTART
	v_dot2_f32_f16 v81, v6, v30, v81
	;;#ASMEND
	;;#ASMSTART
	v_dot2_f32_f16 v81, v7, v31, v81
	;;#ASMEND
	s_wait_dscnt 0x5
	;;#ASMSTART
	v_dot2_f32_f16 v76, v4, v90, v76
	;;#ASMEND
	;;#ASMSTART
	v_dot2_f32_f16 v76, v5, v91, v76
	;;#ASMEND
	;;#ASMSTART
	v_dot2_f32_f16 v76, v6, v92, v76
	;;#ASMEND
	;;#ASMSTART
	v_dot2_f32_f16 v76, v7, v93, v76
	;;#ASMEND
	;; [unrolled: 13-line block ×5, first 2 shown]
	;;#ASMSTART
	v_dot2_f32_f16 v79, v102, v90, v79
	;;#ASMEND
	;;#ASMSTART
	v_dot2_f32_f16 v79, v103, v91, v79
	;;#ASMEND
	;; [unrolled: 3-line block ×12, first 2 shown]
	s_wait_dscnt 0x1
	;;#ASMSTART
	v_dot2_f32_f16 v84, v106, v28, v84
	;;#ASMEND
	;;#ASMSTART
	v_dot2_f32_f16 v84, v107, v29, v84
	;;#ASMEND
	v_dual_mov_b32 v6, v1 :: v_dual_mov_b32 v7, v0
	v_add_nc_u32_e32 v0, s14, v8
	;;#ASMSTART
	v_dot2_f32_f16 v84, v108, v30, v84
	;;#ASMEND
	;;#ASMSTART
	v_dot2_f32_f16 v84, v109, v31, v84
	;;#ASMEND
	;; [unrolled: 3-line block ×7, first 2 shown]
	v_ashrrev_i32_e32 v1, 31, v0
	;;#ASMSTART
	v_dot2_f32_f16 v82, v107, v95, v82
	;;#ASMEND
	;;#ASMSTART
	v_dot2_f32_f16 v82, v108, v96, v82
	;;#ASMEND
	;; [unrolled: 3-line block ×6, first 2 shown]
	v_lshlrev_b64_e32 v[0:1], 1, v[0:1]
	;;#ASMSTART
	v_dot2_f32_f16 v80, v109, v101, v80
	;;#ASMEND
	s_wait_dscnt 0x0
	;;#ASMSTART
	v_dot2_f32_f16 v89, v110, v28, v89
	;;#ASMEND
	;;#ASMSTART
	v_dot2_f32_f16 v89, v111, v29, v89
	;;#ASMEND
	;; [unrolled: 3-line block ×7, first 2 shown]
	v_add_co_u32 v0, vcc_lo, s34, v0
	;;#ASMSTART
	v_dot2_f32_f16 v87, v113, v93, v87
	;;#ASMEND
	;;#ASMSTART
	v_dot2_f32_f16 v86, v110, v94, v86
	;;#ASMEND
	;; [unrolled: 3-line block ×3, first 2 shown]
	s_wait_alu 0xfffd
	v_add_co_ci_u32_e64 v1, null, s35, v1, vcc_lo
	;;#ASMSTART
	v_dot2_f32_f16 v86, v112, v96, v86
	;;#ASMEND
	;;#ASMSTART
	v_dot2_f32_f16 v86, v113, v97, v86
	;;#ASMEND
	;; [unrolled: 3-line block ×6, first 2 shown]
	v_dual_mov_b32 v4, v3 :: v_dual_mov_b32 v5, v2
	s_clause 0x3
	global_load_u16 v2, v[0:1], off
	global_load_u16 v3, v[0:1], off offset:64
	global_load_u16 v28, v[0:1], off offset:128
	;; [unrolled: 1-line block ×3, first 2 shown]
	v_cmp_gt_i32_e32 vcc_lo, 32, v40
	s_wait_loadcnt 0x0
	s_barrier_signal -1
	s_barrier_wait -1
	global_inv scope:SCOPE_SE
	v_cvt_f32_f16_e32 v1, v2
	v_cvt_f32_f16_e32 v2, v3
	;; [unrolled: 1-line block ×4, first 2 shown]
	s_delay_alu instid0(VALU_DEP_3) | instskip(NEXT) | instid1(VALU_DEP_3)
	v_dual_add_f32 v29, v81, v1 :: v_dual_add_f32 v88, v88, v2
	v_add_f32_e32 v81, v84, v28
	s_delay_alu instid0(VALU_DEP_3) | instskip(NEXT) | instid1(VALU_DEP_3)
	v_dual_add_f32 v84, v89, v0 :: v_dual_add_f32 v75, v75, v1
	v_dual_add_f32 v3, 0x40051340, v29 :: v_dual_add_f32 v30, 0x40051340, v88
	;; [unrolled: 1-line block ×3, first 2 shown]
	s_delay_alu instid0(VALU_DEP_3) | instskip(SKIP_1) | instid1(VALU_DEP_4)
	v_add_f32_e32 v31, 0x40051340, v84
	v_add_f32_e32 v80, v80, v28
	v_max3_num_f32 v3, v7, v3, v30
	v_dual_add_f32 v30, 0x40051340, v81 :: v_dual_add_f32 v85, v85, v0
	s_delay_alu instid0(VALU_DEP_1) | instskip(SKIP_2) | instid1(VALU_DEP_1)
	v_max3_num_f32 v3, v3, v30, v31
	v_add_f32_e32 v30, v76, v1
	v_dual_add_f32 v76, v79, v2 :: v_dual_add_f32 v1, 0x40051340, v77
	v_add_f32_e32 v79, 0x40051340, v76
	s_delay_alu instid0(VALU_DEP_3) | instskip(NEXT) | instid1(VALU_DEP_1)
	v_add_f32_e32 v31, 0x40051340, v30
	v_max3_num_f32 v31, v6, v31, v79
	v_add_f32_e32 v79, v83, v28
	v_add_f32_e32 v83, v87, v0
	s_delay_alu instid0(VALU_DEP_2) | instskip(NEXT) | instid1(VALU_DEP_2)
	v_add_f32_e32 v87, 0x40051340, v79
	v_add_f32_e32 v89, 0x40051340, v83
	s_delay_alu instid0(VALU_DEP_1) | instskip(SKIP_1) | instid1(VALU_DEP_1)
	v_max3_num_f32 v31, v31, v87, v89
	v_dual_add_f32 v89, v78, v2 :: v_dual_add_f32 v78, 0x40051340, v75
	v_add_f32_e32 v87, 0x40051340, v89
	s_delay_alu instid0(VALU_DEP_1) | instskip(SKIP_4) | instid1(VALU_DEP_4)
	v_max3_num_f32 v87, v5, v78, v87
	v_add_f32_e32 v78, v82, v28
	v_add_f32_e32 v82, v86, v0
	;; [unrolled: 1-line block ×5, first 2 shown]
	s_delay_alu instid0(VALU_DEP_4) | instskip(NEXT) | instid1(VALU_DEP_4)
	v_add_f32_e32 v90, 0x40051340, v82
	v_max3_num_f32 v0, v4, v0, v1
	v_add_f32_e32 v1, 0x40051340, v80
	s_delay_alu instid0(VALU_DEP_3) | instskip(NEXT) | instid1(VALU_DEP_2)
	v_max3_num_f32 v86, v87, v86, v90
	v_max3_num_f32 v28, v0, v1, v2
	s_wait_alu 0xfffd
	v_cndmask_b32_e32 v0, v34, v40, vcc_lo
	v_cmp_gt_i32_e32 vcc_lo, 32, v39
	s_wait_alu 0xfffd
	s_delay_alu instid0(VALU_DEP_2)
	v_dual_cndmask_b32 v2, v34, v39 :: v_dual_lshlrev_b32 v87, 2, v0
	v_cmp_gt_i32_e32 vcc_lo, 32, v38
	ds_bpermute_b32 v0, v87, v3
	ds_bpermute_b32 v1, v87, v31
	s_wait_dscnt 0x0
	v_dual_max_num_f32 v0, v0, v0 :: v_dual_max_num_f32 v1, v1, v1
	s_delay_alu instid0(VALU_DEP_1) | instskip(SKIP_3) | instid1(VALU_DEP_1)
	v_dual_max_num_f32 v0, v3, v0 :: v_dual_lshlrev_b32 v3, 2, v2
	ds_bpermute_b32 v2, v3, v0
	s_wait_dscnt 0x0
	v_dual_max_num_f32 v1, v31, v1 :: v_dual_max_num_f32 v2, v2, v2
	v_max_num_f32_e32 v0, v0, v2
	ds_bpermute_b32 v2, v3, v1
	s_wait_dscnt 0x0
	v_max_num_f32_e32 v2, v2, v2
	s_delay_alu instid0(VALU_DEP_1) | instskip(SKIP_3) | instid1(VALU_DEP_2)
	v_max_num_f32_e32 v1, v1, v2
	s_wait_alu 0xfffd
	v_cndmask_b32_e32 v2, v34, v38, vcc_lo
	v_cmp_gt_i32_e32 vcc_lo, 32, v37
	v_lshlrev_b32_e32 v31, 2, v2
	ds_bpermute_b32 v2, v31, v0
	s_wait_dscnt 0x0
	v_max_num_f32_e32 v2, v2, v2
	s_delay_alu instid0(VALU_DEP_1) | instskip(SKIP_4) | instid1(VALU_DEP_1)
	v_max_num_f32_e32 v0, v0, v2
	ds_bpermute_b32 v2, v31, v1
	s_wait_dscnt 0x0
	v_max_num_f32_e32 v2, v2, v2
	s_wait_alu 0xfffd
	v_dual_max_num_f32 v1, v1, v2 :: v_dual_cndmask_b32 v2, v34, v37
	v_cmp_gt_i32_e32 vcc_lo, 32, v36
	s_delay_alu instid0(VALU_DEP_2) | instskip(SKIP_3) | instid1(VALU_DEP_1)
	v_lshlrev_b32_e32 v90, 2, v2
	ds_bpermute_b32 v2, v90, v0
	s_wait_dscnt 0x0
	v_max_num_f32_e32 v2, v2, v2
	v_max_num_f32_e32 v0, v0, v2
	ds_bpermute_b32 v2, v90, v1
	s_wait_dscnt 0x0
	v_max_num_f32_e32 v2, v2, v2
	s_wait_alu 0xfffd
	s_delay_alu instid0(VALU_DEP_1) | instskip(NEXT) | instid1(VALU_DEP_1)
	v_dual_max_num_f32 v1, v1, v2 :: v_dual_cndmask_b32 v2, v34, v36
	v_lshlrev_b32_e32 v91, 2, v2
	ds_bpermute_b32 v2, v91, v0
	s_wait_dscnt 0x0
	v_max_num_f32_e32 v2, v2, v2
	s_delay_alu instid0(VALU_DEP_1) | instskip(SKIP_3) | instid1(VALU_DEP_1)
	v_max_num_f32_e32 v0, v0, v2
	ds_bpermute_b32 v2, v87, v86
	s_wait_dscnt 0x0
	v_max_num_f32_e32 v2, v2, v2
	v_max_num_f32_e32 v2, v86, v2
	ds_bpermute_b32 v86, v3, v2
	s_wait_dscnt 0x0
	v_max_num_f32_e32 v86, v86, v86
	s_delay_alu instid0(VALU_DEP_1) | instskip(SKIP_3) | instid1(VALU_DEP_1)
	v_max_num_f32_e32 v2, v2, v86
	ds_bpermute_b32 v86, v31, v2
	s_wait_dscnt 0x0
	v_max_num_f32_e32 v86, v86, v86
	v_max_num_f32_e32 v2, v2, v86
	;; [unrolled: 9-line block ×3, first 2 shown]
	ds_bpermute_b32 v86, v87, v28
	v_sub_f32_e32 v78, v78, v2
	s_wait_dscnt 0x0
	v_max_num_f32_e32 v86, v86, v86
	s_delay_alu instid0(VALU_DEP_1) | instskip(SKIP_3) | instid1(VALU_DEP_1)
	v_max_num_f32_e32 v28, v28, v86
	ds_bpermute_b32 v3, v3, v28
	s_wait_dscnt 0x0
	v_max_num_f32_e32 v3, v3, v3
	v_max_num_f32_e32 v3, v28, v3
	ds_bpermute_b32 v28, v31, v3
	s_wait_dscnt 0x0
	v_max_num_f32_e32 v28, v28, v28
	s_delay_alu instid0(VALU_DEP_1)
	v_max_num_f32_e32 v3, v3, v28
	ds_bpermute_b32 v28, v90, v3
	s_wait_dscnt 0x0
	v_max_num_f32_e32 v28, v28, v28
	ds_bpermute_b32 v92, v91, v1
	v_max_num_f32_e32 v3, v3, v28
	ds_bpermute_b32 v28, v91, v3
	s_wait_dscnt 0x1
	v_max_num_f32_e32 v92, v92, v92
	s_delay_alu instid0(VALU_DEP_1) | instskip(SKIP_1) | instid1(VALU_DEP_1)
	v_max_num_f32_e32 v1, v1, v92
	s_wait_dscnt 0x0
	v_dual_max_num_f32 v28, v28, v28 :: v_dual_sub_f32 v83, v83, v1
	v_sub_f32_e32 v6, v6, v1
	v_sub_f32_e32 v79, v79, v1
	s_delay_alu instid0(VALU_DEP_3) | instskip(SKIP_1) | instid1(VALU_DEP_1)
	v_max_num_f32_e32 v3, v3, v28
	v_sub_f32_e32 v28, v29, v0
	v_dual_sub_f32 v4, v4, v3 :: v_dual_mul_f32 v29, 0x3fb8aa3b, v28
	v_cmp_ngt_f32_e32 vcc_lo, 0xc2ce8ed0, v28
	v_cmp_nlt_f32_e64 s2, 0x42b17218, v28
	s_delay_alu instid0(VALU_DEP_3) | instskip(NEXT) | instid1(VALU_DEP_1)
	v_fma_f32 v31, 0x3fb8aa3b, v28, -v29
	v_dual_fmac_f32 v31, 0x32a5705f, v28 :: v_dual_sub_f32 v28, v30, v1
	s_delay_alu instid0(VALU_DEP_1) | instskip(SKIP_2) | instid1(VALU_DEP_3)
	v_mul_f32_e32 v30, 0x3fb8aa3b, v28
	v_cmp_ngt_f32_e64 s3, 0xc2ce8ed0, v28
	v_cmp_nlt_f32_e64 s4, 0x42b17218, v28
	v_fma_f32 v86, 0x3fb8aa3b, v28, -v30
	s_delay_alu instid0(VALU_DEP_1) | instskip(SKIP_1) | instid1(VALU_DEP_1)
	v_fmac_f32_e32 v86, 0x32a5705f, v28
	v_sub_f32_e32 v28, v75, v2
	v_mul_f32_e32 v75, 0x3fb8aa3b, v28
	v_cmp_ngt_f32_e64 s5, 0xc2ce8ed0, v28
	v_cmp_nlt_f32_e64 s6, 0x42b17218, v28
	s_delay_alu instid0(VALU_DEP_3) | instskip(NEXT) | instid1(VALU_DEP_1)
	v_fma_f32 v87, 0x3fb8aa3b, v28, -v75
	v_dual_fmac_f32 v87, 0x32a5705f, v28 :: v_dual_sub_f32 v28, v74, v3
	s_delay_alu instid0(VALU_DEP_1) | instskip(SKIP_2) | instid1(VALU_DEP_3)
	v_mul_f32_e32 v74, 0x3fb8aa3b, v28
	v_cmp_ngt_f32_e64 s7, 0xc2ce8ed0, v28
	v_cmp_nlt_f32_e64 s8, 0x42b17218, v28
	v_fma_f32 v90, 0x3fb8aa3b, v28, -v74
	s_delay_alu instid0(VALU_DEP_1) | instskip(SKIP_1) | instid1(VALU_DEP_1)
	v_fmac_f32_e32 v90, 0x32a5705f, v28
	v_rndne_f32_e32 v28, v29
	v_sub_f32_e32 v29, v29, v28
	v_cvt_i32_f32_e32 v28, v28
	s_delay_alu instid0(VALU_DEP_2)
	v_add_f32_e32 v29, v29, v31
	v_rndne_f32_e32 v31, v30
	v_sub_f32_e32 v7, v7, v0
	v_sub_f32_e32 v81, v81, v0
	;; [unrolled: 1-line block ×3, first 2 shown]
	v_exp_f32_e32 v29, v29
	v_sub_f32_e32 v30, v30, v31
	v_cvt_i32_f32_e32 v31, v31
	s_delay_alu instid0(VALU_DEP_2) | instskip(SKIP_1) | instid1(TRANS32_DEP_1)
	v_add_f32_e32 v30, v30, v86
	v_rndne_f32_e32 v86, v75
	v_ldexp_f32 v28, v29, v28
	s_delay_alu instid0(VALU_DEP_3) | instskip(NEXT) | instid1(VALU_DEP_2)
	v_exp_f32_e32 v30, v30
	v_sub_f32_e32 v75, v75, v86
	v_cvt_i32_f32_e32 v29, v86
	s_delay_alu instid0(VALU_DEP_2) | instskip(SKIP_1) | instid1(TRANS32_DEP_1)
	v_add_f32_e32 v75, v75, v87
	v_rndne_f32_e32 v87, v74
	v_ldexp_f32 v30, v30, v31
	s_delay_alu instid0(VALU_DEP_3) | instskip(NEXT) | instid1(VALU_DEP_2)
	v_exp_f32_e32 v75, v75
	v_sub_f32_e32 v74, v74, v87
	s_wait_alu 0xf1ff
	s_delay_alu instid0(VALU_DEP_2) | instskip(NEXT) | instid1(VALU_DEP_2)
	v_cndmask_b32_e64 v30, 0, v30, s3
	v_add_f32_e32 v74, v74, v90
	s_delay_alu instid0(VALU_DEP_2) | instskip(NEXT) | instid1(TRANS32_DEP_1)
	v_cndmask_b32_e64 v30, 0x7f800000, v30, s4
	v_ldexp_f32 v29, v75, v29
	s_delay_alu instid0(VALU_DEP_3) | instskip(SKIP_1) | instid1(VALU_DEP_2)
	v_exp_f32_e32 v74, v74
	v_cvt_i32_f32_e32 v75, v87
	v_cndmask_b32_e64 v29, 0, v29, s5
	s_delay_alu instid0(TRANS32_DEP_1) | instid1(VALU_DEP_2)
	v_ldexp_f32 v74, v74, v75
	s_delay_alu instid0(VALU_DEP_1) | instskip(SKIP_3) | instid1(VALU_DEP_3)
	v_cndmask_b32_e64 v31, 0, v74, s7
	s_wait_alu 0xfffd
	v_cndmask_b32_e32 v74, 0, v28, vcc_lo
	v_cndmask_b32_e64 v28, 0x7f800000, v29, s6
	v_cndmask_b32_e64 v29, 0x7f800000, v31, s8
	s_delay_alu instid0(VALU_DEP_3) | instskip(NEXT) | instid1(VALU_DEP_3)
	v_cndmask_b32_e64 v31, 0x7f800000, v74, s2
	v_cvt_f16_f32_e32 v74, v28
	s_delay_alu instid0(VALU_DEP_3) | instskip(NEXT) | instid1(VALU_DEP_1)
	v_cvt_f16_f32_e32 v75, v29
	v_pack_b32_f16 v87, v74, v75
	s_delay_alu instid0(VALU_DEP_4) | instskip(SKIP_1) | instid1(VALU_DEP_1)
	v_cvt_f16_f32_e32 v74, v31
	v_cvt_f16_f32_e32 v75, v30
	v_pack_b32_f16 v86, v74, v75
	v_sub_f32_e32 v74, v88, v0
	s_delay_alu instid0(VALU_DEP_1) | instskip(SKIP_2) | instid1(VALU_DEP_3)
	v_mul_f32_e32 v75, 0x3fb8aa3b, v74
	v_cmp_ngt_f32_e32 vcc_lo, 0xc2ce8ed0, v74
	v_cmp_nlt_f32_e64 s2, 0x42b17218, v74
	v_fma_f32 v88, 0x3fb8aa3b, v74, -v75
	s_delay_alu instid0(VALU_DEP_1) | instskip(SKIP_1) | instid1(VALU_DEP_1)
	v_fmac_f32_e32 v88, 0x32a5705f, v74
	v_sub_f32_e32 v74, v76, v1
	v_mul_f32_e32 v76, 0x3fb8aa3b, v74
	v_cmp_ngt_f32_e64 s3, 0xc2ce8ed0, v74
	v_cmp_nlt_f32_e64 s4, 0x42b17218, v74
	s_delay_alu instid0(VALU_DEP_3) | instskip(NEXT) | instid1(VALU_DEP_1)
	v_fma_f32 v90, 0x3fb8aa3b, v74, -v76
	v_fmac_f32_e32 v90, 0x32a5705f, v74
	v_sub_f32_e32 v74, v89, v2
	s_delay_alu instid0(VALU_DEP_1) | instskip(SKIP_2) | instid1(VALU_DEP_3)
	v_mul_f32_e32 v89, 0x3fb8aa3b, v74
	v_cmp_ngt_f32_e64 s5, 0xc2ce8ed0, v74
	v_cmp_nlt_f32_e64 s6, 0x42b17218, v74
	v_fma_f32 v91, 0x3fb8aa3b, v74, -v89
	s_delay_alu instid0(VALU_DEP_1) | instskip(NEXT) | instid1(VALU_DEP_1)
	v_dual_fmac_f32 v91, 0x32a5705f, v74 :: v_dual_sub_f32 v74, v77, v3
	v_mul_f32_e32 v77, 0x3fb8aa3b, v74
	v_cmp_ngt_f32_e64 s7, 0xc2ce8ed0, v74
	v_cmp_nlt_f32_e64 s8, 0x42b17218, v74
	s_delay_alu instid0(VALU_DEP_3) | instskip(NEXT) | instid1(VALU_DEP_1)
	v_fma_f32 v92, 0x3fb8aa3b, v74, -v77
	v_fmac_f32_e32 v92, 0x32a5705f, v74
	v_rndne_f32_e32 v74, v75
	s_delay_alu instid0(VALU_DEP_1) | instskip(SKIP_1) | instid1(VALU_DEP_2)
	v_sub_f32_e32 v75, v75, v74
	v_cvt_i32_f32_e32 v74, v74
	v_add_f32_e32 v75, v75, v88
	v_rndne_f32_e32 v88, v76
	s_delay_alu instid0(VALU_DEP_2) | instskip(NEXT) | instid1(VALU_DEP_1)
	v_exp_f32_e32 v75, v75
	v_sub_f32_e32 v76, v76, v88
	v_cvt_i32_f32_e32 v88, v88
	s_delay_alu instid0(VALU_DEP_2) | instskip(SKIP_1) | instid1(TRANS32_DEP_1)
	v_add_f32_e32 v76, v76, v90
	v_rndne_f32_e32 v90, v89
	v_ldexp_f32 v74, v75, v74
	s_delay_alu instid0(VALU_DEP_3) | instskip(NEXT) | instid1(VALU_DEP_2)
	v_exp_f32_e32 v76, v76
	v_sub_f32_e32 v89, v89, v90
	v_cvt_i32_f32_e32 v75, v90
	s_delay_alu instid0(VALU_DEP_2) | instskip(SKIP_1) | instid1(TRANS32_DEP_1)
	v_add_f32_e32 v89, v89, v91
	v_rndne_f32_e32 v91, v77
	v_ldexp_f32 v76, v76, v88
	s_delay_alu instid0(VALU_DEP_3) | instskip(SKIP_1) | instid1(VALU_DEP_2)
	v_exp_f32_e32 v89, v89
	s_wait_alu 0xfffd
	v_dual_sub_f32 v77, v77, v91 :: v_dual_cndmask_b32 v88, 0, v74
	v_cmp_ngt_f32_e32 vcc_lo, 0xc2ce8ed0, v81
	s_wait_alu 0xf1ff
	v_cndmask_b32_e64 v76, 0, v76, s3
	v_cmp_ngt_f32_e64 s3, 0xc2ce8ed0, v79
	v_add_f32_e32 v77, v77, v92
	s_delay_alu instid0(VALU_DEP_3) | instskip(NEXT) | instid1(TRANS32_DEP_1)
	v_cndmask_b32_e64 v76, 0x7f800000, v76, s4
	v_ldexp_f32 v75, v89, v75
	s_delay_alu instid0(VALU_DEP_3)
	v_exp_f32_e32 v77, v77
	v_cvt_i32_f32_e32 v89, v91
	v_cmp_nlt_f32_e64 s4, 0x42b17218, v79
	v_cvt_f16_f32_e32 v90, v76
	v_cndmask_b32_e64 v75, 0, v75, s5
	v_cmp_ngt_f32_e64 s5, 0xc2ce8ed0, v78
	s_delay_alu instid0(VALU_DEP_2) | instskip(NEXT) | instid1(TRANS32_DEP_1)
	v_cndmask_b32_e64 v75, 0x7f800000, v75, s6
	v_ldexp_f32 v77, v77, v89
	v_cmp_nlt_f32_e64 s6, 0x42b17218, v78
	s_delay_alu instid0(VALU_DEP_2) | instskip(NEXT) | instid1(VALU_DEP_1)
	v_cndmask_b32_e64 v77, 0, v77, s7
	v_cndmask_b32_e64 v74, 0x7f800000, v77, s8
	;; [unrolled: 1-line block ×3, first 2 shown]
	v_cvt_f16_f32_e32 v88, v75
	v_cmp_nlt_f32_e64 s2, 0x42b17218, v81
	s_delay_alu instid0(VALU_DEP_4) | instskip(NEXT) | instid1(VALU_DEP_1)
	v_cvt_f16_f32_e32 v89, v74
	v_pack_b32_f16 v89, v88, v89
	v_cvt_f16_f32_e32 v88, v77
	s_delay_alu instid0(VALU_DEP_1) | instskip(SKIP_2) | instid1(VALU_DEP_1)
	v_pack_b32_f16 v88, v88, v90
	ds_store_2addr_b64 v57, v[86:87], v[88:89] offset1:32
	v_mul_f32_e32 v86, 0x3fb8aa3b, v81
	v_fma_f32 v87, 0x3fb8aa3b, v81, -v86
	s_delay_alu instid0(VALU_DEP_1) | instskip(SKIP_1) | instid1(VALU_DEP_1)
	v_fmac_f32_e32 v87, 0x32a5705f, v81
	v_mul_f32_e32 v81, 0x3fb8aa3b, v79
	v_fma_f32 v88, 0x3fb8aa3b, v79, -v81
	s_delay_alu instid0(VALU_DEP_1) | instskip(SKIP_1) | instid1(VALU_DEP_1)
	v_fmac_f32_e32 v88, 0x32a5705f, v79
	v_mul_f32_e32 v79, 0x3fb8aa3b, v78
	v_fma_f32 v89, 0x3fb8aa3b, v78, -v79
	s_delay_alu instid0(VALU_DEP_1) | instskip(NEXT) | instid1(VALU_DEP_1)
	v_dual_fmac_f32 v89, 0x32a5705f, v78 :: v_dual_sub_f32 v78, v80, v3
	v_mul_f32_e32 v80, 0x3fb8aa3b, v78
	v_cmp_ngt_f32_e64 s7, 0xc2ce8ed0, v78
	v_cmp_nlt_f32_e64 s8, 0x42b17218, v78
	s_delay_alu instid0(VALU_DEP_3) | instskip(NEXT) | instid1(VALU_DEP_1)
	v_fma_f32 v90, 0x3fb8aa3b, v78, -v80
	v_fmac_f32_e32 v90, 0x32a5705f, v78
	v_rndne_f32_e32 v78, v86
	s_delay_alu instid0(VALU_DEP_1) | instskip(SKIP_1) | instid1(VALU_DEP_2)
	v_sub_f32_e32 v86, v86, v78
	v_cvt_i32_f32_e32 v78, v78
	v_add_f32_e32 v86, v86, v87
	v_rndne_f32_e32 v87, v81
	s_delay_alu instid0(VALU_DEP_2) | instskip(NEXT) | instid1(VALU_DEP_1)
	v_exp_f32_e32 v86, v86
	v_sub_f32_e32 v81, v81, v87
	v_sub_f32_e32 v5, v5, v2
	s_delay_alu instid0(VALU_DEP_2) | instskip(SKIP_1) | instid1(TRANS32_DEP_1)
	v_dual_sub_f32 v82, v82, v2 :: v_dual_add_f32 v81, v81, v88
	v_rndne_f32_e32 v88, v79
	v_ldexp_f32 v78, v86, v78
	s_delay_alu instid0(VALU_DEP_3) | instskip(NEXT) | instid1(VALU_DEP_2)
	v_exp_f32_e32 v81, v81
	v_sub_f32_e32 v79, v79, v88
	v_cvt_i32_f32_e32 v86, v88
	s_delay_alu instid0(VALU_DEP_2) | instskip(SKIP_1) | instid1(VALU_DEP_2)
	v_add_f32_e32 v79, v79, v89
	v_rndne_f32_e32 v89, v80
	v_exp_f32_e32 v79, v79
	s_delay_alu instid0(VALU_DEP_1) | instskip(NEXT) | instid1(VALU_DEP_1)
	v_sub_f32_e32 v80, v80, v89
	v_add_f32_e32 v80, v80, v90
	s_delay_alu instid0(TRANS32_DEP_1) | instskip(NEXT) | instid1(VALU_DEP_2)
	v_ldexp_f32 v79, v79, v86
	v_exp_f32_e32 v80, v80
	v_cvt_i32_f32_e32 v86, v89
	s_wait_alu 0xf1ff
	s_delay_alu instid0(VALU_DEP_2) | instskip(SKIP_1) | instid1(VALU_DEP_2)
	v_cndmask_b32_e64 v79, 0, v79, s5
	v_cmp_ngt_f32_e64 s5, 0xc2ce8ed0, v82
	v_cndmask_b32_e64 v79, 0x7f800000, v79, s6
	s_delay_alu instid0(TRANS32_DEP_1) | instskip(SKIP_2) | instid1(VALU_DEP_3)
	v_ldexp_f32 v80, v80, v86
	v_cvt_i32_f32_e32 v86, v87
	v_cmp_nlt_f32_e64 s6, 0x42b17218, v82
	v_cndmask_b32_e64 v80, 0, v80, s7
	s_delay_alu instid0(VALU_DEP_3)
	v_ldexp_f32 v81, v81, v86
	s_wait_alu 0xfffd
	v_cndmask_b32_e32 v86, 0, v78, vcc_lo
	v_cmp_ngt_f32_e32 vcc_lo, 0xc2ce8ed0, v84
	v_cndmask_b32_e64 v78, 0x7f800000, v80, s8
	v_cndmask_b32_e64 v87, 0, v81, s3
	s_delay_alu instid0(VALU_DEP_4)
	v_cndmask_b32_e64 v81, 0x7f800000, v86, s2
	v_cvt_f16_f32_e32 v86, v79
	v_cmp_nlt_f32_e64 s2, 0x42b17218, v84
	v_cmp_ngt_f32_e64 s3, 0xc2ce8ed0, v83
	v_cndmask_b32_e64 v80, 0x7f800000, v87, s4
	v_cvt_f16_f32_e32 v87, v78
	v_cmp_nlt_f32_e64 s4, 0x42b17218, v83
	s_delay_alu instid0(VALU_DEP_3) | instskip(NEXT) | instid1(VALU_DEP_3)
	v_cvt_f16_f32_e32 v88, v80
	v_pack_b32_f16 v87, v86, v87
	v_cvt_f16_f32_e32 v86, v81
	s_delay_alu instid0(VALU_DEP_1) | instskip(SKIP_1) | instid1(VALU_DEP_1)
	v_pack_b32_f16 v86, v86, v88
	v_mul_f32_e32 v88, 0x3fb8aa3b, v84
	v_fma_f32 v89, 0x3fb8aa3b, v84, -v88
	s_delay_alu instid0(VALU_DEP_1) | instskip(SKIP_1) | instid1(VALU_DEP_1)
	v_fmac_f32_e32 v89, 0x32a5705f, v84
	v_mul_f32_e32 v84, 0x3fb8aa3b, v83
	v_fma_f32 v90, 0x3fb8aa3b, v83, -v84
	s_delay_alu instid0(VALU_DEP_1) | instskip(SKIP_1) | instid1(VALU_DEP_1)
	v_fmac_f32_e32 v90, 0x32a5705f, v83
	v_mul_f32_e32 v83, 0x3fb8aa3b, v82
	v_fma_f32 v91, 0x3fb8aa3b, v82, -v83
	s_delay_alu instid0(VALU_DEP_1) | instskip(NEXT) | instid1(VALU_DEP_1)
	v_dual_fmac_f32 v91, 0x32a5705f, v82 :: v_dual_sub_f32 v82, v85, v3
	v_mul_f32_e32 v85, 0x3fb8aa3b, v82
	v_cmp_ngt_f32_e64 s7, 0xc2ce8ed0, v82
	v_cmp_nlt_f32_e64 s8, 0x42b17218, v82
	s_delay_alu instid0(VALU_DEP_3) | instskip(NEXT) | instid1(VALU_DEP_1)
	v_fma_f32 v92, 0x3fb8aa3b, v82, -v85
	v_fmac_f32_e32 v92, 0x32a5705f, v82
	v_rndne_f32_e32 v82, v88
	s_delay_alu instid0(VALU_DEP_1) | instskip(SKIP_1) | instid1(VALU_DEP_2)
	v_sub_f32_e32 v88, v88, v82
	v_cvt_i32_f32_e32 v82, v82
	v_add_f32_e32 v88, v88, v89
	v_rndne_f32_e32 v89, v84
	s_delay_alu instid0(VALU_DEP_2) | instskip(NEXT) | instid1(VALU_DEP_1)
	v_exp_f32_e32 v88, v88
	v_sub_f32_e32 v84, v84, v89
	s_delay_alu instid0(VALU_DEP_1) | instskip(SKIP_1) | instid1(TRANS32_DEP_1)
	v_add_f32_e32 v84, v84, v90
	v_rndne_f32_e32 v90, v83
	v_ldexp_f32 v82, v88, v82
	s_delay_alu instid0(VALU_DEP_3) | instskip(NEXT) | instid1(VALU_DEP_2)
	v_exp_f32_e32 v84, v84
	v_sub_f32_e32 v83, v83, v90
	v_cvt_i32_f32_e32 v88, v90
	s_delay_alu instid0(VALU_DEP_2) | instskip(SKIP_1) | instid1(VALU_DEP_2)
	v_add_f32_e32 v83, v83, v91
	v_rndne_f32_e32 v91, v85
	v_exp_f32_e32 v83, v83
	s_delay_alu instid0(VALU_DEP_1) | instskip(NEXT) | instid1(VALU_DEP_1)
	v_sub_f32_e32 v85, v85, v91
	v_add_f32_e32 v85, v85, v92
	s_delay_alu instid0(TRANS32_DEP_1) | instskip(NEXT) | instid1(VALU_DEP_2)
	v_ldexp_f32 v83, v83, v88
	v_exp_f32_e32 v85, v85
	v_cvt_i32_f32_e32 v88, v91
	s_wait_alu 0xf1ff
	s_delay_alu instid0(VALU_DEP_2) | instskip(SKIP_1) | instid1(VALU_DEP_2)
	v_cndmask_b32_e64 v83, 0, v83, s5
	v_cmp_ngt_f32_e64 s5, 0xc2ce8ed0, v6
	v_cndmask_b32_e64 v83, 0x7f800000, v83, s6
	s_delay_alu instid0(TRANS32_DEP_1) | instskip(SKIP_2) | instid1(VALU_DEP_3)
	v_ldexp_f32 v85, v85, v88
	v_cvt_i32_f32_e32 v88, v89
	v_cmp_nlt_f32_e64 s6, 0x42b17218, v6
	v_cndmask_b32_e64 v85, 0, v85, s7
	s_delay_alu instid0(VALU_DEP_3)
	v_ldexp_f32 v84, v84, v88
	s_wait_alu 0xfffd
	v_cndmask_b32_e32 v88, 0, v82, vcc_lo
	v_cmp_ngt_f32_e64 s7, 0xc2ce8ed0, v4
	v_cndmask_b32_e64 v82, 0x7f800000, v85, s8
	v_cndmask_b32_e64 v84, 0, v84, s3
	s_delay_alu instid0(VALU_DEP_4)
	v_cndmask_b32_e64 v85, 0x7f800000, v88, s2
	v_cvt_f16_f32_e32 v88, v83
	s_mul_u64 s[2:3], s[14:15], s[20:21]
	v_cvt_f16_f32_e32 v89, v82
	v_cndmask_b32_e64 v84, 0x7f800000, v84, s4
	s_wait_alu 0xfffe
	s_lshl_b64 s[2:3], s[2:3], 2
	v_cmp_nlt_f32_e64 s4, 0x42b17218, v7
	s_wait_alu 0xfffe
	s_add_nc_u64 s[2:3], s[36:37], s[2:3]
	v_pack_b32_f16 v89, v88, v89
	v_cvt_f16_f32_e32 v88, v85
	v_cvt_f16_f32_e32 v90, v84
	v_cmp_nlt_f32_e64 s8, 0x42b17218, v4
	s_delay_alu instid0(VALU_DEP_2)
	v_pack_b32_f16 v88, v88, v90
	ds_store_2addr_b64 v57, v[86:87], v[88:89] offset0:64 offset1:96
	s_wait_alu 0xfffe
	v_add_co_u32 v86, vcc_lo, s2, v20
	s_wait_alu 0xfffd
	v_add_co_ci_u32_e64 v87, null, s3, v21, vcc_lo
	s_delay_alu instid0(VALU_DEP_2) | instskip(SKIP_1) | instid1(VALU_DEP_2)
	v_add_co_u32 v86, vcc_lo, v86, v58
	s_wait_alu 0xfffd
	v_add_co_ci_u32_e64 v87, null, 0, v87, vcc_lo
	global_load_b128 v[86:89], v[86:87], off
	s_wait_loadcnt 0x0
	ds_store_b128 v51, v[86:89]
	v_add_co_u32 v86, vcc_lo, s2, v22
	s_wait_alu 0xfffd
	v_add_co_ci_u32_e64 v87, null, s3, v23, vcc_lo
	s_delay_alu instid0(VALU_DEP_2) | instskip(SKIP_1) | instid1(VALU_DEP_2)
	v_add_co_u32 v86, vcc_lo, v86, v58
	s_wait_alu 0xfffd
	v_add_co_ci_u32_e64 v87, null, 0, v87, vcc_lo
	global_load_b128 v[86:89], v[86:87], off
	s_wait_loadcnt 0x0
	ds_store_b128 v53, v[86:89]
	;; [unrolled: 10-line block ×3, first 2 shown]
	v_add_co_u32 v86, vcc_lo, s2, v26
	s_wait_alu 0xfffd
	v_add_co_ci_u32_e64 v87, null, s3, v27, vcc_lo
	v_cmp_ngt_f32_e64 s3, 0xc2ce8ed0, v7
	s_delay_alu instid0(VALU_DEP_3) | instskip(SKIP_1) | instid1(VALU_DEP_3)
	v_add_co_u32 v86, vcc_lo, v86, v58
	s_wait_alu 0xfffd
	v_add_co_ci_u32_e64 v87, null, 0, v87, vcc_lo
	v_cmp_ngt_f32_e32 vcc_lo, 0xc2ce8ed0, v5
	v_cmp_nlt_f32_e64 s2, 0x42b17218, v5
	global_load_b128 v[86:89], v[86:87], off
	s_wait_loadcnt 0x0
	ds_store_b128 v55, v[86:89]
	s_wait_dscnt 0x0
	s_barrier_signal -1
	s_barrier_wait -1
	global_inv scope:SCOPE_SE
	ds_load_b128 v[86:89], v52
	s_wait_dscnt 0x0
	v_lshrrev_b32_e32 v90, 16, v86
	v_and_b32_e32 v92, 0xffff, v86
	v_mul_f32_e32 v86, 0x3fb8aa3b, v7
	v_lshrrev_b32_e32 v91, 16, v87
	v_and_b32_e32 v93, 0xffff, v87
	v_lshrrev_b32_e32 v94, 16, v88
	v_and_b32_e32 v96, 0xffff, v88
	v_fma_f32 v87, 0x3fb8aa3b, v7, -v86
	v_lshrrev_b32_e32 v95, 16, v89
	v_and_b32_e32 v97, 0xffff, v89
	v_mul_u32_u24_e32 v92, 0x10001, v92
	v_mul_u32_u24_e32 v90, 0x10001, v90
	v_fmac_f32_e32 v87, 0x32a5705f, v7
	v_mul_f32_e32 v7, 0x3fb8aa3b, v6
	v_mul_u32_u24_e32 v93, 0x10001, v93
	v_mul_u32_u24_e32 v91, 0x10001, v91
	s_delay_alu instid0(VALU_DEP_3) | instskip(NEXT) | instid1(VALU_DEP_1)
	v_fma_f32 v88, 0x3fb8aa3b, v6, -v7
	v_fmac_f32_e32 v88, 0x32a5705f, v6
	v_mul_f32_e32 v6, 0x3fb8aa3b, v5
	s_delay_alu instid0(VALU_DEP_1) | instskip(NEXT) | instid1(VALU_DEP_1)
	v_fma_f32 v89, 0x3fb8aa3b, v5, -v6
	v_fmac_f32_e32 v89, 0x32a5705f, v5
	v_mul_f32_e32 v5, 0x3fb8aa3b, v4
	s_delay_alu instid0(VALU_DEP_1) | instskip(NEXT) | instid1(VALU_DEP_1)
	v_fma_f32 v98, 0x3fb8aa3b, v4, -v5
	v_fmac_f32_e32 v98, 0x32a5705f, v4
	v_rndne_f32_e32 v4, v86
	s_delay_alu instid0(VALU_DEP_1) | instskip(SKIP_1) | instid1(VALU_DEP_2)
	v_sub_f32_e32 v86, v86, v4
	v_cvt_i32_f32_e32 v4, v4
	v_add_f32_e32 v86, v86, v87
	v_rndne_f32_e32 v87, v7
	s_delay_alu instid0(VALU_DEP_2) | instskip(NEXT) | instid1(VALU_DEP_1)
	v_exp_f32_e32 v86, v86
	v_sub_f32_e32 v7, v7, v87
	s_delay_alu instid0(VALU_DEP_1) | instskip(SKIP_1) | instid1(TRANS32_DEP_1)
	v_add_f32_e32 v7, v7, v88
	v_rndne_f32_e32 v88, v6
	v_ldexp_f32 v4, v86, v4
	s_delay_alu instid0(VALU_DEP_3) | instskip(NEXT) | instid1(VALU_DEP_2)
	v_exp_f32_e32 v7, v7
	v_sub_f32_e32 v6, v6, v88
	v_cvt_i32_f32_e32 v86, v87
	s_wait_alu 0xf1ff
	v_cndmask_b32_e64 v4, 0, v4, s3
	s_delay_alu instid0(VALU_DEP_3) | instskip(SKIP_1) | instid1(VALU_DEP_2)
	v_add_f32_e32 v6, v6, v89
	v_rndne_f32_e32 v89, v5
	v_exp_f32_e32 v6, v6
	s_delay_alu instid0(VALU_DEP_1) | instskip(NEXT) | instid1(VALU_DEP_1)
	v_sub_f32_e32 v5, v5, v89
	v_add_f32_e32 v5, v5, v98
	v_ldexp_f32 v98, v7, v86
	v_cndmask_b32_e64 v86, 0x7f800000, v4, s4
	v_cvt_i32_f32_e32 v7, v88
	s_delay_alu instid0(VALU_DEP_4) | instskip(NEXT) | instid1(VALU_DEP_2)
	v_exp_f32_e32 v5, v5
	v_cvt_f16_f32_e32 v4, v86
	s_delay_alu instid0(TRANS32_DEP_2) | instid1(VALU_DEP_2)
	v_ldexp_f32 v99, v6, v7
	v_cvt_i32_f32_e32 v6, v89
	s_delay_alu instid0(VALU_DEP_3)
	v_and_b32_e32 v4, 0xffff, v4
	s_delay_alu instid0(TRANS32_DEP_1) | instid1(VALU_DEP_2)
	v_ldexp_f32 v87, v5, v6
	s_delay_alu instid0(VALU_DEP_2) | instskip(SKIP_3) | instid1(VALU_DEP_2)
	v_mul_u32_u24_e32 v88, 0x10001, v4
	ds_load_2addr_b64 v[4:7], v11 offset1:32
	v_cndmask_b32_e64 v87, 0, v87, s7
	v_pk_mul_f16 v73, v73, v88
	v_cndmask_b32_e64 v87, 0x7f800000, v87, s8
	s_wait_dscnt 0x0
	v_pk_mul_f16 v89, v4, v92
	s_delay_alu instid0(VALU_DEP_3) | instskip(NEXT) | instid1(VALU_DEP_2)
	v_pk_fma_f16 v73, v5, v92, v73
	v_pk_fma_f16 v72, v72, v88, v89
	v_cvt_f16_f32_e32 v88, v87
	s_delay_alu instid0(VALU_DEP_1) | instskip(NEXT) | instid1(VALU_DEP_1)
	v_and_b32_e32 v88, 0xffff, v88
	v_mul_u32_u24_e32 v88, 0x10001, v88
	s_delay_alu instid0(VALU_DEP_1) | instskip(SKIP_3) | instid1(VALU_DEP_3)
	v_pk_mul_f16 v67, v67, v88
	v_pk_mul_f16 v66, v66, v88
	v_cndmask_b32_e64 v88, 0, v98, s5
	v_pk_mul_f16 v98, v4, v90
	v_pk_fma_f16 v66, v5, v91, v66
	s_delay_alu instid0(VALU_DEP_3) | instskip(NEXT) | instid1(VALU_DEP_1)
	v_cndmask_b32_e64 v88, 0x7f800000, v88, s6
	v_cvt_f16_f32_e32 v89, v88
	s_delay_alu instid0(VALU_DEP_1) | instskip(NEXT) | instid1(VALU_DEP_1)
	v_and_b32_e32 v89, 0xffff, v89
	v_mul_u32_u24_e32 v89, 0x10001, v89
	s_delay_alu instid0(VALU_DEP_1)
	v_pk_fma_f16 v71, v71, v89, v98
	v_pk_mul_f16 v70, v70, v89
	s_wait_alu 0xfffd
	v_cndmask_b32_e32 v89, 0, v99, vcc_lo
	v_pk_mul_f16 v99, v4, v93
	v_pk_fma_f16 v4, v4, v91, v67
	v_pk_fma_f16 v67, v5, v90, v70
	s_delay_alu instid0(VALU_DEP_4) | instskip(SKIP_3) | instid1(VALU_DEP_1)
	v_cndmask_b32_e64 v89, 0x7f800000, v89, s2
	s_or_b32 s2, s14, 64
	s_wait_alu 0xfffe
	s_ashr_i32 s3, s2, 31
	v_cvt_f16_f32_e32 v98, v89
	s_wait_alu 0xfffe
	s_mul_u64 s[2:3], s[2:3], s[20:21]
	s_wait_alu 0xfffe
	s_lshl_b64 s[2:3], s[2:3], 2
	v_and_b32_e32 v98, 0xffff, v98
	s_wait_alu 0xfffe
	s_add_nc_u64 s[2:3], s[36:37], s[2:3]
	s_delay_alu instid0(VALU_DEP_1) | instskip(NEXT) | instid1(VALU_DEP_1)
	v_mul_u32_u24_e32 v98, 0x10001, v98
	v_pk_mul_f16 v68, v68, v98
	v_pk_fma_f16 v69, v69, v98, v99
	s_delay_alu instid0(VALU_DEP_2) | instskip(SKIP_1) | instid1(VALU_DEP_1)
	v_pk_fma_f16 v5, v5, v93, v68
	v_mul_u32_u24_e32 v68, 0x10001, v95
	v_pk_fma_f16 v70, v6, v68, v4
	v_mul_u32_u24_e32 v4, 0x10001, v96
	v_pk_fma_f16 v66, v7, v68, v66
	s_delay_alu instid0(VALU_DEP_2) | instskip(SKIP_2) | instid1(VALU_DEP_1)
	v_pk_fma_f16 v68, v7, v4, v73
	v_pk_fma_f16 v72, v6, v4, v72
	v_mul_u32_u24_e32 v4, 0x10001, v94
	v_pk_fma_f16 v67, v7, v4, v67
	v_pk_fma_f16 v71, v6, v4, v71
	v_mul_u32_u24_e32 v4, 0x10001, v97
	s_delay_alu instid0(VALU_DEP_1)
	v_pk_fma_f16 v73, v7, v4, v5
	v_pk_fma_f16 v69, v6, v4, v69
	ds_load_b128 v[4:7], v52 offset:16
	s_wait_dscnt 0x0
	v_lshrrev_b32_e32 v90, 16, v4
	v_lshrrev_b32_e32 v91, 16, v5
	v_and_b32_e32 v92, 0xffff, v4
	v_and_b32_e32 v93, 0xffff, v5
	v_lshrrev_b32_e32 v94, 16, v6
	v_lshrrev_b32_e32 v95, 16, v7
	v_and_b32_e32 v96, 0xffff, v6
	v_and_b32_e32 v97, 0xffff, v7
	ds_load_2addr_b64 v[4:7], v11 offset0:64 offset1:96
	v_mul_u32_u24_e32 v91, 0x10001, v91
	v_mul_u32_u24_e32 v90, 0x10001, v90
	s_wait_dscnt 0x0
	s_delay_alu instid0(VALU_DEP_2)
	v_pk_fma_f16 v70, v4, v91, v70
	v_pk_fma_f16 v66, v5, v91, v66
	v_mul_u32_u24_e32 v91, 0x10001, v92
	v_pk_fma_f16 v67, v5, v90, v67
	v_pk_fma_f16 v71, v4, v90, v71
	v_mul_u32_u24_e32 v90, 0x10001, v93
	s_delay_alu instid0(VALU_DEP_4) | instskip(SKIP_1) | instid1(VALU_DEP_3)
	v_pk_fma_f16 v72, v4, v91, v72
	v_pk_fma_f16 v68, v5, v91, v68
	v_pk_fma_f16 v4, v4, v90, v69
	v_mul_u32_u24_e32 v69, 0x10001, v95
	v_pk_fma_f16 v5, v5, v90, v73
	s_delay_alu instid0(VALU_DEP_2) | instskip(SKIP_2) | instid1(VALU_DEP_1)
	v_pk_fma_f16 v70, v6, v69, v70
	v_pk_fma_f16 v66, v7, v69, v66
	v_mul_u32_u24_e32 v69, 0x10001, v96
	v_pk_fma_f16 v68, v7, v69, v68
	v_pk_fma_f16 v69, v6, v69, v72
	v_mul_u32_u24_e32 v72, 0x10001, v94
	s_delay_alu instid0(VALU_DEP_1) | instskip(SKIP_2) | instid1(VALU_DEP_1)
	v_pk_fma_f16 v67, v7, v72, v67
	v_pk_fma_f16 v71, v6, v72, v71
	v_mul_u32_u24_e32 v72, 0x10001, v97
	v_pk_fma_f16 v73, v7, v72, v5
	v_pk_fma_f16 v72, v6, v72, v4
	ds_load_b128 v[4:7], v52 offset:32
	s_wait_dscnt 0x0
	v_lshrrev_b32_e32 v90, 16, v4
	v_lshrrev_b32_e32 v91, 16, v5
	v_and_b32_e32 v92, 0xffff, v4
	v_and_b32_e32 v93, 0xffff, v5
	v_lshrrev_b32_e32 v94, 16, v6
	v_lshrrev_b32_e32 v95, 16, v7
	v_and_b32_e32 v96, 0xffff, v6
	v_and_b32_e32 v97, 0xffff, v7
	ds_load_2addr_b64 v[4:7], v11 offset0:128 offset1:160
	v_mul_u32_u24_e32 v91, 0x10001, v91
	v_mul_u32_u24_e32 v90, 0x10001, v90
	s_wait_dscnt 0x0
	s_delay_alu instid0(VALU_DEP_2)
	v_pk_fma_f16 v70, v4, v91, v70
	v_pk_fma_f16 v66, v5, v91, v66
	v_mul_u32_u24_e32 v91, 0x10001, v92
	v_pk_fma_f16 v67, v5, v90, v67
	v_pk_fma_f16 v71, v4, v90, v71
	v_mul_u32_u24_e32 v90, 0x10001, v93
	s_delay_alu instid0(VALU_DEP_4) | instskip(SKIP_1) | instid1(VALU_DEP_3)
	v_pk_fma_f16 v69, v4, v91, v69
	v_pk_fma_f16 v68, v5, v91, v68
	v_pk_fma_f16 v4, v4, v90, v72
	v_mul_u32_u24_e32 v72, 0x10001, v95
	v_pk_fma_f16 v5, v5, v90, v73
	s_delay_alu instid0(VALU_DEP_2) | instskip(SKIP_2) | instid1(VALU_DEP_1)
	v_pk_fma_f16 v70, v6, v72, v70
	v_pk_fma_f16 v66, v7, v72, v66
	v_mul_u32_u24_e32 v72, 0x10001, v96
	v_pk_fma_f16 v68, v7, v72, v68
	v_pk_fma_f16 v69, v6, v72, v69
	v_mul_u32_u24_e32 v72, 0x10001, v94
	s_delay_alu instid0(VALU_DEP_1) | instskip(SKIP_2) | instid1(VALU_DEP_1)
	v_pk_fma_f16 v67, v7, v72, v67
	v_pk_fma_f16 v71, v6, v72, v71
	v_mul_u32_u24_e32 v72, 0x10001, v97
	;; [unrolled: 40-line block ×3, first 2 shown]
	v_pk_fma_f16 v73, v7, v72, v5
	v_pk_fma_f16 v72, v6, v72, v4
	ds_load_b128 v[4:7], v52 offset:64
	s_wait_dscnt 0x0
	v_lshrrev_b32_e32 v90, 16, v4
	v_lshrrev_b32_e32 v91, 16, v5
	v_and_b32_e32 v92, 0xffff, v4
	v_and_b32_e32 v93, 0xffff, v5
	v_lshrrev_b32_e32 v94, 16, v6
	v_lshrrev_b32_e32 v95, 16, v7
	v_and_b32_e32 v96, 0xffff, v6
	v_and_b32_e32 v97, 0xffff, v7
	ds_load_2addr_b64 v[4:7], v59 offset1:32
	v_mul_u32_u24_e32 v91, 0x10001, v91
	v_mul_u32_u24_e32 v90, 0x10001, v90
	s_wait_dscnt 0x0
	s_delay_alu instid0(VALU_DEP_2)
	v_pk_fma_f16 v70, v4, v91, v70
	v_pk_fma_f16 v66, v5, v91, v66
	v_mul_u32_u24_e32 v91, 0x10001, v92
	v_pk_fma_f16 v67, v5, v90, v67
	v_pk_fma_f16 v71, v4, v90, v71
	v_mul_u32_u24_e32 v90, 0x10001, v93
	s_delay_alu instid0(VALU_DEP_4) | instskip(SKIP_1) | instid1(VALU_DEP_3)
	v_pk_fma_f16 v69, v4, v91, v69
	v_pk_fma_f16 v68, v5, v91, v68
	v_pk_fma_f16 v4, v4, v90, v72
	v_mul_u32_u24_e32 v72, 0x10001, v95
	v_pk_fma_f16 v5, v5, v90, v73
	s_delay_alu instid0(VALU_DEP_2) | instskip(SKIP_2) | instid1(VALU_DEP_1)
	v_pk_fma_f16 v70, v6, v72, v70
	v_pk_fma_f16 v66, v7, v72, v66
	v_mul_u32_u24_e32 v72, 0x10001, v96
	v_pk_fma_f16 v68, v7, v72, v68
	v_pk_fma_f16 v69, v6, v72, v69
	v_mul_u32_u24_e32 v72, 0x10001, v94
	s_delay_alu instid0(VALU_DEP_1) | instskip(SKIP_2) | instid1(VALU_DEP_1)
	v_pk_fma_f16 v67, v7, v72, v67
	v_pk_fma_f16 v71, v6, v72, v71
	v_mul_u32_u24_e32 v72, 0x10001, v97
	v_pk_fma_f16 v73, v7, v72, v5
	v_pk_fma_f16 v72, v6, v72, v4
	ds_load_b128 v[4:7], v52 offset:80
	s_wait_dscnt 0x0
	v_lshrrev_b32_e32 v90, 16, v4
	v_lshrrev_b32_e32 v91, 16, v5
	v_and_b32_e32 v92, 0xffff, v4
	v_and_b32_e32 v93, 0xffff, v5
	v_lshrrev_b32_e32 v94, 16, v6
	v_lshrrev_b32_e32 v95, 16, v7
	v_and_b32_e32 v96, 0xffff, v6
	v_and_b32_e32 v97, 0xffff, v7
	ds_load_2addr_b64 v[4:7], v59 offset0:64 offset1:96
	v_mul_u32_u24_e32 v91, 0x10001, v91
	v_mul_u32_u24_e32 v90, 0x10001, v90
	s_wait_dscnt 0x0
	s_delay_alu instid0(VALU_DEP_2)
	v_pk_fma_f16 v70, v4, v91, v70
	v_pk_fma_f16 v66, v5, v91, v66
	v_mul_u32_u24_e32 v91, 0x10001, v92
	v_pk_fma_f16 v67, v5, v90, v67
	v_pk_fma_f16 v71, v4, v90, v71
	v_mul_u32_u24_e32 v90, 0x10001, v93
	s_delay_alu instid0(VALU_DEP_4) | instskip(SKIP_1) | instid1(VALU_DEP_3)
	v_pk_fma_f16 v69, v4, v91, v69
	v_pk_fma_f16 v68, v5, v91, v68
	v_pk_fma_f16 v4, v4, v90, v72
	v_mul_u32_u24_e32 v72, 0x10001, v95
	v_pk_fma_f16 v5, v5, v90, v73
	s_delay_alu instid0(VALU_DEP_2) | instskip(SKIP_2) | instid1(VALU_DEP_1)
	v_pk_fma_f16 v70, v6, v72, v70
	v_pk_fma_f16 v66, v7, v72, v66
	v_mul_u32_u24_e32 v72, 0x10001, v96
	v_pk_fma_f16 v68, v7, v72, v68
	v_pk_fma_f16 v69, v6, v72, v69
	v_mul_u32_u24_e32 v72, 0x10001, v94
	s_delay_alu instid0(VALU_DEP_1) | instskip(SKIP_2) | instid1(VALU_DEP_1)
	v_pk_fma_f16 v67, v7, v72, v67
	v_pk_fma_f16 v71, v6, v72, v71
	v_mul_u32_u24_e32 v72, 0x10001, v97
	v_pk_fma_f16 v73, v7, v72, v5
	v_pk_fma_f16 v72, v6, v72, v4
	ds_load_b128 v[4:7], v52 offset:96
	s_wait_dscnt 0x0
	v_lshrrev_b32_e32 v90, 16, v4
	v_lshrrev_b32_e32 v91, 16, v5
	v_and_b32_e32 v92, 0xffff, v4
	v_and_b32_e32 v93, 0xffff, v5
	v_lshrrev_b32_e32 v94, 16, v6
	v_lshrrev_b32_e32 v95, 16, v7
	v_and_b32_e32 v96, 0xffff, v6
	v_and_b32_e32 v97, 0xffff, v7
	ds_load_2addr_b64 v[4:7], v59 offset0:128 offset1:160
	;; [unrolled: 40-line block ×3, first 2 shown]
	v_mul_u32_u24_e32 v91, 0x10001, v91
	v_mul_u32_u24_e32 v90, 0x10001, v90
	s_wait_dscnt 0x0
	s_delay_alu instid0(VALU_DEP_2)
	v_pk_fma_f16 v70, v4, v91, v70
	v_pk_fma_f16 v66, v5, v91, v66
	v_mul_u32_u24_e32 v91, 0x10001, v92
	v_pk_fma_f16 v67, v5, v90, v67
	v_pk_fma_f16 v71, v4, v90, v71
	v_mul_u32_u24_e32 v90, 0x10001, v93
	s_delay_alu instid0(VALU_DEP_4) | instskip(SKIP_1) | instid1(VALU_DEP_3)
	v_pk_fma_f16 v69, v4, v91, v69
	v_pk_fma_f16 v68, v5, v91, v68
	;; [unrolled: 1-line block ×3, first 2 shown]
	v_mul_u32_u24_e32 v72, 0x10001, v95
	v_pk_fma_f16 v5, v5, v90, v73
	s_delay_alu instid0(VALU_DEP_2) | instskip(SKIP_2) | instid1(VALU_DEP_1)
	v_pk_fma_f16 v70, v6, v72, v70
	v_pk_fma_f16 v66, v7, v72, v66
	v_mul_u32_u24_e32 v72, 0x10001, v96
	v_pk_fma_f16 v68, v7, v72, v68
	v_pk_fma_f16 v69, v6, v72, v69
	v_mul_u32_u24_e32 v72, 0x10001, v94
	s_delay_alu instid0(VALU_DEP_1) | instskip(SKIP_2) | instid1(VALU_DEP_1)
	v_pk_fma_f16 v67, v7, v72, v67
	v_pk_fma_f16 v71, v6, v72, v71
	v_mul_u32_u24_e32 v72, 0x10001, v97
	v_pk_fma_f16 v73, v7, v72, v5
	v_pk_fma_f16 v72, v6, v72, v4
	ds_load_b128 v[4:7], v52 offset:128
	s_wait_dscnt 0x0
	v_lshrrev_b32_e32 v90, 16, v4
	v_lshrrev_b32_e32 v91, 16, v5
	v_and_b32_e32 v92, 0xffff, v4
	v_and_b32_e32 v93, 0xffff, v5
	v_lshrrev_b32_e32 v94, 16, v6
	v_lshrrev_b32_e32 v95, 16, v7
	v_and_b32_e32 v96, 0xffff, v6
	v_and_b32_e32 v97, 0xffff, v7
	ds_load_2addr_b64 v[4:7], v60 offset1:32
	v_mul_u32_u24_e32 v91, 0x10001, v91
	v_mul_u32_u24_e32 v90, 0x10001, v90
	s_wait_dscnt 0x0
	s_delay_alu instid0(VALU_DEP_2)
	v_pk_fma_f16 v70, v4, v91, v70
	v_pk_fma_f16 v66, v5, v91, v66
	v_mul_u32_u24_e32 v91, 0x10001, v92
	v_pk_fma_f16 v67, v5, v90, v67
	v_pk_fma_f16 v71, v4, v90, v71
	v_mul_u32_u24_e32 v90, 0x10001, v93
	s_delay_alu instid0(VALU_DEP_4) | instskip(SKIP_1) | instid1(VALU_DEP_3)
	v_pk_fma_f16 v69, v4, v91, v69
	v_pk_fma_f16 v68, v5, v91, v68
	v_pk_fma_f16 v4, v4, v90, v72
	v_mul_u32_u24_e32 v72, 0x10001, v95
	v_pk_fma_f16 v5, v5, v90, v73
	s_delay_alu instid0(VALU_DEP_2) | instskip(SKIP_2) | instid1(VALU_DEP_1)
	v_pk_fma_f16 v70, v6, v72, v70
	v_pk_fma_f16 v66, v7, v72, v66
	v_mul_u32_u24_e32 v72, 0x10001, v96
	v_pk_fma_f16 v68, v7, v72, v68
	v_pk_fma_f16 v69, v6, v72, v69
	v_mul_u32_u24_e32 v72, 0x10001, v94
	s_delay_alu instid0(VALU_DEP_1) | instskip(SKIP_2) | instid1(VALU_DEP_1)
	v_pk_fma_f16 v67, v7, v72, v67
	v_pk_fma_f16 v71, v6, v72, v71
	v_mul_u32_u24_e32 v72, 0x10001, v97
	v_pk_fma_f16 v73, v7, v72, v5
	v_pk_fma_f16 v72, v6, v72, v4
	ds_load_b128 v[4:7], v52 offset:144
	s_wait_dscnt 0x0
	v_lshrrev_b32_e32 v90, 16, v4
	v_lshrrev_b32_e32 v91, 16, v5
	v_and_b32_e32 v92, 0xffff, v4
	v_and_b32_e32 v93, 0xffff, v5
	v_lshrrev_b32_e32 v94, 16, v6
	v_lshrrev_b32_e32 v95, 16, v7
	v_and_b32_e32 v96, 0xffff, v6
	v_and_b32_e32 v97, 0xffff, v7
	ds_load_2addr_b64 v[4:7], v60 offset0:64 offset1:96
	v_mul_u32_u24_e32 v91, 0x10001, v91
	v_mul_u32_u24_e32 v90, 0x10001, v90
	s_wait_dscnt 0x0
	s_delay_alu instid0(VALU_DEP_2)
	v_pk_fma_f16 v70, v4, v91, v70
	v_pk_fma_f16 v66, v5, v91, v66
	v_mul_u32_u24_e32 v91, 0x10001, v92
	v_pk_fma_f16 v67, v5, v90, v67
	v_pk_fma_f16 v71, v4, v90, v71
	v_mul_u32_u24_e32 v90, 0x10001, v93
	s_delay_alu instid0(VALU_DEP_4) | instskip(SKIP_1) | instid1(VALU_DEP_3)
	v_pk_fma_f16 v69, v4, v91, v69
	v_pk_fma_f16 v68, v5, v91, v68
	v_pk_fma_f16 v4, v4, v90, v72
	v_mul_u32_u24_e32 v72, 0x10001, v95
	v_pk_fma_f16 v5, v5, v90, v73
	s_delay_alu instid0(VALU_DEP_2) | instskip(SKIP_2) | instid1(VALU_DEP_1)
	v_pk_fma_f16 v70, v6, v72, v70
	v_pk_fma_f16 v66, v7, v72, v66
	v_mul_u32_u24_e32 v72, 0x10001, v96
	v_pk_fma_f16 v68, v7, v72, v68
	v_pk_fma_f16 v69, v6, v72, v69
	v_mul_u32_u24_e32 v72, 0x10001, v94
	s_delay_alu instid0(VALU_DEP_1) | instskip(SKIP_2) | instid1(VALU_DEP_1)
	v_pk_fma_f16 v67, v7, v72, v67
	v_pk_fma_f16 v71, v6, v72, v71
	v_mul_u32_u24_e32 v72, 0x10001, v97
	v_pk_fma_f16 v73, v7, v72, v5
	v_pk_fma_f16 v72, v6, v72, v4
	ds_load_b128 v[4:7], v52 offset:160
	s_wait_dscnt 0x0
	v_lshrrev_b32_e32 v90, 16, v4
	v_lshrrev_b32_e32 v91, 16, v5
	v_and_b32_e32 v92, 0xffff, v4
	v_and_b32_e32 v93, 0xffff, v5
	v_lshrrev_b32_e32 v94, 16, v6
	v_lshrrev_b32_e32 v95, 16, v7
	v_and_b32_e32 v96, 0xffff, v6
	v_and_b32_e32 v97, 0xffff, v7
	ds_load_2addr_b64 v[4:7], v60 offset0:128 offset1:160
	;; [unrolled: 40-line block ×3, first 2 shown]
	v_mul_u32_u24_e32 v91, 0x10001, v91
	v_mul_u32_u24_e32 v90, 0x10001, v90
	s_wait_dscnt 0x0
	s_delay_alu instid0(VALU_DEP_2)
	v_pk_fma_f16 v70, v4, v91, v70
	v_pk_fma_f16 v66, v5, v91, v66
	v_mul_u32_u24_e32 v91, 0x10001, v92
	v_pk_fma_f16 v67, v5, v90, v67
	v_pk_fma_f16 v71, v4, v90, v71
	v_mul_u32_u24_e32 v90, 0x10001, v93
	s_delay_alu instid0(VALU_DEP_4) | instskip(SKIP_1) | instid1(VALU_DEP_3)
	v_pk_fma_f16 v69, v4, v91, v69
	v_pk_fma_f16 v68, v5, v91, v68
	;; [unrolled: 1-line block ×3, first 2 shown]
	v_mul_u32_u24_e32 v72, 0x10001, v95
	v_pk_fma_f16 v5, v5, v90, v73
	s_delay_alu instid0(VALU_DEP_2) | instskip(SKIP_2) | instid1(VALU_DEP_1)
	v_pk_fma_f16 v70, v6, v72, v70
	v_pk_fma_f16 v66, v7, v72, v66
	v_mul_u32_u24_e32 v72, 0x10001, v96
	v_pk_fma_f16 v68, v7, v72, v68
	v_pk_fma_f16 v69, v6, v72, v69
	v_mul_u32_u24_e32 v72, 0x10001, v94
	s_delay_alu instid0(VALU_DEP_1) | instskip(SKIP_2) | instid1(VALU_DEP_1)
	v_pk_fma_f16 v67, v7, v72, v67
	v_pk_fma_f16 v71, v6, v72, v71
	v_mul_u32_u24_e32 v72, 0x10001, v97
	v_pk_fma_f16 v73, v7, v72, v5
	v_pk_fma_f16 v72, v6, v72, v4
	ds_load_b128 v[4:7], v52 offset:192
	s_wait_dscnt 0x0
	v_lshrrev_b32_e32 v90, 16, v4
	v_lshrrev_b32_e32 v91, 16, v5
	v_and_b32_e32 v92, 0xffff, v4
	v_and_b32_e32 v93, 0xffff, v5
	v_lshrrev_b32_e32 v94, 16, v6
	v_lshrrev_b32_e32 v95, 16, v7
	v_and_b32_e32 v96, 0xffff, v6
	v_and_b32_e32 v97, 0xffff, v7
	ds_load_2addr_b64 v[4:7], v61 offset1:32
	v_mul_u32_u24_e32 v91, 0x10001, v91
	v_mul_u32_u24_e32 v90, 0x10001, v90
	s_wait_dscnt 0x0
	s_delay_alu instid0(VALU_DEP_2)
	v_pk_fma_f16 v70, v4, v91, v70
	v_pk_fma_f16 v66, v5, v91, v66
	v_mul_u32_u24_e32 v91, 0x10001, v92
	v_pk_fma_f16 v67, v5, v90, v67
	v_pk_fma_f16 v71, v4, v90, v71
	v_mul_u32_u24_e32 v90, 0x10001, v93
	s_delay_alu instid0(VALU_DEP_4) | instskip(SKIP_1) | instid1(VALU_DEP_3)
	v_pk_fma_f16 v69, v4, v91, v69
	v_pk_fma_f16 v68, v5, v91, v68
	v_pk_fma_f16 v4, v4, v90, v72
	v_mul_u32_u24_e32 v72, 0x10001, v95
	v_pk_fma_f16 v5, v5, v90, v73
	s_delay_alu instid0(VALU_DEP_2) | instskip(SKIP_2) | instid1(VALU_DEP_1)
	v_pk_fma_f16 v70, v6, v72, v70
	v_pk_fma_f16 v66, v7, v72, v66
	v_mul_u32_u24_e32 v72, 0x10001, v96
	v_pk_fma_f16 v68, v7, v72, v68
	v_pk_fma_f16 v69, v6, v72, v69
	v_mul_u32_u24_e32 v72, 0x10001, v94
	s_delay_alu instid0(VALU_DEP_1) | instskip(SKIP_2) | instid1(VALU_DEP_1)
	v_pk_fma_f16 v67, v7, v72, v67
	v_pk_fma_f16 v71, v6, v72, v71
	v_mul_u32_u24_e32 v72, 0x10001, v97
	v_pk_fma_f16 v73, v7, v72, v5
	v_pk_fma_f16 v72, v6, v72, v4
	ds_load_b128 v[4:7], v52 offset:208
	s_wait_dscnt 0x0
	v_lshrrev_b32_e32 v90, 16, v4
	v_lshrrev_b32_e32 v91, 16, v5
	v_and_b32_e32 v92, 0xffff, v4
	v_and_b32_e32 v93, 0xffff, v5
	v_lshrrev_b32_e32 v94, 16, v6
	v_lshrrev_b32_e32 v95, 16, v7
	v_and_b32_e32 v96, 0xffff, v6
	v_and_b32_e32 v97, 0xffff, v7
	ds_load_2addr_b64 v[4:7], v61 offset0:64 offset1:96
	v_mul_u32_u24_e32 v91, 0x10001, v91
	v_mul_u32_u24_e32 v90, 0x10001, v90
	s_wait_dscnt 0x0
	s_delay_alu instid0(VALU_DEP_2)
	v_pk_fma_f16 v70, v4, v91, v70
	v_pk_fma_f16 v66, v5, v91, v66
	v_mul_u32_u24_e32 v91, 0x10001, v92
	v_pk_fma_f16 v67, v5, v90, v67
	v_pk_fma_f16 v71, v4, v90, v71
	v_mul_u32_u24_e32 v90, 0x10001, v93
	s_delay_alu instid0(VALU_DEP_4) | instskip(SKIP_1) | instid1(VALU_DEP_3)
	v_pk_fma_f16 v69, v4, v91, v69
	v_pk_fma_f16 v68, v5, v91, v68
	v_pk_fma_f16 v4, v4, v90, v72
	v_mul_u32_u24_e32 v72, 0x10001, v95
	v_pk_fma_f16 v5, v5, v90, v73
	s_delay_alu instid0(VALU_DEP_2) | instskip(SKIP_2) | instid1(VALU_DEP_1)
	v_pk_fma_f16 v70, v6, v72, v70
	v_pk_fma_f16 v66, v7, v72, v66
	v_mul_u32_u24_e32 v72, 0x10001, v96
	v_pk_fma_f16 v68, v7, v72, v68
	v_pk_fma_f16 v69, v6, v72, v69
	v_mul_u32_u24_e32 v72, 0x10001, v94
	s_delay_alu instid0(VALU_DEP_1) | instskip(SKIP_2) | instid1(VALU_DEP_1)
	v_pk_fma_f16 v67, v7, v72, v67
	v_pk_fma_f16 v71, v6, v72, v71
	v_mul_u32_u24_e32 v72, 0x10001, v97
	v_pk_fma_f16 v73, v7, v72, v5
	v_pk_fma_f16 v72, v6, v72, v4
	ds_load_b128 v[4:7], v52 offset:224
	s_wait_dscnt 0x0
	v_lshrrev_b32_e32 v90, 16, v4
	v_lshrrev_b32_e32 v91, 16, v5
	v_and_b32_e32 v92, 0xffff, v4
	v_and_b32_e32 v93, 0xffff, v5
	v_lshrrev_b32_e32 v94, 16, v6
	v_lshrrev_b32_e32 v95, 16, v7
	v_and_b32_e32 v96, 0xffff, v6
	v_and_b32_e32 v97, 0xffff, v7
	ds_load_2addr_b64 v[4:7], v61 offset0:128 offset1:160
	v_mul_u32_u24_e32 v91, 0x10001, v91
	v_mul_u32_u24_e32 v90, 0x10001, v90
	s_wait_dscnt 0x0
	s_delay_alu instid0(VALU_DEP_2)
	v_pk_fma_f16 v70, v4, v91, v70
	v_pk_fma_f16 v66, v5, v91, v66
	v_mul_u32_u24_e32 v91, 0x10001, v92
	v_pk_fma_f16 v67, v5, v90, v67
	v_pk_fma_f16 v71, v4, v90, v71
	v_mul_u32_u24_e32 v90, 0x10001, v93
	s_delay_alu instid0(VALU_DEP_4) | instskip(SKIP_1) | instid1(VALU_DEP_3)
	v_pk_fma_f16 v69, v4, v91, v69
	v_pk_fma_f16 v68, v5, v91, v68
	v_pk_fma_f16 v4, v4, v90, v72
	v_mul_u32_u24_e32 v72, 0x10001, v95
	v_pk_fma_f16 v5, v5, v90, v73
	s_delay_alu instid0(VALU_DEP_2) | instskip(SKIP_2) | instid1(VALU_DEP_1)
	v_pk_fma_f16 v70, v6, v72, v70
	v_pk_fma_f16 v66, v7, v72, v66
	v_mul_u32_u24_e32 v72, 0x10001, v96
	v_pk_fma_f16 v68, v7, v72, v68
	v_pk_fma_f16 v69, v6, v72, v69
	v_mul_u32_u24_e32 v72, 0x10001, v94
	s_delay_alu instid0(VALU_DEP_1) | instskip(SKIP_2) | instid1(VALU_DEP_1)
	v_pk_fma_f16 v67, v7, v72, v67
	v_pk_fma_f16 v71, v6, v72, v71
	v_mul_u32_u24_e32 v72, 0x10001, v97
	v_pk_fma_f16 v73, v7, v72, v5
	v_pk_fma_f16 v72, v6, v72, v4
	ds_load_b128 v[4:7], v52 offset:240
	s_wait_dscnt 0x0
	v_lshrrev_b32_e32 v90, 16, v4
	v_lshrrev_b32_e32 v91, 16, v5
	v_and_b32_e32 v92, 0xffff, v4
	v_and_b32_e32 v93, 0xffff, v5
	v_lshrrev_b32_e32 v94, 16, v6
	v_lshrrev_b32_e32 v95, 16, v7
	v_and_b32_e32 v96, 0xffff, v6
	v_and_b32_e32 v97, 0xffff, v7
	ds_load_2addr_b64 v[4:7], v61 offset0:192 offset1:224
	v_mul_u32_u24_e32 v91, 0x10001, v91
	v_mul_u32_u24_e32 v90, 0x10001, v90
	s_wait_dscnt 0x0
	s_delay_alu instid0(VALU_DEP_2)
	v_pk_fma_f16 v70, v4, v91, v70
	v_pk_fma_f16 v66, v5, v91, v66
	v_mul_u32_u24_e32 v91, 0x10001, v92
	v_pk_fma_f16 v67, v5, v90, v67
	v_pk_fma_f16 v71, v4, v90, v71
	v_mul_u32_u24_e32 v90, 0x10001, v93
	s_delay_alu instid0(VALU_DEP_4) | instskip(SKIP_1) | instid1(VALU_DEP_3)
	v_pk_fma_f16 v69, v4, v91, v69
	v_pk_fma_f16 v68, v5, v91, v68
	;; [unrolled: 1-line block ×3, first 2 shown]
	v_mul_u32_u24_e32 v72, 0x10001, v95
	v_pk_fma_f16 v5, v5, v90, v73
	s_delay_alu instid0(VALU_DEP_2) | instskip(SKIP_2) | instid1(VALU_DEP_1)
	v_pk_fma_f16 v70, v6, v72, v70
	v_pk_fma_f16 v66, v7, v72, v66
	v_mul_u32_u24_e32 v72, 0x10001, v96
	v_pk_fma_f16 v68, v7, v72, v68
	v_pk_fma_f16 v69, v6, v72, v69
	v_mul_u32_u24_e32 v72, 0x10001, v94
	s_delay_alu instid0(VALU_DEP_1) | instskip(SKIP_2) | instid1(VALU_DEP_1)
	v_pk_fma_f16 v67, v7, v72, v67
	v_pk_fma_f16 v71, v6, v72, v71
	v_mul_u32_u24_e32 v72, 0x10001, v97
	v_pk_fma_f16 v73, v7, v72, v5
	v_pk_fma_f16 v72, v6, v72, v4
	ds_load_b128 v[4:7], v52 offset:256
	s_wait_dscnt 0x0
	v_lshrrev_b32_e32 v90, 16, v4
	v_lshrrev_b32_e32 v91, 16, v5
	v_and_b32_e32 v92, 0xffff, v4
	v_and_b32_e32 v93, 0xffff, v5
	v_lshrrev_b32_e32 v94, 16, v6
	v_lshrrev_b32_e32 v95, 16, v7
	v_and_b32_e32 v96, 0xffff, v6
	v_and_b32_e32 v97, 0xffff, v7
	ds_load_2addr_b64 v[4:7], v62 offset1:32
	v_mul_u32_u24_e32 v91, 0x10001, v91
	v_mul_u32_u24_e32 v90, 0x10001, v90
	s_wait_dscnt 0x0
	s_delay_alu instid0(VALU_DEP_2)
	v_pk_fma_f16 v70, v4, v91, v70
	v_pk_fma_f16 v66, v5, v91, v66
	v_mul_u32_u24_e32 v91, 0x10001, v92
	v_pk_fma_f16 v67, v5, v90, v67
	v_pk_fma_f16 v71, v4, v90, v71
	v_mul_u32_u24_e32 v90, 0x10001, v93
	s_delay_alu instid0(VALU_DEP_4) | instskip(SKIP_1) | instid1(VALU_DEP_3)
	v_pk_fma_f16 v69, v4, v91, v69
	v_pk_fma_f16 v68, v5, v91, v68
	v_pk_fma_f16 v4, v4, v90, v72
	v_mul_u32_u24_e32 v72, 0x10001, v95
	v_pk_fma_f16 v5, v5, v90, v73
	s_delay_alu instid0(VALU_DEP_2) | instskip(SKIP_2) | instid1(VALU_DEP_1)
	v_pk_fma_f16 v70, v6, v72, v70
	v_pk_fma_f16 v66, v7, v72, v66
	v_mul_u32_u24_e32 v72, 0x10001, v96
	v_pk_fma_f16 v68, v7, v72, v68
	v_pk_fma_f16 v69, v6, v72, v69
	v_mul_u32_u24_e32 v72, 0x10001, v94
	s_delay_alu instid0(VALU_DEP_1) | instskip(SKIP_2) | instid1(VALU_DEP_1)
	v_pk_fma_f16 v67, v7, v72, v67
	v_pk_fma_f16 v71, v6, v72, v71
	v_mul_u32_u24_e32 v72, 0x10001, v97
	v_pk_fma_f16 v73, v7, v72, v5
	v_pk_fma_f16 v72, v6, v72, v4
	ds_load_b128 v[4:7], v52 offset:272
	s_wait_dscnt 0x0
	v_lshrrev_b32_e32 v90, 16, v4
	v_lshrrev_b32_e32 v91, 16, v5
	v_and_b32_e32 v92, 0xffff, v4
	v_and_b32_e32 v93, 0xffff, v5
	v_lshrrev_b32_e32 v94, 16, v6
	v_lshrrev_b32_e32 v95, 16, v7
	v_and_b32_e32 v96, 0xffff, v6
	v_and_b32_e32 v97, 0xffff, v7
	ds_load_2addr_b64 v[4:7], v62 offset0:64 offset1:96
	v_mul_u32_u24_e32 v91, 0x10001, v91
	v_mul_u32_u24_e32 v90, 0x10001, v90
	s_wait_dscnt 0x0
	s_delay_alu instid0(VALU_DEP_2)
	v_pk_fma_f16 v70, v4, v91, v70
	v_pk_fma_f16 v66, v5, v91, v66
	v_mul_u32_u24_e32 v91, 0x10001, v92
	v_pk_fma_f16 v67, v5, v90, v67
	v_pk_fma_f16 v71, v4, v90, v71
	v_mul_u32_u24_e32 v90, 0x10001, v93
	s_delay_alu instid0(VALU_DEP_4) | instskip(SKIP_1) | instid1(VALU_DEP_3)
	v_pk_fma_f16 v69, v4, v91, v69
	v_pk_fma_f16 v68, v5, v91, v68
	v_pk_fma_f16 v4, v4, v90, v72
	v_mul_u32_u24_e32 v72, 0x10001, v95
	v_pk_fma_f16 v5, v5, v90, v73
	s_delay_alu instid0(VALU_DEP_2) | instskip(SKIP_2) | instid1(VALU_DEP_1)
	v_pk_fma_f16 v70, v6, v72, v70
	v_pk_fma_f16 v66, v7, v72, v66
	v_mul_u32_u24_e32 v72, 0x10001, v96
	v_pk_fma_f16 v68, v7, v72, v68
	v_pk_fma_f16 v69, v6, v72, v69
	v_mul_u32_u24_e32 v72, 0x10001, v94
	s_delay_alu instid0(VALU_DEP_1) | instskip(SKIP_2) | instid1(VALU_DEP_1)
	v_pk_fma_f16 v67, v7, v72, v67
	v_pk_fma_f16 v71, v6, v72, v71
	v_mul_u32_u24_e32 v72, 0x10001, v97
	v_pk_fma_f16 v73, v7, v72, v5
	v_pk_fma_f16 v72, v6, v72, v4
	ds_load_b128 v[4:7], v52 offset:288
	s_wait_dscnt 0x0
	v_lshrrev_b32_e32 v90, 16, v4
	v_lshrrev_b32_e32 v91, 16, v5
	v_and_b32_e32 v92, 0xffff, v4
	v_and_b32_e32 v93, 0xffff, v5
	v_lshrrev_b32_e32 v94, 16, v6
	v_lshrrev_b32_e32 v95, 16, v7
	v_and_b32_e32 v96, 0xffff, v6
	v_and_b32_e32 v97, 0xffff, v7
	ds_load_2addr_b64 v[4:7], v62 offset0:128 offset1:160
	;; [unrolled: 40-line block ×3, first 2 shown]
	v_mul_u32_u24_e32 v91, 0x10001, v91
	v_mul_u32_u24_e32 v90, 0x10001, v90
	s_wait_dscnt 0x0
	s_delay_alu instid0(VALU_DEP_2)
	v_pk_fma_f16 v70, v4, v91, v70
	v_pk_fma_f16 v66, v5, v91, v66
	v_mul_u32_u24_e32 v91, 0x10001, v92
	v_pk_fma_f16 v67, v5, v90, v67
	v_pk_fma_f16 v71, v4, v90, v71
	v_mul_u32_u24_e32 v90, 0x10001, v93
	s_delay_alu instid0(VALU_DEP_4) | instskip(SKIP_1) | instid1(VALU_DEP_3)
	v_pk_fma_f16 v69, v4, v91, v69
	v_pk_fma_f16 v68, v5, v91, v68
	;; [unrolled: 1-line block ×3, first 2 shown]
	v_mul_u32_u24_e32 v72, 0x10001, v95
	v_pk_fma_f16 v5, v5, v90, v73
	s_delay_alu instid0(VALU_DEP_2) | instskip(SKIP_2) | instid1(VALU_DEP_1)
	v_pk_fma_f16 v70, v6, v72, v70
	v_pk_fma_f16 v66, v7, v72, v66
	v_mul_u32_u24_e32 v72, 0x10001, v96
	v_pk_fma_f16 v68, v7, v72, v68
	v_pk_fma_f16 v69, v6, v72, v69
	v_mul_u32_u24_e32 v72, 0x10001, v94
	s_delay_alu instid0(VALU_DEP_1) | instskip(SKIP_2) | instid1(VALU_DEP_1)
	v_pk_fma_f16 v67, v7, v72, v67
	v_pk_fma_f16 v71, v6, v72, v71
	v_mul_u32_u24_e32 v72, 0x10001, v97
	v_pk_fma_f16 v73, v7, v72, v5
	v_pk_fma_f16 v72, v6, v72, v4
	ds_load_b128 v[4:7], v52 offset:320
	s_wait_dscnt 0x0
	v_lshrrev_b32_e32 v90, 16, v4
	v_lshrrev_b32_e32 v91, 16, v5
	v_and_b32_e32 v92, 0xffff, v4
	v_and_b32_e32 v93, 0xffff, v5
	v_lshrrev_b32_e32 v94, 16, v6
	v_lshrrev_b32_e32 v95, 16, v7
	v_and_b32_e32 v96, 0xffff, v6
	v_and_b32_e32 v97, 0xffff, v7
	ds_load_2addr_b64 v[4:7], v63 offset1:32
	v_mul_u32_u24_e32 v91, 0x10001, v91
	v_mul_u32_u24_e32 v90, 0x10001, v90
	s_wait_dscnt 0x0
	s_delay_alu instid0(VALU_DEP_2)
	v_pk_fma_f16 v70, v4, v91, v70
	v_pk_fma_f16 v66, v5, v91, v66
	v_mul_u32_u24_e32 v91, 0x10001, v92
	v_pk_fma_f16 v67, v5, v90, v67
	v_pk_fma_f16 v71, v4, v90, v71
	v_mul_u32_u24_e32 v90, 0x10001, v93
	s_delay_alu instid0(VALU_DEP_4) | instskip(SKIP_1) | instid1(VALU_DEP_3)
	v_pk_fma_f16 v69, v4, v91, v69
	v_pk_fma_f16 v68, v5, v91, v68
	v_pk_fma_f16 v4, v4, v90, v72
	v_mul_u32_u24_e32 v72, 0x10001, v95
	v_pk_fma_f16 v5, v5, v90, v73
	s_delay_alu instid0(VALU_DEP_2) | instskip(SKIP_2) | instid1(VALU_DEP_1)
	v_pk_fma_f16 v70, v6, v72, v70
	v_pk_fma_f16 v66, v7, v72, v66
	v_mul_u32_u24_e32 v72, 0x10001, v96
	v_pk_fma_f16 v68, v7, v72, v68
	v_pk_fma_f16 v69, v6, v72, v69
	v_mul_u32_u24_e32 v72, 0x10001, v94
	s_delay_alu instid0(VALU_DEP_1) | instskip(SKIP_2) | instid1(VALU_DEP_1)
	v_pk_fma_f16 v67, v7, v72, v67
	v_pk_fma_f16 v71, v6, v72, v71
	v_mul_u32_u24_e32 v72, 0x10001, v97
	v_pk_fma_f16 v73, v7, v72, v5
	v_pk_fma_f16 v72, v6, v72, v4
	ds_load_b128 v[4:7], v52 offset:336
	s_wait_dscnt 0x0
	v_lshrrev_b32_e32 v90, 16, v4
	v_lshrrev_b32_e32 v91, 16, v5
	v_and_b32_e32 v92, 0xffff, v4
	v_and_b32_e32 v93, 0xffff, v5
	v_lshrrev_b32_e32 v94, 16, v6
	v_lshrrev_b32_e32 v95, 16, v7
	v_and_b32_e32 v96, 0xffff, v6
	v_and_b32_e32 v97, 0xffff, v7
	ds_load_2addr_b64 v[4:7], v63 offset0:64 offset1:96
	v_mul_u32_u24_e32 v91, 0x10001, v91
	v_mul_u32_u24_e32 v90, 0x10001, v90
	s_wait_dscnt 0x0
	s_delay_alu instid0(VALU_DEP_2)
	v_pk_fma_f16 v70, v4, v91, v70
	v_pk_fma_f16 v66, v5, v91, v66
	v_mul_u32_u24_e32 v91, 0x10001, v92
	v_pk_fma_f16 v67, v5, v90, v67
	v_pk_fma_f16 v71, v4, v90, v71
	v_mul_u32_u24_e32 v90, 0x10001, v93
	s_delay_alu instid0(VALU_DEP_4) | instskip(SKIP_1) | instid1(VALU_DEP_3)
	v_pk_fma_f16 v69, v4, v91, v69
	v_pk_fma_f16 v68, v5, v91, v68
	v_pk_fma_f16 v4, v4, v90, v72
	v_mul_u32_u24_e32 v72, 0x10001, v95
	v_pk_fma_f16 v5, v5, v90, v73
	s_delay_alu instid0(VALU_DEP_2) | instskip(SKIP_2) | instid1(VALU_DEP_1)
	v_pk_fma_f16 v70, v6, v72, v70
	v_pk_fma_f16 v66, v7, v72, v66
	v_mul_u32_u24_e32 v72, 0x10001, v96
	v_pk_fma_f16 v68, v7, v72, v68
	v_pk_fma_f16 v69, v6, v72, v69
	v_mul_u32_u24_e32 v72, 0x10001, v94
	s_delay_alu instid0(VALU_DEP_1) | instskip(SKIP_2) | instid1(VALU_DEP_1)
	v_pk_fma_f16 v67, v7, v72, v67
	v_pk_fma_f16 v71, v6, v72, v71
	v_mul_u32_u24_e32 v72, 0x10001, v97
	v_pk_fma_f16 v73, v7, v72, v5
	v_pk_fma_f16 v72, v6, v72, v4
	ds_load_b128 v[4:7], v52 offset:352
	s_wait_dscnt 0x0
	v_lshrrev_b32_e32 v90, 16, v4
	v_lshrrev_b32_e32 v91, 16, v5
	v_and_b32_e32 v92, 0xffff, v4
	v_and_b32_e32 v93, 0xffff, v5
	v_lshrrev_b32_e32 v94, 16, v6
	v_lshrrev_b32_e32 v95, 16, v7
	v_and_b32_e32 v96, 0xffff, v6
	v_and_b32_e32 v97, 0xffff, v7
	ds_load_2addr_b64 v[4:7], v63 offset0:128 offset1:160
	;; [unrolled: 40-line block ×3, first 2 shown]
	v_mul_u32_u24_e32 v91, 0x10001, v91
	v_mul_u32_u24_e32 v90, 0x10001, v90
	s_wait_dscnt 0x0
	s_delay_alu instid0(VALU_DEP_2)
	v_pk_fma_f16 v70, v4, v91, v70
	v_pk_fma_f16 v66, v5, v91, v66
	v_mul_u32_u24_e32 v91, 0x10001, v92
	v_pk_fma_f16 v67, v5, v90, v67
	v_pk_fma_f16 v71, v4, v90, v71
	v_mul_u32_u24_e32 v90, 0x10001, v93
	s_delay_alu instid0(VALU_DEP_4) | instskip(SKIP_1) | instid1(VALU_DEP_3)
	v_pk_fma_f16 v69, v4, v91, v69
	v_pk_fma_f16 v68, v5, v91, v68
	;; [unrolled: 1-line block ×3, first 2 shown]
	v_mul_u32_u24_e32 v72, 0x10001, v95
	v_pk_fma_f16 v5, v5, v90, v73
	s_delay_alu instid0(VALU_DEP_2) | instskip(SKIP_2) | instid1(VALU_DEP_1)
	v_pk_fma_f16 v70, v6, v72, v70
	v_pk_fma_f16 v66, v7, v72, v66
	v_mul_u32_u24_e32 v72, 0x10001, v96
	v_pk_fma_f16 v68, v7, v72, v68
	v_pk_fma_f16 v69, v6, v72, v69
	v_mul_u32_u24_e32 v72, 0x10001, v94
	s_delay_alu instid0(VALU_DEP_1) | instskip(SKIP_2) | instid1(VALU_DEP_1)
	v_pk_fma_f16 v67, v7, v72, v67
	v_pk_fma_f16 v71, v6, v72, v71
	v_mul_u32_u24_e32 v72, 0x10001, v97
	v_pk_fma_f16 v73, v7, v72, v5
	v_pk_fma_f16 v72, v6, v72, v4
	ds_load_b128 v[4:7], v52 offset:384
	s_wait_dscnt 0x0
	v_lshrrev_b32_e32 v90, 16, v4
	v_lshrrev_b32_e32 v91, 16, v5
	v_and_b32_e32 v92, 0xffff, v4
	v_and_b32_e32 v93, 0xffff, v5
	v_lshrrev_b32_e32 v94, 16, v6
	v_lshrrev_b32_e32 v95, 16, v7
	v_and_b32_e32 v96, 0xffff, v6
	v_and_b32_e32 v97, 0xffff, v7
	ds_load_2addr_b64 v[4:7], v64 offset1:32
	v_mul_u32_u24_e32 v91, 0x10001, v91
	v_mul_u32_u24_e32 v90, 0x10001, v90
	s_wait_dscnt 0x0
	s_delay_alu instid0(VALU_DEP_2)
	v_pk_fma_f16 v70, v4, v91, v70
	v_pk_fma_f16 v66, v5, v91, v66
	v_mul_u32_u24_e32 v91, 0x10001, v92
	v_pk_fma_f16 v67, v5, v90, v67
	v_pk_fma_f16 v71, v4, v90, v71
	v_mul_u32_u24_e32 v90, 0x10001, v93
	s_delay_alu instid0(VALU_DEP_4) | instskip(SKIP_1) | instid1(VALU_DEP_3)
	v_pk_fma_f16 v69, v4, v91, v69
	v_pk_fma_f16 v68, v5, v91, v68
	v_pk_fma_f16 v4, v4, v90, v72
	v_mul_u32_u24_e32 v72, 0x10001, v95
	v_pk_fma_f16 v5, v5, v90, v73
	s_delay_alu instid0(VALU_DEP_2) | instskip(SKIP_2) | instid1(VALU_DEP_1)
	v_pk_fma_f16 v70, v6, v72, v70
	v_pk_fma_f16 v66, v7, v72, v66
	v_mul_u32_u24_e32 v72, 0x10001, v96
	v_pk_fma_f16 v68, v7, v72, v68
	v_pk_fma_f16 v69, v6, v72, v69
	v_mul_u32_u24_e32 v72, 0x10001, v94
	s_delay_alu instid0(VALU_DEP_1) | instskip(SKIP_2) | instid1(VALU_DEP_1)
	v_pk_fma_f16 v67, v7, v72, v67
	v_pk_fma_f16 v71, v6, v72, v71
	v_mul_u32_u24_e32 v72, 0x10001, v97
	v_pk_fma_f16 v73, v7, v72, v5
	v_pk_fma_f16 v72, v6, v72, v4
	ds_load_b128 v[4:7], v52 offset:400
	s_wait_dscnt 0x0
	v_lshrrev_b32_e32 v90, 16, v4
	v_lshrrev_b32_e32 v91, 16, v5
	v_and_b32_e32 v92, 0xffff, v4
	v_and_b32_e32 v93, 0xffff, v5
	v_lshrrev_b32_e32 v94, 16, v6
	v_lshrrev_b32_e32 v95, 16, v7
	v_and_b32_e32 v96, 0xffff, v6
	v_and_b32_e32 v97, 0xffff, v7
	ds_load_2addr_b64 v[4:7], v64 offset0:64 offset1:96
	v_mul_u32_u24_e32 v91, 0x10001, v91
	v_mul_u32_u24_e32 v90, 0x10001, v90
	s_wait_dscnt 0x0
	s_delay_alu instid0(VALU_DEP_2)
	v_pk_fma_f16 v70, v4, v91, v70
	v_pk_fma_f16 v66, v5, v91, v66
	v_mul_u32_u24_e32 v91, 0x10001, v92
	v_pk_fma_f16 v67, v5, v90, v67
	v_pk_fma_f16 v71, v4, v90, v71
	v_mul_u32_u24_e32 v90, 0x10001, v93
	s_delay_alu instid0(VALU_DEP_4) | instskip(SKIP_1) | instid1(VALU_DEP_3)
	v_pk_fma_f16 v69, v4, v91, v69
	v_pk_fma_f16 v68, v5, v91, v68
	v_pk_fma_f16 v4, v4, v90, v72
	v_mul_u32_u24_e32 v72, 0x10001, v95
	v_pk_fma_f16 v5, v5, v90, v73
	s_delay_alu instid0(VALU_DEP_2) | instskip(SKIP_2) | instid1(VALU_DEP_1)
	v_pk_fma_f16 v70, v6, v72, v70
	v_pk_fma_f16 v66, v7, v72, v66
	v_mul_u32_u24_e32 v72, 0x10001, v96
	v_pk_fma_f16 v68, v7, v72, v68
	v_pk_fma_f16 v69, v6, v72, v69
	v_mul_u32_u24_e32 v72, 0x10001, v94
	s_delay_alu instid0(VALU_DEP_1) | instskip(SKIP_2) | instid1(VALU_DEP_1)
	v_pk_fma_f16 v67, v7, v72, v67
	v_pk_fma_f16 v71, v6, v72, v71
	v_mul_u32_u24_e32 v72, 0x10001, v97
	v_pk_fma_f16 v73, v7, v72, v5
	v_pk_fma_f16 v72, v6, v72, v4
	ds_load_b128 v[4:7], v52 offset:416
	s_wait_dscnt 0x0
	v_lshrrev_b32_e32 v90, 16, v4
	v_lshrrev_b32_e32 v91, 16, v5
	v_and_b32_e32 v92, 0xffff, v4
	v_and_b32_e32 v93, 0xffff, v5
	v_lshrrev_b32_e32 v94, 16, v6
	v_lshrrev_b32_e32 v95, 16, v7
	v_and_b32_e32 v96, 0xffff, v6
	v_and_b32_e32 v97, 0xffff, v7
	ds_load_2addr_b64 v[4:7], v64 offset0:128 offset1:160
	;; [unrolled: 40-line block ×3, first 2 shown]
	v_mul_u32_u24_e32 v91, 0x10001, v91
	v_mul_u32_u24_e32 v90, 0x10001, v90
	s_wait_dscnt 0x0
	s_delay_alu instid0(VALU_DEP_2)
	v_pk_fma_f16 v70, v4, v91, v70
	v_pk_fma_f16 v66, v5, v91, v66
	v_mul_u32_u24_e32 v91, 0x10001, v92
	v_pk_fma_f16 v67, v5, v90, v67
	v_pk_fma_f16 v71, v4, v90, v71
	v_mul_u32_u24_e32 v90, 0x10001, v93
	s_delay_alu instid0(VALU_DEP_4) | instskip(SKIP_1) | instid1(VALU_DEP_3)
	v_pk_fma_f16 v69, v4, v91, v69
	v_pk_fma_f16 v68, v5, v91, v68
	;; [unrolled: 1-line block ×3, first 2 shown]
	v_mul_u32_u24_e32 v72, 0x10001, v95
	v_pk_fma_f16 v5, v5, v90, v73
	s_delay_alu instid0(VALU_DEP_2) | instskip(SKIP_2) | instid1(VALU_DEP_1)
	v_pk_fma_f16 v70, v6, v72, v70
	v_pk_fma_f16 v66, v7, v72, v66
	v_mul_u32_u24_e32 v72, 0x10001, v96
	v_pk_fma_f16 v68, v7, v72, v68
	v_pk_fma_f16 v69, v6, v72, v69
	v_mul_u32_u24_e32 v72, 0x10001, v94
	s_delay_alu instid0(VALU_DEP_1) | instskip(SKIP_2) | instid1(VALU_DEP_1)
	v_pk_fma_f16 v67, v7, v72, v67
	v_pk_fma_f16 v71, v6, v72, v71
	v_mul_u32_u24_e32 v72, 0x10001, v97
	v_pk_fma_f16 v73, v7, v72, v5
	v_pk_fma_f16 v72, v6, v72, v4
	ds_load_b128 v[4:7], v52 offset:448
	s_wait_dscnt 0x0
	v_lshrrev_b32_e32 v90, 16, v4
	v_lshrrev_b32_e32 v91, 16, v5
	v_and_b32_e32 v92, 0xffff, v4
	v_and_b32_e32 v93, 0xffff, v5
	v_lshrrev_b32_e32 v94, 16, v6
	v_lshrrev_b32_e32 v95, 16, v7
	v_and_b32_e32 v96, 0xffff, v6
	v_and_b32_e32 v97, 0xffff, v7
	ds_load_2addr_b64 v[4:7], v65 offset1:32
	v_mul_u32_u24_e32 v91, 0x10001, v91
	v_mul_u32_u24_e32 v90, 0x10001, v90
	s_wait_dscnt 0x0
	s_delay_alu instid0(VALU_DEP_2)
	v_pk_fma_f16 v70, v4, v91, v70
	v_pk_fma_f16 v66, v5, v91, v66
	v_mul_u32_u24_e32 v91, 0x10001, v92
	v_pk_fma_f16 v67, v5, v90, v67
	v_pk_fma_f16 v90, v4, v90, v71
	v_mul_u32_u24_e32 v71, 0x10001, v93
	s_delay_alu instid0(VALU_DEP_4) | instskip(SKIP_1) | instid1(VALU_DEP_3)
	v_pk_fma_f16 v68, v5, v91, v68
	v_pk_fma_f16 v69, v4, v91, v69
	v_pk_fma_f16 v5, v5, v71, v73
	v_pk_fma_f16 v4, v4, v71, v72
	v_mul_u32_u24_e32 v71, 0x10001, v95
	s_delay_alu instid0(VALU_DEP_1) | instskip(SKIP_2) | instid1(VALU_DEP_2)
	v_pk_fma_f16 v95, v7, v71, v66
	v_mul_u32_u24_e32 v66, 0x10001, v96
	v_pk_fma_f16 v93, v6, v71, v70
	v_pk_fma_f16 v98, v7, v66, v68
	;; [unrolled: 1-line block ×3, first 2 shown]
	v_mul_u32_u24_e32 v66, 0x10001, v94
	s_delay_alu instid0(VALU_DEP_1) | instskip(SKIP_2) | instid1(VALU_DEP_1)
	v_pk_fma_f16 v71, v7, v66, v67
	v_pk_fma_f16 v69, v6, v66, v90
	v_mul_u32_u24_e32 v66, 0x10001, v97
	v_pk_fma_f16 v72, v7, v66, v5
	v_pk_fma_f16 v70, v6, v66, v4
	ds_load_b128 v[4:7], v52 offset:464
	s_wait_dscnt 0x0
	v_lshrrev_b32_e32 v91, 16, v4
	v_lshrrev_b32_e32 v94, 16, v5
	v_and_b32_e32 v96, 0xffff, v4
	v_and_b32_e32 v92, 0xffff, v5
	v_lshrrev_b32_e32 v66, 16, v6
	v_lshrrev_b32_e32 v90, 16, v7
	v_and_b32_e32 v73, 0xffff, v6
	v_and_b32_e32 v67, 0xffff, v7
	ds_load_2addr_b64 v[4:7], v65 offset0:64 offset1:96
	v_mul_u32_u24_e32 v91, 0x10001, v91
	v_mul_u32_u24_e32 v94, 0x10001, v94
	;; [unrolled: 1-line block ×6, first 2 shown]
	s_wait_dscnt 0x0
	v_pk_fma_f16 v71, v5, v91, v71
	v_pk_fma_f16 v69, v4, v91, v69
	v_mul_u32_u24_e32 v91, 0x10001, v92
	v_pk_fma_f16 v93, v4, v94, v93
	v_pk_fma_f16 v95, v5, v94, v95
	v_pk_fma_f16 v94, v5, v96, v98
	v_pk_fma_f16 v68, v4, v96, v68
	v_pk_fma_f16 v5, v5, v91, v72
	v_pk_fma_f16 v4, v4, v91, v70
	v_mul_u32_u24_e32 v70, 0x10001, v90
	v_pk_fma_f16 v90, v7, v73, v94
	v_pk_fma_f16 v68, v6, v73, v68
	v_pk_fma_f16 v71, v7, v66, v71
	v_pk_fma_f16 v66, v6, v66, v69
	v_pk_fma_f16 v72, v6, v70, v93
	v_pk_fma_f16 v70, v7, v70, v95
	v_pk_fma_f16 v69, v7, v67, v5
	v_pk_fma_f16 v67, v6, v67, v4
	ds_load_b128 v[4:7], v52 offset:480
	s_wait_dscnt 0x0
	v_lshrrev_b32_e32 v73, 16, v4
	v_lshrrev_b32_e32 v91, 16, v5
	v_and_b32_e32 v92, 0xffff, v4
	v_and_b32_e32 v93, 0xffff, v5
	v_lshrrev_b32_e32 v94, 16, v6
	v_lshrrev_b32_e32 v95, 16, v7
	v_and_b32_e32 v96, 0xffff, v6
	v_and_b32_e32 v97, 0xffff, v7
	ds_load_2addr_b64 v[4:7], v65 offset0:128 offset1:160
	v_mul_u32_u24_e32 v91, 0x10001, v91
	v_mul_u32_u24_e32 v73, 0x10001, v73
	s_wait_dscnt 0x0
	s_delay_alu instid0(VALU_DEP_2)
	v_pk_fma_f16 v72, v4, v91, v72
	v_pk_fma_f16 v70, v5, v91, v70
	v_mul_u32_u24_e32 v91, 0x10001, v92
	v_pk_fma_f16 v71, v5, v73, v71
	v_pk_fma_f16 v66, v4, v73, v66
	v_mul_u32_u24_e32 v73, 0x10001, v93
	s_delay_alu instid0(VALU_DEP_4) | instskip(SKIP_1) | instid1(VALU_DEP_3)
	v_pk_fma_f16 v68, v4, v91, v68
	v_pk_fma_f16 v90, v5, v91, v90
	v_pk_fma_f16 v4, v4, v73, v67
	v_mul_u32_u24_e32 v67, 0x10001, v95
	v_pk_fma_f16 v5, v5, v73, v69
	s_delay_alu instid0(VALU_DEP_2) | instskip(SKIP_2) | instid1(VALU_DEP_1)
	v_pk_fma_f16 v69, v6, v67, v72
	v_pk_fma_f16 v67, v7, v67, v70
	v_mul_u32_u24_e32 v70, 0x10001, v96
	v_pk_fma_f16 v72, v7, v70, v90
	v_pk_fma_f16 v68, v6, v70, v68
	v_mul_u32_u24_e32 v70, 0x10001, v94
	s_delay_alu instid0(VALU_DEP_1) | instskip(SKIP_2) | instid1(VALU_DEP_1)
	v_pk_fma_f16 v71, v7, v70, v71
	v_pk_fma_f16 v66, v6, v70, v66
	v_mul_u32_u24_e32 v70, 0x10001, v97
	v_pk_fma_f16 v73, v7, v70, v5
	v_pk_fma_f16 v70, v6, v70, v4
	ds_load_b128 v[4:7], v52 offset:496
	s_wait_dscnt 0x0
	v_lshrrev_b32_e32 v90, 16, v4
	v_lshrrev_b32_e32 v91, 16, v5
	v_and_b32_e32 v92, 0xffff, v4
	v_and_b32_e32 v93, 0xffff, v5
	v_lshrrev_b32_e32 v94, 16, v6
	v_lshrrev_b32_e32 v95, 16, v7
	v_and_b32_e32 v96, 0xffff, v6
	v_and_b32_e32 v97, 0xffff, v7
	ds_load_2addr_b64 v[4:7], v65 offset0:192 offset1:224
	v_mul_u32_u24_e32 v91, 0x10001, v91
	v_mul_u32_u24_e32 v90, 0x10001, v90
	s_wait_loadcnt_dscnt 0x0
	s_barrier_signal -1
	s_barrier_wait -1
	global_inv scope:SCOPE_SE
	v_pk_fma_f16 v69, v4, v91, v69
	v_pk_fma_f16 v67, v5, v91, v67
	v_mul_u32_u24_e32 v91, 0x10001, v92
	v_pk_fma_f16 v71, v5, v90, v71
	v_pk_fma_f16 v66, v4, v90, v66
	v_mul_u32_u24_e32 v90, 0x10001, v93
	s_delay_alu instid0(VALU_DEP_4) | instskip(SKIP_1) | instid1(VALU_DEP_3)
	v_pk_fma_f16 v68, v4, v91, v68
	v_pk_fma_f16 v72, v5, v91, v72
	;; [unrolled: 1-line block ×3, first 2 shown]
	v_mul_u32_u24_e32 v70, 0x10001, v95
	v_pk_fma_f16 v5, v5, v90, v73
	s_delay_alu instid0(VALU_DEP_2) | instskip(SKIP_2) | instid1(VALU_DEP_1)
	v_pk_fma_f16 v69, v6, v70, v69
	v_pk_fma_f16 v67, v7, v70, v67
	v_mul_u32_u24_e32 v70, 0x10001, v96
	v_pk_fma_f16 v72, v7, v70, v72
	v_pk_fma_f16 v68, v6, v70, v68
	v_mul_u32_u24_e32 v70, 0x10001, v94
	s_delay_alu instid0(VALU_DEP_1) | instskip(SKIP_2) | instid1(VALU_DEP_1)
	v_pk_fma_f16 v71, v7, v70, v71
	v_pk_fma_f16 v66, v6, v70, v66
	v_mul_u32_u24_e32 v70, 0x10001, v97
	v_pk_fma_f16 v73, v7, v70, v5
	v_pk_fma_f16 v70, v6, v70, v4
	s_wait_alu 0xfffe
	v_add_co_u32 v4, vcc_lo, s2, v20
	s_wait_alu 0xfffd
	v_add_co_ci_u32_e64 v5, null, s3, v21, vcc_lo
	s_delay_alu instid0(VALU_DEP_2) | instskip(SKIP_1) | instid1(VALU_DEP_2)
	v_add_co_u32 v4, vcc_lo, v4, v58
	s_wait_alu 0xfffd
	v_add_co_ci_u32_e64 v5, null, 0, v5, vcc_lo
	global_load_b128 v[4:7], v[4:5], off
	s_wait_loadcnt 0x0
	ds_store_b128 v51, v[4:7]
	v_add_co_u32 v4, vcc_lo, s2, v22
	s_wait_alu 0xfffd
	v_add_co_ci_u32_e64 v5, null, s3, v23, vcc_lo
	s_delay_alu instid0(VALU_DEP_2) | instskip(SKIP_1) | instid1(VALU_DEP_2)
	v_add_co_u32 v4, vcc_lo, v4, v58
	s_wait_alu 0xfffd
	v_add_co_ci_u32_e64 v5, null, 0, v5, vcc_lo
	global_load_b128 v[4:7], v[4:5], off
	s_wait_loadcnt 0x0
	ds_store_b128 v53, v[4:7]
	v_add_co_u32 v4, vcc_lo, s2, v24
	s_wait_alu 0xfffd
	v_add_co_ci_u32_e64 v5, null, s3, v25, vcc_lo
	s_delay_alu instid0(VALU_DEP_2) | instskip(SKIP_1) | instid1(VALU_DEP_2)
	v_add_co_u32 v4, vcc_lo, v4, v58
	s_wait_alu 0xfffd
	v_add_co_ci_u32_e64 v5, null, 0, v5, vcc_lo
	global_load_b128 v[4:7], v[4:5], off
	s_wait_loadcnt 0x0
	ds_store_b128 v54, v[4:7]
	v_add_co_u32 v4, vcc_lo, s2, v26
	s_wait_alu 0xfffd
	v_add_co_ci_u32_e64 v5, null, s3, v27, vcc_lo
	s_delay_alu instid0(VALU_DEP_2) | instskip(SKIP_1) | instid1(VALU_DEP_2)
	v_add_co_u32 v4, vcc_lo, v4, v58
	s_wait_alu 0xfffd
	v_add_co_ci_u32_e64 v5, null, 0, v5, vcc_lo
	global_load_b128 v[4:7], v[4:5], off
	s_wait_loadcnt 0x0
	ds_store_b128 v55, v[4:7]
	s_wait_dscnt 0x0
	s_barrier_signal -1
	s_barrier_wait -1
	global_inv scope:SCOPE_SE
	ds_load_b128 v[4:7], v52 offset:512
	s_wait_dscnt 0x0
	v_lshrrev_b32_e32 v90, 16, v4
	v_lshrrev_b32_e32 v91, 16, v5
	v_and_b32_e32 v92, 0xffff, v4
	v_and_b32_e32 v93, 0xffff, v5
	v_lshrrev_b32_e32 v94, 16, v6
	v_lshrrev_b32_e32 v95, 16, v7
	v_and_b32_e32 v96, 0xffff, v6
	v_and_b32_e32 v97, 0xffff, v7
	ds_load_2addr_b64 v[4:7], v11 offset1:32
	v_mul_u32_u24_e32 v91, 0x10001, v91
	v_mul_u32_u24_e32 v90, 0x10001, v90
	s_wait_dscnt 0x0
	s_delay_alu instid0(VALU_DEP_2)
	v_pk_fma_f16 v69, v4, v91, v69
	v_pk_fma_f16 v67, v5, v91, v67
	v_mul_u32_u24_e32 v91, 0x10001, v92
	v_pk_fma_f16 v71, v5, v90, v71
	v_pk_fma_f16 v66, v4, v90, v66
	v_mul_u32_u24_e32 v90, 0x10001, v93
	s_delay_alu instid0(VALU_DEP_4) | instskip(SKIP_1) | instid1(VALU_DEP_3)
	v_pk_fma_f16 v68, v4, v91, v68
	v_pk_fma_f16 v72, v5, v91, v72
	v_pk_fma_f16 v4, v4, v90, v70
	v_mul_u32_u24_e32 v70, 0x10001, v95
	v_pk_fma_f16 v5, v5, v90, v73
	s_delay_alu instid0(VALU_DEP_2) | instskip(SKIP_2) | instid1(VALU_DEP_1)
	v_pk_fma_f16 v69, v6, v70, v69
	v_pk_fma_f16 v67, v7, v70, v67
	v_mul_u32_u24_e32 v70, 0x10001, v96
	v_pk_fma_f16 v72, v7, v70, v72
	v_pk_fma_f16 v68, v6, v70, v68
	v_mul_u32_u24_e32 v70, 0x10001, v94
	s_delay_alu instid0(VALU_DEP_1) | instskip(SKIP_2) | instid1(VALU_DEP_1)
	v_pk_fma_f16 v71, v7, v70, v71
	v_pk_fma_f16 v66, v6, v70, v66
	v_mul_u32_u24_e32 v70, 0x10001, v97
	v_pk_fma_f16 v73, v7, v70, v5
	v_pk_fma_f16 v70, v6, v70, v4
	ds_load_b128 v[4:7], v52 offset:528
	s_wait_dscnt 0x0
	v_lshrrev_b32_e32 v90, 16, v4
	v_lshrrev_b32_e32 v91, 16, v5
	v_and_b32_e32 v92, 0xffff, v4
	v_and_b32_e32 v93, 0xffff, v5
	v_lshrrev_b32_e32 v94, 16, v6
	v_lshrrev_b32_e32 v95, 16, v7
	v_and_b32_e32 v96, 0xffff, v6
	v_and_b32_e32 v97, 0xffff, v7
	ds_load_2addr_b64 v[4:7], v11 offset0:64 offset1:96
	v_mul_u32_u24_e32 v91, 0x10001, v91
	v_mul_u32_u24_e32 v90, 0x10001, v90
	s_wait_dscnt 0x0
	s_delay_alu instid0(VALU_DEP_2)
	v_pk_fma_f16 v69, v4, v91, v69
	v_pk_fma_f16 v67, v5, v91, v67
	v_mul_u32_u24_e32 v91, 0x10001, v92
	v_pk_fma_f16 v71, v5, v90, v71
	v_pk_fma_f16 v66, v4, v90, v66
	v_mul_u32_u24_e32 v90, 0x10001, v93
	s_delay_alu instid0(VALU_DEP_4) | instskip(SKIP_1) | instid1(VALU_DEP_3)
	v_pk_fma_f16 v68, v4, v91, v68
	v_pk_fma_f16 v72, v5, v91, v72
	v_pk_fma_f16 v4, v4, v90, v70
	v_mul_u32_u24_e32 v70, 0x10001, v95
	v_pk_fma_f16 v5, v5, v90, v73
	s_delay_alu instid0(VALU_DEP_2) | instskip(SKIP_2) | instid1(VALU_DEP_1)
	v_pk_fma_f16 v69, v6, v70, v69
	v_pk_fma_f16 v67, v7, v70, v67
	v_mul_u32_u24_e32 v70, 0x10001, v96
	v_pk_fma_f16 v72, v7, v70, v72
	v_pk_fma_f16 v68, v6, v70, v68
	v_mul_u32_u24_e32 v70, 0x10001, v94
	s_delay_alu instid0(VALU_DEP_1) | instskip(SKIP_2) | instid1(VALU_DEP_1)
	v_pk_fma_f16 v71, v7, v70, v71
	v_pk_fma_f16 v66, v6, v70, v66
	v_mul_u32_u24_e32 v70, 0x10001, v97
	v_pk_fma_f16 v73, v7, v70, v5
	v_pk_fma_f16 v70, v6, v70, v4
	ds_load_b128 v[4:7], v52 offset:544
	s_wait_dscnt 0x0
	v_lshrrev_b32_e32 v90, 16, v4
	v_lshrrev_b32_e32 v91, 16, v5
	v_and_b32_e32 v92, 0xffff, v4
	v_and_b32_e32 v93, 0xffff, v5
	v_lshrrev_b32_e32 v94, 16, v6
	v_lshrrev_b32_e32 v95, 16, v7
	v_and_b32_e32 v96, 0xffff, v6
	v_and_b32_e32 v97, 0xffff, v7
	ds_load_2addr_b64 v[4:7], v11 offset0:128 offset1:160
	;; [unrolled: 40-line block ×3, first 2 shown]
	v_mul_u32_u24_e32 v91, 0x10001, v91
	v_mul_u32_u24_e32 v90, 0x10001, v90
	s_wait_dscnt 0x0
	s_delay_alu instid0(VALU_DEP_2)
	v_pk_fma_f16 v69, v4, v91, v69
	v_pk_fma_f16 v67, v5, v91, v67
	v_mul_u32_u24_e32 v91, 0x10001, v92
	v_pk_fma_f16 v71, v5, v90, v71
	v_pk_fma_f16 v66, v4, v90, v66
	v_mul_u32_u24_e32 v90, 0x10001, v93
	s_delay_alu instid0(VALU_DEP_4) | instskip(SKIP_1) | instid1(VALU_DEP_3)
	v_pk_fma_f16 v68, v4, v91, v68
	v_pk_fma_f16 v72, v5, v91, v72
	;; [unrolled: 1-line block ×3, first 2 shown]
	v_mul_u32_u24_e32 v70, 0x10001, v95
	v_pk_fma_f16 v5, v5, v90, v73
	s_delay_alu instid0(VALU_DEP_2) | instskip(SKIP_2) | instid1(VALU_DEP_1)
	v_pk_fma_f16 v69, v6, v70, v69
	v_pk_fma_f16 v67, v7, v70, v67
	v_mul_u32_u24_e32 v70, 0x10001, v96
	v_pk_fma_f16 v72, v7, v70, v72
	v_pk_fma_f16 v68, v6, v70, v68
	v_mul_u32_u24_e32 v70, 0x10001, v94
	s_delay_alu instid0(VALU_DEP_1) | instskip(SKIP_2) | instid1(VALU_DEP_1)
	v_pk_fma_f16 v71, v7, v70, v71
	v_pk_fma_f16 v66, v6, v70, v66
	v_mul_u32_u24_e32 v70, 0x10001, v97
	v_pk_fma_f16 v73, v7, v70, v5
	v_pk_fma_f16 v70, v6, v70, v4
	ds_load_b128 v[4:7], v52 offset:576
	s_wait_dscnt 0x0
	v_lshrrev_b32_e32 v90, 16, v4
	v_lshrrev_b32_e32 v91, 16, v5
	v_and_b32_e32 v92, 0xffff, v4
	v_and_b32_e32 v93, 0xffff, v5
	v_lshrrev_b32_e32 v94, 16, v6
	v_lshrrev_b32_e32 v95, 16, v7
	v_and_b32_e32 v96, 0xffff, v6
	v_and_b32_e32 v97, 0xffff, v7
	ds_load_2addr_b64 v[4:7], v59 offset1:32
	v_mul_u32_u24_e32 v91, 0x10001, v91
	v_mul_u32_u24_e32 v90, 0x10001, v90
	s_wait_dscnt 0x0
	s_delay_alu instid0(VALU_DEP_2)
	v_pk_fma_f16 v69, v4, v91, v69
	v_pk_fma_f16 v67, v5, v91, v67
	v_mul_u32_u24_e32 v91, 0x10001, v92
	v_pk_fma_f16 v71, v5, v90, v71
	v_pk_fma_f16 v66, v4, v90, v66
	v_mul_u32_u24_e32 v90, 0x10001, v93
	s_delay_alu instid0(VALU_DEP_4) | instskip(SKIP_1) | instid1(VALU_DEP_3)
	v_pk_fma_f16 v68, v4, v91, v68
	v_pk_fma_f16 v72, v5, v91, v72
	v_pk_fma_f16 v4, v4, v90, v70
	v_mul_u32_u24_e32 v70, 0x10001, v95
	v_pk_fma_f16 v5, v5, v90, v73
	s_delay_alu instid0(VALU_DEP_2) | instskip(SKIP_2) | instid1(VALU_DEP_1)
	v_pk_fma_f16 v69, v6, v70, v69
	v_pk_fma_f16 v67, v7, v70, v67
	v_mul_u32_u24_e32 v70, 0x10001, v96
	v_pk_fma_f16 v72, v7, v70, v72
	v_pk_fma_f16 v68, v6, v70, v68
	v_mul_u32_u24_e32 v70, 0x10001, v94
	s_delay_alu instid0(VALU_DEP_1) | instskip(SKIP_2) | instid1(VALU_DEP_1)
	v_pk_fma_f16 v71, v7, v70, v71
	v_pk_fma_f16 v66, v6, v70, v66
	v_mul_u32_u24_e32 v70, 0x10001, v97
	v_pk_fma_f16 v73, v7, v70, v5
	v_pk_fma_f16 v70, v6, v70, v4
	ds_load_b128 v[4:7], v52 offset:592
	s_wait_dscnt 0x0
	v_lshrrev_b32_e32 v90, 16, v4
	v_lshrrev_b32_e32 v91, 16, v5
	v_and_b32_e32 v92, 0xffff, v4
	v_and_b32_e32 v93, 0xffff, v5
	v_lshrrev_b32_e32 v94, 16, v6
	v_lshrrev_b32_e32 v95, 16, v7
	v_and_b32_e32 v96, 0xffff, v6
	v_and_b32_e32 v97, 0xffff, v7
	ds_load_2addr_b64 v[4:7], v59 offset0:64 offset1:96
	v_mul_u32_u24_e32 v91, 0x10001, v91
	v_mul_u32_u24_e32 v90, 0x10001, v90
	s_wait_dscnt 0x0
	s_delay_alu instid0(VALU_DEP_2)
	v_pk_fma_f16 v69, v4, v91, v69
	v_pk_fma_f16 v67, v5, v91, v67
	v_mul_u32_u24_e32 v91, 0x10001, v92
	v_pk_fma_f16 v71, v5, v90, v71
	v_pk_fma_f16 v66, v4, v90, v66
	v_mul_u32_u24_e32 v90, 0x10001, v93
	s_delay_alu instid0(VALU_DEP_4) | instskip(SKIP_1) | instid1(VALU_DEP_3)
	v_pk_fma_f16 v68, v4, v91, v68
	v_pk_fma_f16 v72, v5, v91, v72
	v_pk_fma_f16 v4, v4, v90, v70
	v_mul_u32_u24_e32 v70, 0x10001, v95
	v_pk_fma_f16 v5, v5, v90, v73
	s_delay_alu instid0(VALU_DEP_2) | instskip(SKIP_2) | instid1(VALU_DEP_1)
	v_pk_fma_f16 v69, v6, v70, v69
	v_pk_fma_f16 v67, v7, v70, v67
	v_mul_u32_u24_e32 v70, 0x10001, v96
	v_pk_fma_f16 v72, v7, v70, v72
	v_pk_fma_f16 v68, v6, v70, v68
	v_mul_u32_u24_e32 v70, 0x10001, v94
	s_delay_alu instid0(VALU_DEP_1) | instskip(SKIP_2) | instid1(VALU_DEP_1)
	v_pk_fma_f16 v71, v7, v70, v71
	v_pk_fma_f16 v66, v6, v70, v66
	v_mul_u32_u24_e32 v70, 0x10001, v97
	v_pk_fma_f16 v73, v7, v70, v5
	v_pk_fma_f16 v70, v6, v70, v4
	ds_load_b128 v[4:7], v52 offset:608
	s_wait_dscnt 0x0
	v_lshrrev_b32_e32 v90, 16, v4
	v_lshrrev_b32_e32 v91, 16, v5
	v_and_b32_e32 v92, 0xffff, v4
	v_and_b32_e32 v93, 0xffff, v5
	v_lshrrev_b32_e32 v94, 16, v6
	v_lshrrev_b32_e32 v95, 16, v7
	v_and_b32_e32 v96, 0xffff, v6
	v_and_b32_e32 v97, 0xffff, v7
	ds_load_2addr_b64 v[4:7], v59 offset0:128 offset1:160
	;; [unrolled: 40-line block ×3, first 2 shown]
	v_mul_u32_u24_e32 v91, 0x10001, v91
	v_mul_u32_u24_e32 v90, 0x10001, v90
	s_wait_dscnt 0x0
	s_delay_alu instid0(VALU_DEP_2)
	v_pk_fma_f16 v69, v4, v91, v69
	v_pk_fma_f16 v67, v5, v91, v67
	v_mul_u32_u24_e32 v91, 0x10001, v92
	v_pk_fma_f16 v71, v5, v90, v71
	v_pk_fma_f16 v66, v4, v90, v66
	v_mul_u32_u24_e32 v90, 0x10001, v93
	s_delay_alu instid0(VALU_DEP_4) | instskip(SKIP_1) | instid1(VALU_DEP_3)
	v_pk_fma_f16 v68, v4, v91, v68
	v_pk_fma_f16 v72, v5, v91, v72
	;; [unrolled: 1-line block ×3, first 2 shown]
	v_mul_u32_u24_e32 v70, 0x10001, v95
	v_pk_fma_f16 v5, v5, v90, v73
	s_delay_alu instid0(VALU_DEP_2) | instskip(SKIP_2) | instid1(VALU_DEP_1)
	v_pk_fma_f16 v69, v6, v70, v69
	v_pk_fma_f16 v67, v7, v70, v67
	v_mul_u32_u24_e32 v70, 0x10001, v96
	v_pk_fma_f16 v72, v7, v70, v72
	v_pk_fma_f16 v68, v6, v70, v68
	v_mul_u32_u24_e32 v70, 0x10001, v94
	s_delay_alu instid0(VALU_DEP_1) | instskip(SKIP_2) | instid1(VALU_DEP_1)
	v_pk_fma_f16 v71, v7, v70, v71
	v_pk_fma_f16 v66, v6, v70, v66
	v_mul_u32_u24_e32 v70, 0x10001, v97
	v_pk_fma_f16 v73, v7, v70, v5
	v_pk_fma_f16 v70, v6, v70, v4
	ds_load_b128 v[4:7], v52 offset:640
	s_wait_dscnt 0x0
	v_lshrrev_b32_e32 v90, 16, v4
	v_lshrrev_b32_e32 v91, 16, v5
	v_and_b32_e32 v92, 0xffff, v4
	v_and_b32_e32 v93, 0xffff, v5
	v_lshrrev_b32_e32 v94, 16, v6
	v_lshrrev_b32_e32 v95, 16, v7
	v_and_b32_e32 v96, 0xffff, v6
	v_and_b32_e32 v97, 0xffff, v7
	ds_load_2addr_b64 v[4:7], v60 offset1:32
	v_mul_u32_u24_e32 v91, 0x10001, v91
	v_mul_u32_u24_e32 v90, 0x10001, v90
	s_wait_dscnt 0x0
	s_delay_alu instid0(VALU_DEP_2)
	v_pk_fma_f16 v69, v4, v91, v69
	v_pk_fma_f16 v67, v5, v91, v67
	v_mul_u32_u24_e32 v91, 0x10001, v92
	v_pk_fma_f16 v71, v5, v90, v71
	v_pk_fma_f16 v66, v4, v90, v66
	v_mul_u32_u24_e32 v90, 0x10001, v93
	s_delay_alu instid0(VALU_DEP_4) | instskip(SKIP_1) | instid1(VALU_DEP_3)
	v_pk_fma_f16 v68, v4, v91, v68
	v_pk_fma_f16 v72, v5, v91, v72
	v_pk_fma_f16 v4, v4, v90, v70
	v_mul_u32_u24_e32 v70, 0x10001, v95
	v_pk_fma_f16 v5, v5, v90, v73
	s_delay_alu instid0(VALU_DEP_2) | instskip(SKIP_2) | instid1(VALU_DEP_1)
	v_pk_fma_f16 v69, v6, v70, v69
	v_pk_fma_f16 v67, v7, v70, v67
	v_mul_u32_u24_e32 v70, 0x10001, v96
	v_pk_fma_f16 v72, v7, v70, v72
	v_pk_fma_f16 v68, v6, v70, v68
	v_mul_u32_u24_e32 v70, 0x10001, v94
	s_delay_alu instid0(VALU_DEP_1) | instskip(SKIP_2) | instid1(VALU_DEP_1)
	v_pk_fma_f16 v71, v7, v70, v71
	v_pk_fma_f16 v66, v6, v70, v66
	v_mul_u32_u24_e32 v70, 0x10001, v97
	v_pk_fma_f16 v73, v7, v70, v5
	v_pk_fma_f16 v70, v6, v70, v4
	ds_load_b128 v[4:7], v52 offset:656
	s_wait_dscnt 0x0
	v_lshrrev_b32_e32 v90, 16, v4
	v_lshrrev_b32_e32 v91, 16, v5
	v_and_b32_e32 v92, 0xffff, v4
	v_and_b32_e32 v93, 0xffff, v5
	v_lshrrev_b32_e32 v94, 16, v6
	v_lshrrev_b32_e32 v95, 16, v7
	v_and_b32_e32 v96, 0xffff, v6
	v_and_b32_e32 v97, 0xffff, v7
	ds_load_2addr_b64 v[4:7], v60 offset0:64 offset1:96
	v_mul_u32_u24_e32 v91, 0x10001, v91
	v_mul_u32_u24_e32 v90, 0x10001, v90
	s_wait_dscnt 0x0
	s_delay_alu instid0(VALU_DEP_2)
	v_pk_fma_f16 v69, v4, v91, v69
	v_pk_fma_f16 v67, v5, v91, v67
	v_mul_u32_u24_e32 v91, 0x10001, v92
	v_pk_fma_f16 v71, v5, v90, v71
	v_pk_fma_f16 v66, v4, v90, v66
	v_mul_u32_u24_e32 v90, 0x10001, v93
	s_delay_alu instid0(VALU_DEP_4) | instskip(SKIP_1) | instid1(VALU_DEP_3)
	v_pk_fma_f16 v68, v4, v91, v68
	v_pk_fma_f16 v72, v5, v91, v72
	v_pk_fma_f16 v4, v4, v90, v70
	v_mul_u32_u24_e32 v70, 0x10001, v95
	v_pk_fma_f16 v5, v5, v90, v73
	s_delay_alu instid0(VALU_DEP_2) | instskip(SKIP_2) | instid1(VALU_DEP_1)
	v_pk_fma_f16 v69, v6, v70, v69
	v_pk_fma_f16 v67, v7, v70, v67
	v_mul_u32_u24_e32 v70, 0x10001, v96
	v_pk_fma_f16 v72, v7, v70, v72
	v_pk_fma_f16 v68, v6, v70, v68
	v_mul_u32_u24_e32 v70, 0x10001, v94
	s_delay_alu instid0(VALU_DEP_1) | instskip(SKIP_2) | instid1(VALU_DEP_1)
	v_pk_fma_f16 v71, v7, v70, v71
	v_pk_fma_f16 v66, v6, v70, v66
	v_mul_u32_u24_e32 v70, 0x10001, v97
	v_pk_fma_f16 v73, v7, v70, v5
	v_pk_fma_f16 v70, v6, v70, v4
	ds_load_b128 v[4:7], v52 offset:672
	s_wait_dscnt 0x0
	v_lshrrev_b32_e32 v90, 16, v4
	v_lshrrev_b32_e32 v91, 16, v5
	v_and_b32_e32 v92, 0xffff, v4
	v_and_b32_e32 v93, 0xffff, v5
	v_lshrrev_b32_e32 v94, 16, v6
	v_lshrrev_b32_e32 v95, 16, v7
	v_and_b32_e32 v96, 0xffff, v6
	v_and_b32_e32 v97, 0xffff, v7
	ds_load_2addr_b64 v[4:7], v60 offset0:128 offset1:160
	;; [unrolled: 40-line block ×3, first 2 shown]
	v_mul_u32_u24_e32 v91, 0x10001, v91
	v_mul_u32_u24_e32 v90, 0x10001, v90
	s_wait_dscnt 0x0
	s_delay_alu instid0(VALU_DEP_2)
	v_pk_fma_f16 v69, v4, v91, v69
	v_pk_fma_f16 v67, v5, v91, v67
	v_mul_u32_u24_e32 v91, 0x10001, v92
	v_pk_fma_f16 v71, v5, v90, v71
	v_pk_fma_f16 v66, v4, v90, v66
	v_mul_u32_u24_e32 v90, 0x10001, v93
	s_delay_alu instid0(VALU_DEP_4) | instskip(SKIP_1) | instid1(VALU_DEP_3)
	v_pk_fma_f16 v68, v4, v91, v68
	v_pk_fma_f16 v72, v5, v91, v72
	;; [unrolled: 1-line block ×3, first 2 shown]
	v_mul_u32_u24_e32 v70, 0x10001, v95
	v_pk_fma_f16 v5, v5, v90, v73
	s_delay_alu instid0(VALU_DEP_2) | instskip(SKIP_2) | instid1(VALU_DEP_1)
	v_pk_fma_f16 v69, v6, v70, v69
	v_pk_fma_f16 v67, v7, v70, v67
	v_mul_u32_u24_e32 v70, 0x10001, v96
	v_pk_fma_f16 v72, v7, v70, v72
	v_pk_fma_f16 v68, v6, v70, v68
	v_mul_u32_u24_e32 v70, 0x10001, v94
	s_delay_alu instid0(VALU_DEP_1) | instskip(SKIP_2) | instid1(VALU_DEP_1)
	v_pk_fma_f16 v71, v7, v70, v71
	v_pk_fma_f16 v66, v6, v70, v66
	v_mul_u32_u24_e32 v70, 0x10001, v97
	v_pk_fma_f16 v73, v7, v70, v5
	v_pk_fma_f16 v70, v6, v70, v4
	ds_load_b128 v[4:7], v52 offset:704
	s_wait_dscnt 0x0
	v_lshrrev_b32_e32 v90, 16, v4
	v_lshrrev_b32_e32 v91, 16, v5
	v_and_b32_e32 v92, 0xffff, v4
	v_and_b32_e32 v93, 0xffff, v5
	v_lshrrev_b32_e32 v94, 16, v6
	v_lshrrev_b32_e32 v95, 16, v7
	v_and_b32_e32 v96, 0xffff, v6
	v_and_b32_e32 v97, 0xffff, v7
	ds_load_2addr_b64 v[4:7], v61 offset1:32
	v_mul_u32_u24_e32 v91, 0x10001, v91
	v_mul_u32_u24_e32 v90, 0x10001, v90
	s_wait_dscnt 0x0
	s_delay_alu instid0(VALU_DEP_2)
	v_pk_fma_f16 v69, v4, v91, v69
	v_pk_fma_f16 v67, v5, v91, v67
	v_mul_u32_u24_e32 v91, 0x10001, v92
	v_pk_fma_f16 v71, v5, v90, v71
	v_pk_fma_f16 v66, v4, v90, v66
	v_mul_u32_u24_e32 v90, 0x10001, v93
	s_delay_alu instid0(VALU_DEP_4) | instskip(SKIP_1) | instid1(VALU_DEP_3)
	v_pk_fma_f16 v68, v4, v91, v68
	v_pk_fma_f16 v72, v5, v91, v72
	v_pk_fma_f16 v4, v4, v90, v70
	v_mul_u32_u24_e32 v70, 0x10001, v95
	v_pk_fma_f16 v5, v5, v90, v73
	s_delay_alu instid0(VALU_DEP_2) | instskip(SKIP_2) | instid1(VALU_DEP_1)
	v_pk_fma_f16 v69, v6, v70, v69
	v_pk_fma_f16 v67, v7, v70, v67
	v_mul_u32_u24_e32 v70, 0x10001, v96
	v_pk_fma_f16 v72, v7, v70, v72
	v_pk_fma_f16 v68, v6, v70, v68
	v_mul_u32_u24_e32 v70, 0x10001, v94
	s_delay_alu instid0(VALU_DEP_1) | instskip(SKIP_2) | instid1(VALU_DEP_1)
	v_pk_fma_f16 v71, v7, v70, v71
	v_pk_fma_f16 v66, v6, v70, v66
	v_mul_u32_u24_e32 v70, 0x10001, v97
	v_pk_fma_f16 v73, v7, v70, v5
	v_pk_fma_f16 v70, v6, v70, v4
	ds_load_b128 v[4:7], v52 offset:720
	s_wait_dscnt 0x0
	v_lshrrev_b32_e32 v90, 16, v4
	v_lshrrev_b32_e32 v91, 16, v5
	v_and_b32_e32 v92, 0xffff, v4
	v_and_b32_e32 v93, 0xffff, v5
	v_lshrrev_b32_e32 v94, 16, v6
	v_lshrrev_b32_e32 v95, 16, v7
	v_and_b32_e32 v96, 0xffff, v6
	v_and_b32_e32 v97, 0xffff, v7
	ds_load_2addr_b64 v[4:7], v61 offset0:64 offset1:96
	v_mul_u32_u24_e32 v91, 0x10001, v91
	v_mul_u32_u24_e32 v90, 0x10001, v90
	s_wait_dscnt 0x0
	s_delay_alu instid0(VALU_DEP_2)
	v_pk_fma_f16 v69, v4, v91, v69
	v_pk_fma_f16 v67, v5, v91, v67
	v_mul_u32_u24_e32 v91, 0x10001, v92
	v_pk_fma_f16 v71, v5, v90, v71
	v_pk_fma_f16 v66, v4, v90, v66
	v_mul_u32_u24_e32 v90, 0x10001, v93
	s_delay_alu instid0(VALU_DEP_4) | instskip(SKIP_1) | instid1(VALU_DEP_3)
	v_pk_fma_f16 v68, v4, v91, v68
	v_pk_fma_f16 v72, v5, v91, v72
	v_pk_fma_f16 v4, v4, v90, v70
	v_mul_u32_u24_e32 v70, 0x10001, v95
	v_pk_fma_f16 v5, v5, v90, v73
	s_delay_alu instid0(VALU_DEP_2) | instskip(SKIP_2) | instid1(VALU_DEP_1)
	v_pk_fma_f16 v69, v6, v70, v69
	v_pk_fma_f16 v67, v7, v70, v67
	v_mul_u32_u24_e32 v70, 0x10001, v96
	v_pk_fma_f16 v72, v7, v70, v72
	v_pk_fma_f16 v68, v6, v70, v68
	v_mul_u32_u24_e32 v70, 0x10001, v94
	s_delay_alu instid0(VALU_DEP_1) | instskip(SKIP_2) | instid1(VALU_DEP_1)
	v_pk_fma_f16 v71, v7, v70, v71
	v_pk_fma_f16 v66, v6, v70, v66
	v_mul_u32_u24_e32 v70, 0x10001, v97
	v_pk_fma_f16 v73, v7, v70, v5
	v_pk_fma_f16 v70, v6, v70, v4
	ds_load_b128 v[4:7], v52 offset:736
	s_wait_dscnt 0x0
	v_lshrrev_b32_e32 v90, 16, v4
	v_lshrrev_b32_e32 v91, 16, v5
	v_and_b32_e32 v92, 0xffff, v4
	v_and_b32_e32 v93, 0xffff, v5
	v_lshrrev_b32_e32 v94, 16, v6
	v_lshrrev_b32_e32 v95, 16, v7
	v_and_b32_e32 v96, 0xffff, v6
	v_and_b32_e32 v97, 0xffff, v7
	ds_load_2addr_b64 v[4:7], v61 offset0:128 offset1:160
	;; [unrolled: 40-line block ×3, first 2 shown]
	v_mul_u32_u24_e32 v91, 0x10001, v91
	v_mul_u32_u24_e32 v90, 0x10001, v90
	s_wait_dscnt 0x0
	s_delay_alu instid0(VALU_DEP_2)
	v_pk_fma_f16 v69, v4, v91, v69
	v_pk_fma_f16 v67, v5, v91, v67
	v_mul_u32_u24_e32 v91, 0x10001, v92
	v_pk_fma_f16 v71, v5, v90, v71
	v_pk_fma_f16 v66, v4, v90, v66
	v_mul_u32_u24_e32 v90, 0x10001, v93
	s_delay_alu instid0(VALU_DEP_4) | instskip(SKIP_1) | instid1(VALU_DEP_3)
	v_pk_fma_f16 v68, v4, v91, v68
	v_pk_fma_f16 v72, v5, v91, v72
	;; [unrolled: 1-line block ×3, first 2 shown]
	v_mul_u32_u24_e32 v70, 0x10001, v95
	v_pk_fma_f16 v5, v5, v90, v73
	s_delay_alu instid0(VALU_DEP_2) | instskip(SKIP_2) | instid1(VALU_DEP_1)
	v_pk_fma_f16 v69, v6, v70, v69
	v_pk_fma_f16 v67, v7, v70, v67
	v_mul_u32_u24_e32 v70, 0x10001, v96
	v_pk_fma_f16 v72, v7, v70, v72
	v_pk_fma_f16 v68, v6, v70, v68
	v_mul_u32_u24_e32 v70, 0x10001, v94
	s_delay_alu instid0(VALU_DEP_1) | instskip(SKIP_2) | instid1(VALU_DEP_1)
	v_pk_fma_f16 v71, v7, v70, v71
	v_pk_fma_f16 v66, v6, v70, v66
	v_mul_u32_u24_e32 v70, 0x10001, v97
	v_pk_fma_f16 v73, v7, v70, v5
	v_pk_fma_f16 v70, v6, v70, v4
	ds_load_b128 v[4:7], v52 offset:768
	s_wait_dscnt 0x0
	v_lshrrev_b32_e32 v90, 16, v4
	v_lshrrev_b32_e32 v91, 16, v5
	v_and_b32_e32 v92, 0xffff, v4
	v_and_b32_e32 v93, 0xffff, v5
	v_lshrrev_b32_e32 v94, 16, v6
	v_lshrrev_b32_e32 v95, 16, v7
	v_and_b32_e32 v96, 0xffff, v6
	v_and_b32_e32 v97, 0xffff, v7
	ds_load_2addr_b64 v[4:7], v62 offset1:32
	v_mul_u32_u24_e32 v91, 0x10001, v91
	v_mul_u32_u24_e32 v90, 0x10001, v90
	s_wait_dscnt 0x0
	s_delay_alu instid0(VALU_DEP_2)
	v_pk_fma_f16 v69, v4, v91, v69
	v_pk_fma_f16 v67, v5, v91, v67
	v_mul_u32_u24_e32 v91, 0x10001, v92
	v_pk_fma_f16 v71, v5, v90, v71
	v_pk_fma_f16 v66, v4, v90, v66
	v_mul_u32_u24_e32 v90, 0x10001, v93
	s_delay_alu instid0(VALU_DEP_4) | instskip(SKIP_1) | instid1(VALU_DEP_3)
	v_pk_fma_f16 v68, v4, v91, v68
	v_pk_fma_f16 v72, v5, v91, v72
	v_pk_fma_f16 v4, v4, v90, v70
	v_mul_u32_u24_e32 v70, 0x10001, v95
	v_pk_fma_f16 v5, v5, v90, v73
	s_delay_alu instid0(VALU_DEP_2) | instskip(SKIP_2) | instid1(VALU_DEP_1)
	v_pk_fma_f16 v69, v6, v70, v69
	v_pk_fma_f16 v67, v7, v70, v67
	v_mul_u32_u24_e32 v70, 0x10001, v96
	v_pk_fma_f16 v72, v7, v70, v72
	v_pk_fma_f16 v68, v6, v70, v68
	v_mul_u32_u24_e32 v70, 0x10001, v94
	s_delay_alu instid0(VALU_DEP_1) | instskip(SKIP_2) | instid1(VALU_DEP_1)
	v_pk_fma_f16 v71, v7, v70, v71
	v_pk_fma_f16 v66, v6, v70, v66
	v_mul_u32_u24_e32 v70, 0x10001, v97
	v_pk_fma_f16 v73, v7, v70, v5
	v_pk_fma_f16 v70, v6, v70, v4
	ds_load_b128 v[4:7], v52 offset:784
	s_wait_dscnt 0x0
	v_lshrrev_b32_e32 v90, 16, v4
	v_lshrrev_b32_e32 v91, 16, v5
	v_and_b32_e32 v92, 0xffff, v4
	v_and_b32_e32 v93, 0xffff, v5
	v_lshrrev_b32_e32 v94, 16, v6
	v_lshrrev_b32_e32 v95, 16, v7
	v_and_b32_e32 v96, 0xffff, v6
	v_and_b32_e32 v97, 0xffff, v7
	ds_load_2addr_b64 v[4:7], v62 offset0:64 offset1:96
	v_mul_u32_u24_e32 v91, 0x10001, v91
	v_mul_u32_u24_e32 v90, 0x10001, v90
	s_wait_dscnt 0x0
	s_delay_alu instid0(VALU_DEP_2)
	v_pk_fma_f16 v69, v4, v91, v69
	v_pk_fma_f16 v67, v5, v91, v67
	v_mul_u32_u24_e32 v91, 0x10001, v92
	v_pk_fma_f16 v71, v5, v90, v71
	v_pk_fma_f16 v66, v4, v90, v66
	v_mul_u32_u24_e32 v90, 0x10001, v93
	s_delay_alu instid0(VALU_DEP_4) | instskip(SKIP_1) | instid1(VALU_DEP_3)
	v_pk_fma_f16 v68, v4, v91, v68
	v_pk_fma_f16 v72, v5, v91, v72
	v_pk_fma_f16 v4, v4, v90, v70
	v_mul_u32_u24_e32 v70, 0x10001, v95
	v_pk_fma_f16 v5, v5, v90, v73
	s_delay_alu instid0(VALU_DEP_2) | instskip(SKIP_2) | instid1(VALU_DEP_1)
	v_pk_fma_f16 v69, v6, v70, v69
	v_pk_fma_f16 v67, v7, v70, v67
	v_mul_u32_u24_e32 v70, 0x10001, v96
	v_pk_fma_f16 v72, v7, v70, v72
	v_pk_fma_f16 v68, v6, v70, v68
	v_mul_u32_u24_e32 v70, 0x10001, v94
	s_delay_alu instid0(VALU_DEP_1) | instskip(SKIP_2) | instid1(VALU_DEP_1)
	v_pk_fma_f16 v71, v7, v70, v71
	v_pk_fma_f16 v66, v6, v70, v66
	v_mul_u32_u24_e32 v70, 0x10001, v97
	v_pk_fma_f16 v73, v7, v70, v5
	v_pk_fma_f16 v70, v6, v70, v4
	ds_load_b128 v[4:7], v52 offset:800
	s_wait_dscnt 0x0
	v_lshrrev_b32_e32 v90, 16, v4
	v_lshrrev_b32_e32 v91, 16, v5
	v_and_b32_e32 v92, 0xffff, v4
	v_and_b32_e32 v93, 0xffff, v5
	v_lshrrev_b32_e32 v94, 16, v6
	v_lshrrev_b32_e32 v95, 16, v7
	v_and_b32_e32 v96, 0xffff, v6
	v_and_b32_e32 v97, 0xffff, v7
	ds_load_2addr_b64 v[4:7], v62 offset0:128 offset1:160
	;; [unrolled: 40-line block ×3, first 2 shown]
	v_mul_u32_u24_e32 v91, 0x10001, v91
	v_mul_u32_u24_e32 v90, 0x10001, v90
	s_wait_dscnt 0x0
	s_delay_alu instid0(VALU_DEP_2)
	v_pk_fma_f16 v69, v4, v91, v69
	v_pk_fma_f16 v67, v5, v91, v67
	v_mul_u32_u24_e32 v91, 0x10001, v92
	v_pk_fma_f16 v71, v5, v90, v71
	v_pk_fma_f16 v66, v4, v90, v66
	v_mul_u32_u24_e32 v90, 0x10001, v93
	s_delay_alu instid0(VALU_DEP_4) | instskip(SKIP_1) | instid1(VALU_DEP_3)
	v_pk_fma_f16 v68, v4, v91, v68
	v_pk_fma_f16 v72, v5, v91, v72
	;; [unrolled: 1-line block ×3, first 2 shown]
	v_mul_u32_u24_e32 v70, 0x10001, v95
	v_pk_fma_f16 v5, v5, v90, v73
	s_delay_alu instid0(VALU_DEP_2) | instskip(SKIP_2) | instid1(VALU_DEP_1)
	v_pk_fma_f16 v69, v6, v70, v69
	v_pk_fma_f16 v67, v7, v70, v67
	v_mul_u32_u24_e32 v70, 0x10001, v96
	v_pk_fma_f16 v72, v7, v70, v72
	v_pk_fma_f16 v68, v6, v70, v68
	v_mul_u32_u24_e32 v70, 0x10001, v94
	s_delay_alu instid0(VALU_DEP_1) | instskip(SKIP_2) | instid1(VALU_DEP_1)
	v_pk_fma_f16 v71, v7, v70, v71
	v_pk_fma_f16 v66, v6, v70, v66
	v_mul_u32_u24_e32 v70, 0x10001, v97
	v_pk_fma_f16 v73, v7, v70, v5
	v_pk_fma_f16 v70, v6, v70, v4
	ds_load_b128 v[4:7], v52 offset:832
	s_wait_dscnt 0x0
	v_lshrrev_b32_e32 v90, 16, v4
	v_lshrrev_b32_e32 v91, 16, v5
	v_and_b32_e32 v92, 0xffff, v4
	v_and_b32_e32 v93, 0xffff, v5
	v_lshrrev_b32_e32 v94, 16, v6
	v_lshrrev_b32_e32 v95, 16, v7
	v_and_b32_e32 v96, 0xffff, v6
	v_and_b32_e32 v97, 0xffff, v7
	ds_load_2addr_b64 v[4:7], v63 offset1:32
	v_mul_u32_u24_e32 v91, 0x10001, v91
	v_mul_u32_u24_e32 v90, 0x10001, v90
	s_wait_dscnt 0x0
	s_delay_alu instid0(VALU_DEP_2)
	v_pk_fma_f16 v69, v4, v91, v69
	v_pk_fma_f16 v67, v5, v91, v67
	v_mul_u32_u24_e32 v91, 0x10001, v92
	v_pk_fma_f16 v71, v5, v90, v71
	v_pk_fma_f16 v66, v4, v90, v66
	v_mul_u32_u24_e32 v90, 0x10001, v93
	s_delay_alu instid0(VALU_DEP_4) | instskip(SKIP_1) | instid1(VALU_DEP_3)
	v_pk_fma_f16 v68, v4, v91, v68
	v_pk_fma_f16 v72, v5, v91, v72
	v_pk_fma_f16 v4, v4, v90, v70
	v_mul_u32_u24_e32 v70, 0x10001, v95
	v_pk_fma_f16 v5, v5, v90, v73
	s_delay_alu instid0(VALU_DEP_2) | instskip(SKIP_2) | instid1(VALU_DEP_1)
	v_pk_fma_f16 v69, v6, v70, v69
	v_pk_fma_f16 v67, v7, v70, v67
	v_mul_u32_u24_e32 v70, 0x10001, v96
	v_pk_fma_f16 v72, v7, v70, v72
	v_pk_fma_f16 v68, v6, v70, v68
	v_mul_u32_u24_e32 v70, 0x10001, v94
	s_delay_alu instid0(VALU_DEP_1) | instskip(SKIP_2) | instid1(VALU_DEP_1)
	v_pk_fma_f16 v71, v7, v70, v71
	v_pk_fma_f16 v66, v6, v70, v66
	v_mul_u32_u24_e32 v70, 0x10001, v97
	v_pk_fma_f16 v73, v7, v70, v5
	v_pk_fma_f16 v70, v6, v70, v4
	ds_load_b128 v[4:7], v52 offset:848
	s_wait_dscnt 0x0
	v_lshrrev_b32_e32 v90, 16, v4
	v_lshrrev_b32_e32 v91, 16, v5
	v_and_b32_e32 v92, 0xffff, v4
	v_and_b32_e32 v93, 0xffff, v5
	v_lshrrev_b32_e32 v94, 16, v6
	v_lshrrev_b32_e32 v95, 16, v7
	v_and_b32_e32 v96, 0xffff, v6
	v_and_b32_e32 v97, 0xffff, v7
	ds_load_2addr_b64 v[4:7], v63 offset0:64 offset1:96
	v_mul_u32_u24_e32 v91, 0x10001, v91
	v_mul_u32_u24_e32 v90, 0x10001, v90
	s_wait_dscnt 0x0
	s_delay_alu instid0(VALU_DEP_2)
	v_pk_fma_f16 v69, v4, v91, v69
	v_pk_fma_f16 v67, v5, v91, v67
	v_mul_u32_u24_e32 v91, 0x10001, v92
	v_pk_fma_f16 v71, v5, v90, v71
	v_pk_fma_f16 v66, v4, v90, v66
	v_mul_u32_u24_e32 v90, 0x10001, v93
	s_delay_alu instid0(VALU_DEP_4) | instskip(SKIP_1) | instid1(VALU_DEP_3)
	v_pk_fma_f16 v68, v4, v91, v68
	v_pk_fma_f16 v72, v5, v91, v72
	v_pk_fma_f16 v4, v4, v90, v70
	v_mul_u32_u24_e32 v70, 0x10001, v95
	v_pk_fma_f16 v5, v5, v90, v73
	s_delay_alu instid0(VALU_DEP_2) | instskip(SKIP_2) | instid1(VALU_DEP_1)
	v_pk_fma_f16 v69, v6, v70, v69
	v_pk_fma_f16 v67, v7, v70, v67
	v_mul_u32_u24_e32 v70, 0x10001, v96
	v_pk_fma_f16 v72, v7, v70, v72
	v_pk_fma_f16 v68, v6, v70, v68
	v_mul_u32_u24_e32 v70, 0x10001, v94
	s_delay_alu instid0(VALU_DEP_1) | instskip(SKIP_2) | instid1(VALU_DEP_1)
	v_pk_fma_f16 v71, v7, v70, v71
	v_pk_fma_f16 v66, v6, v70, v66
	v_mul_u32_u24_e32 v70, 0x10001, v97
	v_pk_fma_f16 v73, v7, v70, v5
	v_pk_fma_f16 v70, v6, v70, v4
	ds_load_b128 v[4:7], v52 offset:864
	s_wait_dscnt 0x0
	v_lshrrev_b32_e32 v90, 16, v4
	v_lshrrev_b32_e32 v91, 16, v5
	v_and_b32_e32 v92, 0xffff, v4
	v_and_b32_e32 v93, 0xffff, v5
	v_lshrrev_b32_e32 v94, 16, v6
	v_lshrrev_b32_e32 v95, 16, v7
	v_and_b32_e32 v96, 0xffff, v6
	v_and_b32_e32 v97, 0xffff, v7
	ds_load_2addr_b64 v[4:7], v63 offset0:128 offset1:160
	;; [unrolled: 40-line block ×3, first 2 shown]
	v_mul_u32_u24_e32 v91, 0x10001, v91
	v_mul_u32_u24_e32 v90, 0x10001, v90
	s_wait_dscnt 0x0
	s_delay_alu instid0(VALU_DEP_2)
	v_pk_fma_f16 v69, v4, v91, v69
	v_pk_fma_f16 v67, v5, v91, v67
	v_mul_u32_u24_e32 v91, 0x10001, v92
	v_pk_fma_f16 v71, v5, v90, v71
	v_pk_fma_f16 v66, v4, v90, v66
	v_mul_u32_u24_e32 v90, 0x10001, v93
	s_delay_alu instid0(VALU_DEP_4) | instskip(SKIP_1) | instid1(VALU_DEP_3)
	v_pk_fma_f16 v68, v4, v91, v68
	v_pk_fma_f16 v72, v5, v91, v72
	;; [unrolled: 1-line block ×3, first 2 shown]
	v_mul_u32_u24_e32 v70, 0x10001, v95
	v_pk_fma_f16 v5, v5, v90, v73
	s_delay_alu instid0(VALU_DEP_2) | instskip(SKIP_2) | instid1(VALU_DEP_1)
	v_pk_fma_f16 v69, v6, v70, v69
	v_pk_fma_f16 v67, v7, v70, v67
	v_mul_u32_u24_e32 v70, 0x10001, v96
	v_pk_fma_f16 v72, v7, v70, v72
	v_pk_fma_f16 v68, v6, v70, v68
	v_mul_u32_u24_e32 v70, 0x10001, v94
	s_delay_alu instid0(VALU_DEP_1) | instskip(SKIP_2) | instid1(VALU_DEP_1)
	v_pk_fma_f16 v71, v7, v70, v71
	v_pk_fma_f16 v66, v6, v70, v66
	v_mul_u32_u24_e32 v70, 0x10001, v97
	v_pk_fma_f16 v73, v7, v70, v5
	v_pk_fma_f16 v70, v6, v70, v4
	ds_load_b128 v[4:7], v52 offset:896
	s_wait_dscnt 0x0
	v_lshrrev_b32_e32 v90, 16, v4
	v_lshrrev_b32_e32 v91, 16, v5
	v_and_b32_e32 v92, 0xffff, v4
	v_and_b32_e32 v93, 0xffff, v5
	v_lshrrev_b32_e32 v94, 16, v6
	v_lshrrev_b32_e32 v95, 16, v7
	v_and_b32_e32 v96, 0xffff, v6
	v_and_b32_e32 v97, 0xffff, v7
	ds_load_2addr_b64 v[4:7], v64 offset1:32
	v_mul_u32_u24_e32 v91, 0x10001, v91
	v_mul_u32_u24_e32 v90, 0x10001, v90
	s_wait_dscnt 0x0
	s_delay_alu instid0(VALU_DEP_2)
	v_pk_fma_f16 v69, v4, v91, v69
	v_pk_fma_f16 v67, v5, v91, v67
	v_mul_u32_u24_e32 v91, 0x10001, v92
	v_pk_fma_f16 v71, v5, v90, v71
	v_pk_fma_f16 v66, v4, v90, v66
	v_mul_u32_u24_e32 v90, 0x10001, v93
	s_delay_alu instid0(VALU_DEP_4) | instskip(SKIP_1) | instid1(VALU_DEP_3)
	v_pk_fma_f16 v68, v4, v91, v68
	v_pk_fma_f16 v72, v5, v91, v72
	v_pk_fma_f16 v4, v4, v90, v70
	v_mul_u32_u24_e32 v70, 0x10001, v95
	v_pk_fma_f16 v5, v5, v90, v73
	s_delay_alu instid0(VALU_DEP_2) | instskip(SKIP_2) | instid1(VALU_DEP_1)
	v_pk_fma_f16 v69, v6, v70, v69
	v_pk_fma_f16 v67, v7, v70, v67
	v_mul_u32_u24_e32 v70, 0x10001, v96
	v_pk_fma_f16 v72, v7, v70, v72
	v_pk_fma_f16 v68, v6, v70, v68
	v_mul_u32_u24_e32 v70, 0x10001, v94
	s_delay_alu instid0(VALU_DEP_1) | instskip(SKIP_2) | instid1(VALU_DEP_1)
	v_pk_fma_f16 v71, v7, v70, v71
	v_pk_fma_f16 v66, v6, v70, v66
	v_mul_u32_u24_e32 v70, 0x10001, v97
	v_pk_fma_f16 v73, v7, v70, v5
	v_pk_fma_f16 v70, v6, v70, v4
	ds_load_b128 v[4:7], v52 offset:912
	s_wait_dscnt 0x0
	v_lshrrev_b32_e32 v90, 16, v4
	v_lshrrev_b32_e32 v91, 16, v5
	v_and_b32_e32 v92, 0xffff, v4
	v_and_b32_e32 v93, 0xffff, v5
	v_lshrrev_b32_e32 v94, 16, v6
	v_lshrrev_b32_e32 v95, 16, v7
	v_and_b32_e32 v96, 0xffff, v6
	v_and_b32_e32 v97, 0xffff, v7
	ds_load_2addr_b64 v[4:7], v64 offset0:64 offset1:96
	v_mul_u32_u24_e32 v91, 0x10001, v91
	v_mul_u32_u24_e32 v90, 0x10001, v90
	s_wait_dscnt 0x0
	s_delay_alu instid0(VALU_DEP_2)
	v_pk_fma_f16 v69, v4, v91, v69
	v_pk_fma_f16 v67, v5, v91, v67
	v_mul_u32_u24_e32 v91, 0x10001, v92
	v_pk_fma_f16 v71, v5, v90, v71
	v_pk_fma_f16 v66, v4, v90, v66
	v_mul_u32_u24_e32 v90, 0x10001, v93
	s_delay_alu instid0(VALU_DEP_4) | instskip(SKIP_1) | instid1(VALU_DEP_3)
	v_pk_fma_f16 v68, v4, v91, v68
	v_pk_fma_f16 v72, v5, v91, v72
	v_pk_fma_f16 v4, v4, v90, v70
	v_mul_u32_u24_e32 v70, 0x10001, v95
	v_pk_fma_f16 v5, v5, v90, v73
	s_delay_alu instid0(VALU_DEP_2) | instskip(SKIP_2) | instid1(VALU_DEP_1)
	v_pk_fma_f16 v69, v6, v70, v69
	v_pk_fma_f16 v67, v7, v70, v67
	v_mul_u32_u24_e32 v70, 0x10001, v96
	v_pk_fma_f16 v72, v7, v70, v72
	v_pk_fma_f16 v68, v6, v70, v68
	v_mul_u32_u24_e32 v70, 0x10001, v94
	s_delay_alu instid0(VALU_DEP_1) | instskip(SKIP_2) | instid1(VALU_DEP_1)
	v_pk_fma_f16 v71, v7, v70, v71
	v_pk_fma_f16 v66, v6, v70, v66
	v_mul_u32_u24_e32 v70, 0x10001, v97
	v_pk_fma_f16 v73, v7, v70, v5
	v_pk_fma_f16 v70, v6, v70, v4
	ds_load_b128 v[4:7], v52 offset:928
	s_wait_dscnt 0x0
	v_lshrrev_b32_e32 v90, 16, v4
	v_lshrrev_b32_e32 v91, 16, v5
	v_and_b32_e32 v92, 0xffff, v4
	v_and_b32_e32 v93, 0xffff, v5
	v_lshrrev_b32_e32 v94, 16, v6
	v_lshrrev_b32_e32 v95, 16, v7
	v_and_b32_e32 v96, 0xffff, v6
	v_and_b32_e32 v97, 0xffff, v7
	ds_load_2addr_b64 v[4:7], v64 offset0:128 offset1:160
	;; [unrolled: 40-line block ×3, first 2 shown]
	v_mul_u32_u24_e32 v91, 0x10001, v91
	v_mul_u32_u24_e32 v90, 0x10001, v90
	s_wait_dscnt 0x0
	s_delay_alu instid0(VALU_DEP_2)
	v_pk_fma_f16 v69, v4, v91, v69
	v_pk_fma_f16 v67, v5, v91, v67
	v_mul_u32_u24_e32 v91, 0x10001, v92
	v_pk_fma_f16 v71, v5, v90, v71
	v_pk_fma_f16 v66, v4, v90, v66
	v_mul_u32_u24_e32 v90, 0x10001, v93
	s_delay_alu instid0(VALU_DEP_4) | instskip(SKIP_1) | instid1(VALU_DEP_3)
	v_pk_fma_f16 v68, v4, v91, v68
	v_pk_fma_f16 v72, v5, v91, v72
	;; [unrolled: 1-line block ×3, first 2 shown]
	v_mul_u32_u24_e32 v70, 0x10001, v95
	v_pk_fma_f16 v5, v5, v90, v73
	s_delay_alu instid0(VALU_DEP_2) | instskip(SKIP_2) | instid1(VALU_DEP_1)
	v_pk_fma_f16 v69, v6, v70, v69
	v_pk_fma_f16 v67, v7, v70, v67
	v_mul_u32_u24_e32 v70, 0x10001, v96
	v_pk_fma_f16 v72, v7, v70, v72
	v_pk_fma_f16 v68, v6, v70, v68
	v_mul_u32_u24_e32 v70, 0x10001, v94
	s_delay_alu instid0(VALU_DEP_1) | instskip(SKIP_2) | instid1(VALU_DEP_1)
	v_pk_fma_f16 v71, v7, v70, v71
	v_pk_fma_f16 v66, v6, v70, v66
	v_mul_u32_u24_e32 v70, 0x10001, v97
	v_pk_fma_f16 v73, v7, v70, v5
	v_pk_fma_f16 v70, v6, v70, v4
	ds_load_b128 v[4:7], v52 offset:960
	s_wait_dscnt 0x0
	v_lshrrev_b32_e32 v90, 16, v4
	v_lshrrev_b32_e32 v91, 16, v5
	v_and_b32_e32 v92, 0xffff, v4
	v_and_b32_e32 v93, 0xffff, v5
	v_lshrrev_b32_e32 v94, 16, v6
	v_lshrrev_b32_e32 v95, 16, v7
	v_and_b32_e32 v96, 0xffff, v6
	v_and_b32_e32 v97, 0xffff, v7
	ds_load_2addr_b64 v[4:7], v65 offset1:32
	v_mul_u32_u24_e32 v91, 0x10001, v91
	v_mul_u32_u24_e32 v90, 0x10001, v90
	s_wait_dscnt 0x0
	s_delay_alu instid0(VALU_DEP_2)
	v_pk_fma_f16 v69, v4, v91, v69
	v_pk_fma_f16 v67, v5, v91, v67
	v_mul_u32_u24_e32 v91, 0x10001, v92
	v_pk_fma_f16 v71, v5, v90, v71
	v_pk_fma_f16 v66, v4, v90, v66
	v_mul_u32_u24_e32 v90, 0x10001, v93
	s_delay_alu instid0(VALU_DEP_4) | instskip(SKIP_1) | instid1(VALU_DEP_3)
	v_pk_fma_f16 v68, v4, v91, v68
	v_pk_fma_f16 v72, v5, v91, v72
	v_pk_fma_f16 v4, v4, v90, v70
	v_mul_u32_u24_e32 v70, 0x10001, v95
	v_pk_fma_f16 v5, v5, v90, v73
	s_delay_alu instid0(VALU_DEP_2) | instskip(SKIP_2) | instid1(VALU_DEP_1)
	v_pk_fma_f16 v69, v6, v70, v69
	v_pk_fma_f16 v67, v7, v70, v67
	v_mul_u32_u24_e32 v70, 0x10001, v96
	v_pk_fma_f16 v72, v7, v70, v72
	v_pk_fma_f16 v68, v6, v70, v68
	v_mul_u32_u24_e32 v70, 0x10001, v94
	s_delay_alu instid0(VALU_DEP_1) | instskip(SKIP_2) | instid1(VALU_DEP_1)
	v_pk_fma_f16 v71, v7, v70, v71
	v_pk_fma_f16 v66, v6, v70, v66
	v_mul_u32_u24_e32 v70, 0x10001, v97
	v_pk_fma_f16 v73, v7, v70, v5
	v_pk_fma_f16 v70, v6, v70, v4
	ds_load_b128 v[4:7], v52 offset:976
	s_wait_dscnt 0x0
	v_lshrrev_b32_e32 v90, 16, v4
	v_lshrrev_b32_e32 v91, 16, v5
	v_and_b32_e32 v92, 0xffff, v4
	v_and_b32_e32 v93, 0xffff, v5
	v_lshrrev_b32_e32 v94, 16, v6
	v_lshrrev_b32_e32 v95, 16, v7
	v_and_b32_e32 v96, 0xffff, v6
	v_and_b32_e32 v97, 0xffff, v7
	ds_load_2addr_b64 v[4:7], v65 offset0:64 offset1:96
	v_mul_u32_u24_e32 v91, 0x10001, v91
	v_mul_u32_u24_e32 v90, 0x10001, v90
	s_wait_dscnt 0x0
	s_delay_alu instid0(VALU_DEP_2)
	v_pk_fma_f16 v69, v4, v91, v69
	v_pk_fma_f16 v67, v5, v91, v67
	v_mul_u32_u24_e32 v91, 0x10001, v92
	v_pk_fma_f16 v71, v5, v90, v71
	v_pk_fma_f16 v66, v4, v90, v66
	v_mul_u32_u24_e32 v90, 0x10001, v93
	s_delay_alu instid0(VALU_DEP_4) | instskip(SKIP_1) | instid1(VALU_DEP_3)
	v_pk_fma_f16 v68, v4, v91, v68
	v_pk_fma_f16 v72, v5, v91, v72
	v_pk_fma_f16 v4, v4, v90, v70
	v_mul_u32_u24_e32 v70, 0x10001, v95
	v_pk_fma_f16 v5, v5, v90, v73
	s_delay_alu instid0(VALU_DEP_2) | instskip(SKIP_2) | instid1(VALU_DEP_1)
	v_pk_fma_f16 v69, v6, v70, v69
	v_pk_fma_f16 v67, v7, v70, v67
	v_mul_u32_u24_e32 v70, 0x10001, v96
	v_pk_fma_f16 v72, v7, v70, v72
	v_pk_fma_f16 v68, v6, v70, v68
	v_mul_u32_u24_e32 v70, 0x10001, v94
	s_delay_alu instid0(VALU_DEP_1) | instskip(SKIP_2) | instid1(VALU_DEP_1)
	v_pk_fma_f16 v71, v7, v70, v71
	v_pk_fma_f16 v66, v6, v70, v66
	v_mul_u32_u24_e32 v70, 0x10001, v97
	v_pk_fma_f16 v73, v7, v70, v5
	v_pk_fma_f16 v70, v6, v70, v4
	ds_load_b128 v[4:7], v52 offset:992
	s_wait_dscnt 0x0
	v_lshrrev_b32_e32 v90, 16, v4
	v_lshrrev_b32_e32 v91, 16, v5
	v_and_b32_e32 v92, 0xffff, v4
	v_and_b32_e32 v93, 0xffff, v5
	v_lshrrev_b32_e32 v94, 16, v6
	v_lshrrev_b32_e32 v95, 16, v7
	v_and_b32_e32 v96, 0xffff, v6
	v_and_b32_e32 v97, 0xffff, v7
	ds_load_2addr_b64 v[4:7], v65 offset0:128 offset1:160
	;; [unrolled: 40-line block ×3, first 2 shown]
	v_mul_u32_u24_e32 v91, 0x10001, v91
	s_wait_loadcnt_dscnt 0x0
	s_barrier_signal -1
	s_barrier_wait -1
	global_inv scope:SCOPE_SE
	s_load_b32 s2, s[38:39], 0x4
	v_pk_fma_f16 v69, v4, v91, v69
	v_pk_fma_f16 v91, v5, v91, v67
	v_mul_u32_u24_e32 v67, 0x10001, v92
	s_wait_kmcnt 0x0
	s_lshl_b32 s2, s2, 7
	s_delay_alu instid0(VALU_DEP_1)
	v_pk_fma_f16 v72, v5, v67, v72
	v_pk_fma_f16 v68, v4, v67, v68
	v_mul_u32_u24_e32 v67, 0x10001, v90
	s_wait_alu 0xfffe
	s_add_co_i32 s14, s2, s14
	s_wait_alu 0xfffe
	s_cmp_ge_i32 s14, s30
	v_pk_fma_f16 v90, v4, v67, v66
	v_mul_u32_u24_e32 v66, 0x10001, v93
	v_pk_fma_f16 v71, v5, v67, v71
	s_delay_alu instid0(VALU_DEP_2) | instskip(SKIP_2) | instid1(VALU_DEP_1)
	v_pk_fma_f16 v5, v5, v66, v73
	v_pk_fma_f16 v4, v4, v66, v70
	v_mul_u32_u24_e32 v66, 0x10001, v95
	v_pk_fma_f16 v67, v6, v66, v69
	v_mul_u32_u24_e32 v69, 0x10001, v96
	v_pk_fma_f16 v66, v7, v66, v91
	s_delay_alu instid0(VALU_DEP_2) | instskip(SKIP_3) | instid1(VALU_DEP_2)
	v_pk_fma_f16 v73, v7, v69, v72
	v_pk_fma_f16 v72, v6, v69, v68
	v_mul_u32_u24_e32 v68, 0x10001, v94
	v_mul_u32_u24_e32 v69, 0x10001, v97
	v_pk_fma_f16 v70, v7, v68, v71
	v_pk_fma_f16 v71, v6, v68, v90
	s_delay_alu instid0(VALU_DEP_3) | instskip(SKIP_2) | instid1(VALU_DEP_1)
	v_pk_fma_f16 v68, v7, v69, v5
	v_pk_fma_f16 v69, v6, v69, v4
	v_dual_add_f32 v4, v31, v77 :: v_dual_mov_b32 v5, v44
	v_add_f32_e32 v4, v81, v4
	s_delay_alu instid0(VALU_DEP_1) | instskip(SKIP_1) | instid1(VALU_DEP_2)
	v_add_f32_e32 v44, v85, v4
	v_add_f32_e32 v4, v30, v76
	v_fmac_f32_e32 v44, v5, v86
	s_delay_alu instid0(VALU_DEP_2) | instskip(NEXT) | instid1(VALU_DEP_1)
	v_dual_add_f32 v4, v80, v4 :: v_dual_mov_b32 v5, v43
	v_add_f32_e32 v43, v84, v4
	s_delay_alu instid0(VALU_DEP_1) | instskip(NEXT) | instid1(VALU_DEP_1)
	v_dual_add_f32 v4, v28, v75 :: v_dual_fmac_f32 v43, v5, v88
	v_dual_add_f32 v4, v79, v4 :: v_dual_mov_b32 v5, v42
	s_delay_alu instid0(VALU_DEP_1) | instskip(SKIP_1) | instid1(VALU_DEP_2)
	v_add_f32_e32 v42, v83, v4
	v_add_f32_e32 v4, v29, v74
	v_fmac_f32_e32 v42, v5, v89
	s_delay_alu instid0(VALU_DEP_2) | instskip(NEXT) | instid1(VALU_DEP_1)
	v_dual_add_f32 v4, v78, v4 :: v_dual_mov_b32 v5, v41
	v_add_f32_e32 v4, v82, v4
	s_delay_alu instid0(VALU_DEP_1) | instskip(NEXT) | instid1(VALU_DEP_1)
	v_mov_b32_e32 v41, v4
	v_fmac_f32_e32 v41, v5, v87
	s_cbranch_scc0 .LBB5_9
; %bb.10:
	v_mov_b32_e32 v4, v34
.LBB5_11:
	v_cmp_lt_i32_e32 vcc_lo, v40, v35
	s_cmp_lg_u64 s[12:13], 0
	s_cselect_b32 s2, -1, 0
	s_cmp_eq_u32 s10, 0
	s_wait_alu 0xfffd
	v_cndmask_b32_e32 v5, v4, v40, vcc_lo
	v_cmp_lt_i32_e32 vcc_lo, v39, v35
	s_cselect_b32 s3, -1, 0
	s_wait_alu 0xfffe
	s_and_b32 s2, s3, s2
	v_lshlrev_b32_e32 v5, 2, v5
	ds_bpermute_b32 v6, v5, v44
	s_wait_dscnt 0x0
	v_add_f32_e32 v6, v44, v6
	ds_bpermute_b32 v8, v5, v42
	s_wait_alu 0xfffd
	v_cndmask_b32_e32 v9, v4, v39, vcc_lo
	ds_bpermute_b32 v7, v5, v43
	ds_bpermute_b32 v5, v5, v41
	v_cmp_lt_i32_e32 vcc_lo, v38, v35
	s_wait_alu 0xfffd
	v_cndmask_b32_e32 v15, v4, v38, vcc_lo
	v_cmp_lt_i32_e32 vcc_lo, v37, v35
	s_wait_dscnt 0x2
	s_delay_alu instid0(VALU_DEP_2)
	v_dual_add_f32 v8, v42, v8 :: v_dual_lshlrev_b32 v15, 2, v15
	v_lshlrev_b32_e32 v9, 2, v9
	ds_bpermute_b32 v14, v9, v8
	s_wait_dscnt 0x0
	v_add_f32_e32 v8, v8, v14
	ds_bpermute_b32 v10, v9, v6
	s_wait_dscnt 0x0
	v_dual_add_f32 v5, v41, v5 :: v_dual_add_f32 v6, v6, v10
	v_add_f32_e32 v7, v43, v7
	ds_bpermute_b32 v11, v9, v7
	ds_bpermute_b32 v9, v9, v5
	s_wait_dscnt 0x0
	v_add_f32_e32 v5, v5, v9
	ds_bpermute_b32 v9, v15, v6
	ds_bpermute_b32 v14, v15, v5
	s_wait_dscnt 0x1
	v_dual_add_f32 v6, v6, v9 :: v_dual_add_f32 v7, v7, v11
	ds_bpermute_b32 v11, v15, v8
	ds_bpermute_b32 v10, v15, v7
	s_wait_alu 0xfffd
	v_cndmask_b32_e32 v15, v4, v37, vcc_lo
	v_cmp_lt_i32_e32 vcc_lo, v36, v35
	s_wait_alu 0xfffd
	s_delay_alu instid0(VALU_DEP_2)
	v_dual_cndmask_b32 v4, v4, v36 :: v_dual_lshlrev_b32 v15, 2, v15
	s_wait_alu 0xfffe
	s_and_b32 vcc_lo, exec_lo, s2
	ds_bpermute_b32 v9, v15, v6
	v_lshlrev_b32_e32 v4, 2, v4
	s_wait_dscnt 0x2
	v_add_f32_e32 v8, v8, v11
	ds_bpermute_b32 v11, v15, v8
	s_wait_dscnt 0x1
	v_add_f32_e32 v6, v6, v9
	s_wait_dscnt 0x0
	v_dual_add_f32 v8, v8, v11 :: v_dual_add_f32 v5, v5, v14
	ds_bpermute_b32 v11, v4, v8
	v_add_f32_e32 v7, v7, v10
	ds_bpermute_b32 v14, v15, v5
	ds_bpermute_b32 v10, v15, v7
	s_wait_dscnt 0x1
	v_add_f32_e32 v9, v5, v14
	ds_bpermute_b32 v5, v4, v6
	s_wait_dscnt 0x1
	v_add_f32_e32 v7, v7, v10
	ds_bpermute_b32 v14, v4, v9
	ds_bpermute_b32 v10, v4, v7
	s_wait_dscnt 0x2
	v_add_f32_e32 v4, v6, v5
	s_wait_dscnt 0x0
	v_dual_add_f32 v6, v8, v11 :: v_dual_add_f32 v5, v7, v10
	v_add_f32_e32 v7, v9, v14
	s_wait_alu 0xfffe
	s_cbranch_vccz .LBB5_14
; %bb.12:
	v_add_nc_u32_e32 v8, s33, v33
	v_dual_max_num_f32 v14, v0, v0 :: v_dual_max_num_f32 v15, v1, v1
	s_delay_alu instid0(VALU_DEP_2) | instskip(NEXT) | instid1(VALU_DEP_1)
	v_ashrrev_i32_e32 v9, 31, v8
	v_lshlrev_b64_e32 v[8:9], 2, v[8:9]
	s_delay_alu instid0(VALU_DEP_1) | instskip(SKIP_1) | instid1(VALU_DEP_2)
	v_add_co_u32 v8, vcc_lo, s12, v8
	s_wait_alu 0xfffd
	v_add_co_ci_u32_e64 v9, null, s13, v9, vcc_lo
	global_load_b128 v[8:11], v[8:9], off
	v_max_num_f32_e32 v16, v2, v2
	s_wait_loadcnt 0x0
	v_dual_max_num_f32 v18, v3, v3 :: v_dual_max_num_f32 v19, v9, v9
	v_dual_max_num_f32 v17, v8, v8 :: v_dual_max_num_f32 v20, v10, v10
	v_max_num_f32_e32 v21, v11, v11
	s_delay_alu instid0(VALU_DEP_2) | instskip(NEXT) | instid1(VALU_DEP_2)
	v_dual_max_num_f32 v15, v15, v19 :: v_dual_max_num_f32 v14, v14, v17
	v_dual_max_num_f32 v16, v16, v20 :: v_dual_max_num_f32 v17, v18, v21
	s_delay_alu instid0(VALU_DEP_2) | instskip(SKIP_1) | instid1(VALU_DEP_3)
	v_dual_sub_f32 v19, v1, v15 :: v_dual_sub_f32 v18, v0, v14
	v_dual_sub_f32 v9, v9, v15 :: v_dual_sub_f32 v8, v8, v14
	;; [unrolled: 1-line block ×3, first 2 shown]
	v_dual_sub_f32 v11, v11, v17 :: v_dual_mov_b32 v0, v14
	v_dual_mov_b32 v3, v17 :: v_dual_sub_f32 v10, v10, v16
	v_dual_mov_b32 v1, v15 :: v_dual_mov_b32 v2, v16
	v_dual_mul_f32 v15, 0x3fb8aa3b, v8 :: v_dual_mul_f32 v14, 0x3fb8aa3b, v18
	v_dual_mul_f32 v17, 0x3fb8aa3b, v9 :: v_dual_mul_f32 v16, 0x3fb8aa3b, v19
	s_delay_alu instid0(VALU_DEP_4) | instskip(SKIP_1) | instid1(VALU_DEP_3)
	v_dual_mul_f32 v23, 0x3fb8aa3b, v10 :: v_dual_mul_f32 v22, 0x3fb8aa3b, v20
	v_mul_f32_e32 v25, 0x3fb8aa3b, v11
	v_fma_f32 v34, 0x3fb8aa3b, v9, -v17
	v_rndne_f32_e32 v35, v17
	v_mul_f32_e32 v24, 0x3fb8aa3b, v21
	v_fma_f32 v26, 0x3fb8aa3b, v18, -v14
	v_rndne_f32_e32 v27, v14
	v_fma_f32 v28, 0x3fb8aa3b, v8, -v15
	v_rndne_f32_e32 v29, v15
	;; [unrolled: 2-line block ×3, first 2 shown]
	v_rndne_f32_e32 v43, v25
	v_dual_fmac_f32 v34, 0x32a5705f, v9 :: v_dual_sub_f32 v17, v17, v35
	v_fma_f32 v38, 0x3fb8aa3b, v10, -v23
	v_fma_f32 v42, 0x3fb8aa3b, v11, -v25
	v_dual_fmac_f32 v26, 0x32a5705f, v18 :: v_dual_sub_f32 v15, v15, v29
	v_dual_fmac_f32 v28, 0x32a5705f, v8 :: v_dual_sub_f32 v23, v23, v39
	v_sub_f32_e32 v14, v14, v27
	v_sub_f32_e32 v25, v25, v43
	v_dual_fmac_f32 v30, 0x32a5705f, v19 :: v_dual_add_f32 v17, v17, v34
	s_delay_alu instid0(VALU_DEP_3) | instskip(SKIP_2) | instid1(VALU_DEP_4)
	v_dual_add_f32 v15, v15, v28 :: v_dual_add_f32 v14, v14, v26
	v_rndne_f32_e32 v31, v16
	v_cvt_i32_f32_e32 v35, v35
	v_exp_f32_e32 v17, v17
	v_cvt_i32_f32_e32 v27, v27
	v_exp_f32_e32 v14, v14
	v_exp_f32_e32 v15, v15
	v_fma_f32 v36, 0x3fb8aa3b, v20, -v22
	v_rndne_f32_e32 v37, v22
	v_cvt_i32_f32_e32 v29, v29
	v_cmp_ngt_f32_e32 vcc_lo, 0xc2ce8ed0, v18
	v_fmac_f32_e32 v42, 0x32a5705f, v11
	v_fmac_f32_e32 v36, 0x32a5705f, v20
	v_ldexp_f32 v17, v17, v35
	v_fmac_f32_e32 v38, 0x32a5705f, v10
	v_sub_f32_e32 v16, v16, v31
	v_ldexp_f32 v14, v14, v27
	v_ldexp_f32 v15, v15, v29
	v_cvt_i32_f32_e32 v31, v31
	v_add_f32_e32 v23, v23, v38
	v_add_f32_e32 v16, v16, v30
	s_wait_alu 0xfffd
	v_cndmask_b32_e32 v14, 0, v14, vcc_lo
	v_cmp_ngt_f32_e32 vcc_lo, 0xc2ce8ed0, v8
	v_dual_sub_f32 v22, v22, v37 :: v_dual_add_f32 v25, v25, v42
	v_exp_f32_e32 v16, v16
	v_cvt_i32_f32_e32 v37, v37
	s_wait_alu 0xfffd
	s_delay_alu instid0(VALU_DEP_2)
	v_dual_cndmask_b32 v15, 0, v15 :: v_dual_add_f32 v22, v22, v36
	v_cmp_ngt_f32_e32 vcc_lo, 0xc2ce8ed0, v19
	v_exp_f32_e32 v23, v23
	v_fma_f32 v40, 0x3fb8aa3b, v21, -v24
	v_rndne_f32_e32 v41, v24
	v_exp_f32_e32 v22, v22
	v_cvt_i32_f32_e32 v39, v39
	v_ldexp_f32 v16, v16, v31
	v_exp_f32_e32 v25, v25
	v_cvt_i32_f32_e32 v26, v41
	v_cvt_i32_f32_e32 v28, v43
	s_wait_alu 0xfffd
	v_cndmask_b32_e32 v16, 0, v16, vcc_lo
	v_cmp_ngt_f32_e32 vcc_lo, 0xc2ce8ed0, v9
	v_sub_f32_e32 v24, v24, v41
	v_ldexp_f32 v22, v22, v37
	v_ldexp_f32 v23, v23, v39
	s_wait_alu 0xfffd
	v_cndmask_b32_e32 v17, 0, v17, vcc_lo
	v_cmp_ngt_f32_e32 vcc_lo, 0xc2ce8ed0, v20
	v_ldexp_f32 v25, v25, v28
	s_wait_alu 0xfffd
	v_cndmask_b32_e32 v22, 0, v22, vcc_lo
	v_cmp_ngt_f32_e32 vcc_lo, 0xc2ce8ed0, v10
	s_wait_alu 0xfffd
	v_dual_fmac_f32 v40, 0x32a5705f, v21 :: v_dual_cndmask_b32 v23, 0, v23
	s_delay_alu instid0(VALU_DEP_1) | instskip(SKIP_1) | instid1(VALU_DEP_2)
	v_add_f32_e32 v24, v24, v40
	v_cmp_ngt_f32_e32 vcc_lo, 0xc2ce8ed0, v21
	v_exp_f32_e32 v24, v24
	s_delay_alu instid0(TRANS32_DEP_1) | instskip(SKIP_1) | instid1(VALU_DEP_1)
	v_ldexp_f32 v24, v24, v26
	s_wait_alu 0xfffd
	v_cndmask_b32_e32 v24, 0, v24, vcc_lo
	v_cmp_ngt_f32_e32 vcc_lo, 0xc2ce8ed0, v11
	s_wait_alu 0xfffd
	v_cndmask_b32_e32 v25, 0, v25, vcc_lo
	v_cmp_nlt_f32_e32 vcc_lo, 0x42b17218, v18
	s_wait_alu 0xfffd
	v_cndmask_b32_e32 v14, 0x7f800000, v14, vcc_lo
	v_cmp_nlt_f32_e32 vcc_lo, 0x42b17218, v8
	;; [unrolled: 3-line block ×3, first 2 shown]
	s_wait_alu 0xfffd
	s_delay_alu instid0(VALU_DEP_2)
	v_dual_fmac_f32 v8, v4, v14 :: v_dual_cndmask_b32 v15, 0x7f800000, v16
	v_cmp_nlt_f32_e32 vcc_lo, 0x42b17218, v9
	v_cvt_f16_f32_e32 v4, v14
	s_wait_alu 0xfffd
	v_cndmask_b32_e32 v9, 0x7f800000, v17, vcc_lo
	v_cmp_nlt_f32_e32 vcc_lo, 0x42b17218, v20
	s_wait_alu 0xfffd
	s_delay_alu instid0(VALU_DEP_2)
	v_dual_fmac_f32 v9, v5, v15 :: v_dual_cndmask_b32 v16, 0x7f800000, v22
	v_cmp_nlt_f32_e32 vcc_lo, 0x42b17218, v10
	v_cvt_f16_f32_e32 v5, v15
	s_wait_alu 0xfffd
	v_cndmask_b32_e32 v10, 0x7f800000, v23, vcc_lo
	v_cmp_nlt_f32_e32 vcc_lo, 0x42b17218, v21
	s_delay_alu instid0(VALU_DEP_3) | instskip(NEXT) | instid1(VALU_DEP_3)
	v_and_b32_e32 v15, 0xffff, v5
	v_dual_mov_b32 v5, v9 :: v_dual_fmac_f32 v10, v6, v16
	s_wait_alu 0xfffd
	v_cndmask_b32_e32 v17, 0x7f800000, v24, vcc_lo
	v_cmp_nlt_f32_e32 vcc_lo, 0x42b17218, v11
	v_cvt_f16_f32_e32 v6, v16
	v_mul_u32_u24_e32 v15, 0x10001, v15
	s_delay_alu instid0(VALU_DEP_4)
	v_cvt_f16_f32_e32 v14, v17
	s_wait_alu 0xfffd
	v_cndmask_b32_e32 v11, 0x7f800000, v25, vcc_lo
	v_and_b32_e32 v16, 0xffff, v6
	v_mov_b32_e32 v6, v10
	v_pk_mul_f16 v71, v71, v15
	s_delay_alu instid0(VALU_DEP_4) | instskip(SKIP_3) | instid1(VALU_DEP_4)
	v_dual_fmac_f32 v11, v7, v17 :: v_dual_and_b32 v14, 0xffff, v14
	v_and_b32_e32 v7, 0xffff, v4
	v_mul_u32_u24_e32 v16, 0x10001, v16
	v_mov_b32_e32 v4, v8
	v_mul_u32_u24_e32 v14, 0x10001, v14
	v_pk_mul_f16 v70, v70, v15
	v_mul_u32_u24_e32 v7, 0x10001, v7
	v_pk_mul_f16 v69, v69, v16
	v_pk_mul_f16 v68, v68, v16
	;; [unrolled: 1-line block ×6, first 2 shown]
	v_mov_b32_e32 v7, v11
	s_mov_b32 s2, exec_lo
	v_cmpx_gt_i32_e64 s22, v12
	s_cbranch_execnz .LBB5_15
.LBB5_13:
	s_nop 0
	s_sendmsg sendmsg(MSG_DEALLOC_VGPRS)
	s_endpgm
.LBB5_14:
	s_delay_alu instid0(VALU_DEP_1)
	v_dual_mov_b32 v11, v7 :: v_dual_mov_b32 v10, v6
	v_dual_mov_b32 v9, v5 :: v_dual_mov_b32 v8, v4
	s_mov_b32 s2, exec_lo
	v_cmpx_gt_i32_e64 s22, v12
	s_cbranch_execz .LBB5_13
.LBB5_15:
	s_load_b32 s1, s[0:1], 0xd4
	v_mov_b32_e32 v16, 1.0
	s_wait_kmcnt 0x0
	s_cmp_lg_u32 s1, 1
	s_cselect_b32 s3, -1, 0
	s_cmp_eq_u32 s1, 1
	s_cselect_b32 s2, -1, 0
	s_wait_alu 0xfffe
	s_and_b32 vcc_lo, exec_lo, s3
	s_wait_alu 0xfffe
	s_cbranch_vccnz .LBB5_17
; %bb.16:
	v_div_scale_f32 v14, null, v4, v4, 1.0
	s_delay_alu instid0(VALU_DEP_1) | instskip(NEXT) | instid1(TRANS32_DEP_1)
	v_rcp_f32_e32 v15, v14
	v_fma_f32 v16, -v14, v15, 1.0
	s_delay_alu instid0(VALU_DEP_1) | instskip(SKIP_1) | instid1(VALU_DEP_1)
	v_fmac_f32_e32 v15, v16, v15
	v_div_scale_f32 v16, vcc_lo, 1.0, v4, 1.0
	v_mul_f32_e32 v17, v16, v15
	s_delay_alu instid0(VALU_DEP_1) | instskip(NEXT) | instid1(VALU_DEP_1)
	v_fma_f32 v18, -v14, v17, v16
	v_fmac_f32_e32 v17, v18, v15
	s_delay_alu instid0(VALU_DEP_1) | instskip(SKIP_1) | instid1(VALU_DEP_1)
	v_fma_f32 v14, -v14, v17, v16
	s_wait_alu 0xfffd
	v_div_fmas_f32 v14, v14, v15, v17
	s_delay_alu instid0(VALU_DEP_1)
	v_div_fixup_f32 v16, v14, v4, 1.0
.LBB5_17:
	v_mad_co_u64_u32 v[14:15], null, s28, s22, v[12:13]
	v_cmp_eq_u32_e32 vcc_lo, 0, v13
	v_cvt_f32_f16_e32 v18, v73
	v_cvt_f32_f16_e32 v17, v72
	s_delay_alu instid0(VALU_DEP_2) | instskip(SKIP_1) | instid1(VALU_DEP_3)
	v_mul_f32_e32 v19, v16, v18
	v_mul_lo_u32 v4, v14, s23
	v_mul_f32_e32 v17, v16, v17
	s_delay_alu instid0(VALU_DEP_2) | instskip(NEXT) | instid1(VALU_DEP_1)
	v_add3_u32 v4, s33, v33, v4
	v_mad_co_u64_u32 v[14:15], null, s1, v4, s[10:11]
	v_lshrrev_b32_e32 v4, 16, v72
	v_lshrrev_b32_e32 v15, 16, v73
	s_delay_alu instid0(VALU_DEP_2) | instskip(SKIP_2) | instid1(VALU_DEP_4)
	v_cvt_f32_f16_e32 v4, v4
	v_mov_b32_e32 v13, 0
	v_lshl_add_u32 v12, v14, 7, v32
	v_cvt_f32_f16_e32 v15, v15
	s_delay_alu instid0(VALU_DEP_4) | instskip(NEXT) | instid1(VALU_DEP_3)
	v_mul_f32_e32 v18, v16, v4
	v_lshlrev_b64_e32 v[12:13], 2, v[12:13]
	s_delay_alu instid0(VALU_DEP_3) | instskip(NEXT) | instid1(VALU_DEP_2)
	v_mul_f32_e32 v20, v16, v15
	v_add_co_u32 v12, s0, s16, v12
	s_wait_alu 0xf1ff
	s_delay_alu instid0(VALU_DEP_3)
	v_add_co_ci_u32_e64 v13, null, s17, v13, s0
	s_and_b32 s0, vcc_lo, s3
	global_store_b128 v[12:13], v[17:20], off
	s_wait_alu 0xfffe
	s_and_saveexec_b32 s3, s0
	s_cbranch_execz .LBB5_19
; %bb.18:
	v_ashrrev_i32_e32 v15, 31, v14
	v_mov_b32_e32 v16, v8
	s_delay_alu instid0(VALU_DEP_2) | instskip(SKIP_1) | instid1(VALU_DEP_2)
	v_lshlrev_b64_e32 v[12:13], 3, v[14:15]
	v_mov_b32_e32 v15, v0
	v_add_co_u32 v12, vcc_lo, s18, v12
	s_wait_alu 0xfffd
	s_delay_alu instid0(VALU_DEP_3)
	v_add_co_ci_u32_e64 v13, null, s19, v13, vcc_lo
	global_store_b64 v[12:13], v[15:16], off
.LBB5_19:
	s_wait_alu 0xfffe
	s_or_b32 exec_lo, exec_lo, s3
	v_cndmask_b32_e64 v12, 0, 1, s2
	v_mov_b32_e32 v0, 1.0
	s_and_not1_b32 vcc_lo, exec_lo, s2
	s_wait_alu 0xfffe
	s_cbranch_vccnz .LBB5_21
; %bb.20:
	v_div_scale_f32 v0, null, v5, v5, 1.0
	s_delay_alu instid0(VALU_DEP_1) | instskip(NEXT) | instid1(TRANS32_DEP_1)
	v_rcp_f32_e32 v4, v0
	v_fma_f32 v8, -v0, v4, 1.0
	s_delay_alu instid0(VALU_DEP_1) | instskip(SKIP_1) | instid1(VALU_DEP_1)
	v_fmac_f32_e32 v4, v8, v4
	v_div_scale_f32 v8, vcc_lo, 1.0, v5, 1.0
	v_mul_f32_e32 v13, v8, v4
	s_delay_alu instid0(VALU_DEP_1) | instskip(NEXT) | instid1(VALU_DEP_1)
	v_fma_f32 v15, -v0, v13, v8
	v_fmac_f32_e32 v13, v15, v4
	s_delay_alu instid0(VALU_DEP_1) | instskip(SKIP_1) | instid1(VALU_DEP_1)
	v_fma_f32 v0, -v0, v13, v8
	s_wait_alu 0xfffd
	v_div_fmas_f32 v0, v0, v4, v13
	s_delay_alu instid0(VALU_DEP_1)
	v_div_fixup_f32 v0, v0, v5, 1.0
.LBB5_21:
	v_cvt_f32_f16_e32 v15, v71
	v_add_nc_u32_e32 v4, s1, v14
	v_cvt_f32_f16_e32 v16, v70
	v_mov_b32_e32 v14, 0
	v_lshrrev_b32_e32 v5, 16, v71
	v_lshrrev_b32_e32 v8, 16, v70
	v_lshl_add_u32 v13, v4, 7, v32
	s_delay_alu instid0(VALU_DEP_3) | instskip(NEXT) | instid1(VALU_DEP_3)
	v_cvt_f32_f16_e32 v5, v5
	v_cvt_f32_f16_e32 v8, v8
	s_delay_alu instid0(VALU_DEP_3)
	v_lshlrev_b64_e32 v[17:18], 2, v[13:14]
	v_mul_f32_e32 v13, v0, v15
	v_mul_f32_e32 v15, v0, v16
	;; [unrolled: 1-line block ×4, first 2 shown]
	v_add_co_u32 v17, vcc_lo, s16, v17
	s_wait_alu 0xfffd
	v_add_co_ci_u32_e64 v18, null, s17, v18, vcc_lo
	global_store_b128 v[17:18], v[13:16], off
	s_and_saveexec_b32 s2, s0
	s_cbranch_execz .LBB5_23
; %bb.22:
	v_ashrrev_i32_e32 v5, 31, v4
	v_mov_b32_e32 v8, v1
	s_delay_alu instid0(VALU_DEP_2) | instskip(NEXT) | instid1(VALU_DEP_1)
	v_lshlrev_b64_e32 v[13:14], 3, v[4:5]
	v_add_co_u32 v13, vcc_lo, s18, v13
	s_wait_alu 0xfffd
	s_delay_alu instid0(VALU_DEP_2)
	v_add_co_ci_u32_e64 v14, null, s19, v14, vcc_lo
	global_store_b64 v[13:14], v[8:9], off
.LBB5_23:
	s_wait_alu 0xfffe
	s_or_b32 exec_lo, exec_lo, s2
	v_cmp_ne_u32_e32 vcc_lo, 1, v12
	v_mov_b32_e32 v1, 1.0
	s_cbranch_vccnz .LBB5_25
; %bb.24:
	v_div_scale_f32 v0, null, v6, v6, 1.0
	s_delay_alu instid0(VALU_DEP_1) | instskip(NEXT) | instid1(TRANS32_DEP_1)
	v_rcp_f32_e32 v1, v0
	v_fma_f32 v5, -v0, v1, 1.0
	s_delay_alu instid0(VALU_DEP_1) | instskip(SKIP_1) | instid1(VALU_DEP_1)
	v_fmac_f32_e32 v1, v5, v1
	v_div_scale_f32 v5, vcc_lo, 1.0, v6, 1.0
	v_mul_f32_e32 v8, v5, v1
	s_delay_alu instid0(VALU_DEP_1) | instskip(NEXT) | instid1(VALU_DEP_1)
	v_fma_f32 v9, -v0, v8, v5
	v_fmac_f32_e32 v8, v9, v1
	s_delay_alu instid0(VALU_DEP_1) | instskip(SKIP_1) | instid1(VALU_DEP_1)
	v_fma_f32 v0, -v0, v8, v5
	s_wait_alu 0xfffd
	v_div_fmas_f32 v0, v0, v1, v8
	s_delay_alu instid0(VALU_DEP_1)
	v_div_fixup_f32 v1, v0, v6, 1.0
.LBB5_25:
	v_dual_mov_b32 v5, 0 :: v_dual_add_nc_u32 v0, s1, v4
	v_lshrrev_b32_e32 v6, 16, v69
	v_lshrrev_b32_e32 v8, 16, v68
	v_cvt_f32_f16_e32 v9, v69
	s_delay_alu instid0(VALU_DEP_4)
	v_lshl_add_u32 v4, v0, 7, v32
	v_cvt_f32_f16_e32 v14, v68
	v_cvt_f32_f16_e32 v6, v6
	;; [unrolled: 1-line block ×3, first 2 shown]
	v_mul_f32_e32 v13, v1, v9
	v_lshlrev_b64_e32 v[4:5], 2, v[4:5]
	v_mul_f32_e32 v15, v1, v14
	v_mul_f32_e32 v14, v1, v6
	;; [unrolled: 1-line block ×3, first 2 shown]
	s_delay_alu instid0(VALU_DEP_4)
	v_add_co_u32 v4, vcc_lo, s16, v4
	s_wait_alu 0xfffd
	v_add_co_ci_u32_e64 v5, null, s17, v5, vcc_lo
	global_store_b128 v[4:5], v[13:16], off
	s_and_saveexec_b32 s2, s0
	s_cbranch_execz .LBB5_27
; %bb.26:
	v_ashrrev_i32_e32 v1, 31, v0
	v_mov_b32_e32 v9, v2
	s_delay_alu instid0(VALU_DEP_2) | instskip(NEXT) | instid1(VALU_DEP_1)
	v_lshlrev_b64_e32 v[4:5], 3, v[0:1]
	v_add_co_u32 v4, vcc_lo, s18, v4
	s_wait_alu 0xfffd
	s_delay_alu instid0(VALU_DEP_2)
	v_add_co_ci_u32_e64 v5, null, s19, v5, vcc_lo
	global_store_b64 v[4:5], v[9:10], off
.LBB5_27:
	s_wait_alu 0xfffe
	s_or_b32 exec_lo, exec_lo, s2
	v_cmp_ne_u32_e32 vcc_lo, 1, v12
	v_mov_b32_e32 v1, 1.0
	s_cbranch_vccnz .LBB5_29
; %bb.28:
	v_div_scale_f32 v1, null, v7, v7, 1.0
	s_delay_alu instid0(VALU_DEP_1) | instskip(NEXT) | instid1(TRANS32_DEP_1)
	v_rcp_f32_e32 v2, v1
	v_fma_f32 v4, -v1, v2, 1.0
	s_delay_alu instid0(VALU_DEP_1) | instskip(SKIP_1) | instid1(VALU_DEP_1)
	v_fmac_f32_e32 v2, v4, v2
	v_div_scale_f32 v4, vcc_lo, 1.0, v7, 1.0
	v_mul_f32_e32 v5, v4, v2
	s_delay_alu instid0(VALU_DEP_1) | instskip(NEXT) | instid1(VALU_DEP_1)
	v_fma_f32 v6, -v1, v5, v4
	v_fmac_f32_e32 v5, v6, v2
	s_delay_alu instid0(VALU_DEP_1) | instskip(SKIP_1) | instid1(VALU_DEP_1)
	v_fma_f32 v1, -v1, v5, v4
	s_wait_alu 0xfffd
	v_div_fmas_f32 v1, v1, v2, v5
	s_delay_alu instid0(VALU_DEP_1)
	v_div_fixup_f32 v1, v1, v7, 1.0
.LBB5_29:
	v_dual_mov_b32 v5, 0 :: v_dual_add_nc_u32 v0, s1, v0
	v_lshrrev_b32_e32 v2, 16, v67
	v_lshrrev_b32_e32 v6, 16, v66
	v_cvt_f32_f16_e32 v7, v67
	s_delay_alu instid0(VALU_DEP_4) | instskip(SKIP_3) | instid1(VALU_DEP_4)
	v_lshl_add_u32 v4, v0, 7, v32
	v_cvt_f32_f16_e32 v10, v66
	v_cvt_f32_f16_e32 v2, v2
	;; [unrolled: 1-line block ×3, first 2 shown]
	v_lshlrev_b64_e32 v[8:9], 2, v[4:5]
	v_mul_f32_e32 v4, v1, v7
	v_mul_f32_e32 v6, v1, v10
	;; [unrolled: 1-line block ×4, first 2 shown]
	v_add_co_u32 v1, vcc_lo, s16, v8
	s_wait_alu 0xfffd
	v_add_co_ci_u32_e64 v2, null, s17, v9, vcc_lo
	global_store_b128 v[1:2], v[4:7], off
	s_and_b32 exec_lo, exec_lo, s0
	s_cbranch_execz .LBB5_13
; %bb.30:
	v_ashrrev_i32_e32 v1, 31, v0
	v_mov_b32_e32 v10, v3
	s_delay_alu instid0(VALU_DEP_2) | instskip(NEXT) | instid1(VALU_DEP_1)
	v_lshlrev_b64_e32 v[0:1], 3, v[0:1]
	v_add_co_u32 v0, vcc_lo, s18, v0
	s_wait_alu 0xfffd
	s_delay_alu instid0(VALU_DEP_2)
	v_add_co_ci_u32_e64 v1, null, s19, v1, vcc_lo
	global_store_b64 v[0:1], v[10:11], off
	s_nop 0
	s_sendmsg sendmsg(MSG_DEALLOC_VGPRS)
	s_endpgm
	.section	.rodata,"a",@progbits
	.p2align	6, 0x0
	.amdhsa_kernel _ZL15flash_attn_tileILi128ELi128ELi4ELi8ELb0EEvPKcS1_S1_S1_S1_PKiPfP15HIP_vector_typeIfLj2EEffffjfiS5_IjLj3EEiiiiiiiiiiiliiliiiiil
		.amdhsa_group_segment_fixed_size 34816
		.amdhsa_private_segment_fixed_size 0
		.amdhsa_kernarg_size 464
		.amdhsa_user_sgpr_count 2
		.amdhsa_user_sgpr_dispatch_ptr 0
		.amdhsa_user_sgpr_queue_ptr 0
		.amdhsa_user_sgpr_kernarg_segment_ptr 1
		.amdhsa_user_sgpr_dispatch_id 0
		.amdhsa_user_sgpr_private_segment_size 0
		.amdhsa_wavefront_size32 1
		.amdhsa_uses_dynamic_stack 0
		.amdhsa_enable_private_segment 0
		.amdhsa_system_sgpr_workgroup_id_x 1
		.amdhsa_system_sgpr_workgroup_id_y 1
		.amdhsa_system_sgpr_workgroup_id_z 1
		.amdhsa_system_sgpr_workgroup_info 0
		.amdhsa_system_vgpr_workitem_id 1
		.amdhsa_next_free_vgpr 217
		.amdhsa_next_free_sgpr 44
		.amdhsa_reserve_vcc 1
		.amdhsa_float_round_mode_32 0
		.amdhsa_float_round_mode_16_64 0
		.amdhsa_float_denorm_mode_32 3
		.amdhsa_float_denorm_mode_16_64 3
		.amdhsa_fp16_overflow 0
		.amdhsa_workgroup_processor_mode 1
		.amdhsa_memory_ordered 1
		.amdhsa_forward_progress 1
		.amdhsa_inst_pref_size 232
		.amdhsa_round_robin_scheduling 0
		.amdhsa_exception_fp_ieee_invalid_op 0
		.amdhsa_exception_fp_denorm_src 0
		.amdhsa_exception_fp_ieee_div_zero 0
		.amdhsa_exception_fp_ieee_overflow 0
		.amdhsa_exception_fp_ieee_underflow 0
		.amdhsa_exception_fp_ieee_inexact 0
		.amdhsa_exception_int_div_zero 0
	.end_amdhsa_kernel
	.section	.text._ZL15flash_attn_tileILi128ELi128ELi4ELi8ELb0EEvPKcS1_S1_S1_S1_PKiPfP15HIP_vector_typeIfLj2EEffffjfiS5_IjLj3EEiiiiiiiiiiiliiliiiiil,"axG",@progbits,_ZL15flash_attn_tileILi128ELi128ELi4ELi8ELb0EEvPKcS1_S1_S1_S1_PKiPfP15HIP_vector_typeIfLj2EEffffjfiS5_IjLj3EEiiiiiiiiiiiliiliiiiil,comdat
.Lfunc_end5:
	.size	_ZL15flash_attn_tileILi128ELi128ELi4ELi8ELb0EEvPKcS1_S1_S1_S1_PKiPfP15HIP_vector_typeIfLj2EEffffjfiS5_IjLj3EEiiiiiiiiiiiliiliiiiil, .Lfunc_end5-_ZL15flash_attn_tileILi128ELi128ELi4ELi8ELb0EEvPKcS1_S1_S1_S1_PKiPfP15HIP_vector_typeIfLj2EEffffjfiS5_IjLj3EEiiiiiiiiiiiliiliiiiil
                                        ; -- End function
	.set _ZL15flash_attn_tileILi128ELi128ELi4ELi8ELb0EEvPKcS1_S1_S1_S1_PKiPfP15HIP_vector_typeIfLj2EEffffjfiS5_IjLj3EEiiiiiiiiiiiliiliiiiil.num_vgpr, 122
	.set _ZL15flash_attn_tileILi128ELi128ELi4ELi8ELb0EEvPKcS1_S1_S1_S1_PKiPfP15HIP_vector_typeIfLj2EEffffjfiS5_IjLj3EEiiiiiiiiiiiliiliiiiil.num_agpr, 0
	.set _ZL15flash_attn_tileILi128ELi128ELi4ELi8ELb0EEvPKcS1_S1_S1_S1_PKiPfP15HIP_vector_typeIfLj2EEffffjfiS5_IjLj3EEiiiiiiiiiiiliiliiiiil.numbered_sgpr, 44
	.set _ZL15flash_attn_tileILi128ELi128ELi4ELi8ELb0EEvPKcS1_S1_S1_S1_PKiPfP15HIP_vector_typeIfLj2EEffffjfiS5_IjLj3EEiiiiiiiiiiiliiliiiiil.num_named_barrier, 0
	.set _ZL15flash_attn_tileILi128ELi128ELi4ELi8ELb0EEvPKcS1_S1_S1_S1_PKiPfP15HIP_vector_typeIfLj2EEffffjfiS5_IjLj3EEiiiiiiiiiiiliiliiiiil.private_seg_size, 0
	.set _ZL15flash_attn_tileILi128ELi128ELi4ELi8ELb0EEvPKcS1_S1_S1_S1_PKiPfP15HIP_vector_typeIfLj2EEffffjfiS5_IjLj3EEiiiiiiiiiiiliiliiiiil.uses_vcc, 1
	.set _ZL15flash_attn_tileILi128ELi128ELi4ELi8ELb0EEvPKcS1_S1_S1_S1_PKiPfP15HIP_vector_typeIfLj2EEffffjfiS5_IjLj3EEiiiiiiiiiiiliiliiiiil.uses_flat_scratch, 0
	.set _ZL15flash_attn_tileILi128ELi128ELi4ELi8ELb0EEvPKcS1_S1_S1_S1_PKiPfP15HIP_vector_typeIfLj2EEffffjfiS5_IjLj3EEiiiiiiiiiiiliiliiiiil.has_dyn_sized_stack, 0
	.set _ZL15flash_attn_tileILi128ELi128ELi4ELi8ELb0EEvPKcS1_S1_S1_S1_PKiPfP15HIP_vector_typeIfLj2EEffffjfiS5_IjLj3EEiiiiiiiiiiiliiliiiiil.has_recursion, 0
	.set _ZL15flash_attn_tileILi128ELi128ELi4ELi8ELb0EEvPKcS1_S1_S1_S1_PKiPfP15HIP_vector_typeIfLj2EEffffjfiS5_IjLj3EEiiiiiiiiiiiliiliiiiil.has_indirect_call, 0
	.section	.AMDGPU.csdata,"",@progbits
; Kernel info:
; codeLenInByte = 29628
; TotalNumSgprs: 46
; NumVgprs: 122
; ScratchSize: 0
; MemoryBound: 0
; FloatMode: 240
; IeeeMode: 1
; LDSByteSize: 34816 bytes/workgroup (compile time only)
; SGPRBlocks: 0
; VGPRBlocks: 27
; NumSGPRsForWavesPerEU: 46
; NumVGPRsForWavesPerEU: 217
; Occupancy: 6
; WaveLimiterHint : 1
; COMPUTE_PGM_RSRC2:SCRATCH_EN: 0
; COMPUTE_PGM_RSRC2:USER_SGPR: 2
; COMPUTE_PGM_RSRC2:TRAP_HANDLER: 0
; COMPUTE_PGM_RSRC2:TGID_X_EN: 1
; COMPUTE_PGM_RSRC2:TGID_Y_EN: 1
; COMPUTE_PGM_RSRC2:TGID_Z_EN: 1
; COMPUTE_PGM_RSRC2:TIDIG_COMP_CNT: 1
	.section	.text._ZL25flash_attn_mask_to_KV_maxILi4EEvPK7__half2Piiii,"axG",@progbits,_ZL25flash_attn_mask_to_KV_maxILi4EEvPK7__half2Piiii,comdat
	.globl	_ZL25flash_attn_mask_to_KV_maxILi4EEvPK7__half2Piiii ; -- Begin function _ZL25flash_attn_mask_to_KV_maxILi4EEvPK7__half2Piiii
	.p2align	8
	.type	_ZL25flash_attn_mask_to_KV_maxILi4EEvPK7__half2Piiii,@function
_ZL25flash_attn_mask_to_KV_maxILi4EEvPK7__half2Piiii: ; @_ZL25flash_attn_mask_to_KV_maxILi4EEvPK7__half2Piiii
; %bb.0:
	s_load_b64 s[8:9], s[0:1], 0x0
	s_mov_b32 s2, exec_lo
	v_cmpx_gt_u32_e32 32, v0
; %bb.1:
	v_dual_mov_b32 v2, 1 :: v_dual_lshlrev_b32 v1, 2, v0
	ds_store_b32 v1, v2
; %bb.2:
	s_or_b32 exec_lo, exec_lo, s2
	s_clause 0x2
	s_load_b96 s[4:6], s[0:1], 0x10
	s_load_b64 s[2:3], s[0:1], 0x8
	s_load_b32 s1, s[0:1], 0x20
	v_dual_mov_b32 v2, 0 :: v_dual_and_b32 v1, 31, v0
	v_lshrrev_b32_e32 v5, 3, v0
	s_wait_dscnt 0x0
	s_barrier_signal -1
	s_delay_alu instid0(VALU_DEP_2)
	v_lshlrev_b32_e32 v6, 2, v1
	s_barrier_wait -1
	global_inv scope:SCOPE_SE
	s_wait_kmcnt 0x0
	s_mul_i32 s0, ttmp9, s5
	s_mul_i32 s6, s6, ttmp7
	s_lshl_b32 s0, s0, 2
	s_delay_alu instid0(SALU_CYCLE_1) | instskip(SKIP_2) | instid1(SALU_CYCLE_1)
	s_add_co_i32 s6, s6, s0
	v_cmp_eq_u32_e64 s0, 0, v1
	s_ashr_i32 s7, s6, 31
	s_lshl_b64 s[6:7], s[6:7], 2
	s_delay_alu instid0(SALU_CYCLE_1)
	s_add_nc_u64 s[6:7], s[8:9], s[6:7]
	s_lshl_b32 s8, s4, 8
	s_branch .LBB6_4
.LBB6_3:                                ;   in Loop: Header=BB6_4 Depth=1
	s_wait_alu 0xfffe
	s_or_b32 exec_lo, exec_lo, s9
	s_wait_dscnt 0x0
	s_barrier_signal -1
	s_barrier_wait -1
	global_inv scope:SCOPE_SE
	ds_load_b32 v1, v6
	s_wait_loadcnt_dscnt 0x0
	s_barrier_signal -1
	s_barrier_wait -1
	global_inv scope:SCOPE_SE
	v_cmp_ne_u32_e32 vcc_lo, 0, v1
	s_cmp_lg_u32 vcc_lo, exec_lo
	s_cselect_b32 s9, -1, 0
	s_wait_alu 0xfffe
	s_and_b32 vcc_lo, exec_lo, s9
	s_wait_alu 0xfffe
	s_cbranch_vccnz .LBB6_20
.LBB6_4:                                ; =>This Inner Loop Header: Depth=1
	s_mov_b32 s4, s8
	s_addk_co_i32 s8, 0xff00
	s_wait_alu 0xfffe
	s_cmp_lt_i32 s8, 0
	s_cbranch_scc1 .LBB6_19
; %bb.5:                                ;   in Loop: Header=BB6_4 Depth=1
	s_lshr_b32 s9, s8, 1
	s_wait_alu 0xfffe
	v_add_nc_u32_e32 v1, s9, v0
	s_delay_alu instid0(VALU_DEP_1) | instskip(NEXT) | instid1(VALU_DEP_1)
	v_lshlrev_b64_e32 v[3:4], 2, v[1:2]
	v_add_co_u32 v3, vcc_lo, s6, v3
	s_wait_alu 0xfffd
	s_delay_alu instid0(VALU_DEP_2) | instskip(SKIP_4) | instid1(VALU_DEP_2)
	v_add_co_ci_u32_e64 v4, null, s7, v4, vcc_lo
	global_load_b32 v3, v[3:4], off
	s_wait_loadcnt 0x0
	v_lshrrev_b32_e32 v4, 16, v3
	v_cmp_class_f16_e64 s9, v3, 0x204
	v_cmp_class_f16_e64 s10, v4, 0x204
	s_and_b32 s11, s9, s10
	s_mov_b32 s10, 0
	s_wait_alu 0xfffe
	s_and_saveexec_b32 s9, s11
	s_cbranch_execz .LBB6_17
; %bb.6:                                ;   in Loop: Header=BB6_4 Depth=1
	v_add_nc_u32_e32 v3, s5, v1
	s_mov_b32 s11, 0
	s_delay_alu instid0(VALU_DEP_1) | instskip(NEXT) | instid1(VALU_DEP_1)
	v_ashrrev_i32_e32 v4, 31, v3
	v_lshlrev_b64_e32 v[7:8], 2, v[3:4]
	s_delay_alu instid0(VALU_DEP_1) | instskip(SKIP_1) | instid1(VALU_DEP_2)
	v_add_co_u32 v7, vcc_lo, s6, v7
	s_wait_alu 0xfffd
	v_add_co_ci_u32_e64 v8, null, s7, v8, vcc_lo
	global_load_b32 v1, v[7:8], off
	s_wait_loadcnt 0x0
	v_cmp_class_f16_e64 s12, v1, 0x204
	s_and_saveexec_b32 s10, s12
	s_cbranch_execz .LBB6_16
; %bb.7:                                ;   in Loop: Header=BB6_4 Depth=1
	v_lshrrev_b32_e32 v1, 16, v1
	s_mov_b32 s12, 0
	s_delay_alu instid0(VALU_DEP_1)
	v_cmp_class_f16_e64 s13, v1, 0x204
	s_and_saveexec_b32 s11, s13
	s_cbranch_execz .LBB6_15
; %bb.8:                                ;   in Loop: Header=BB6_4 Depth=1
	v_add_nc_u32_e32 v3, s5, v3
	s_mov_b32 s13, 0
	s_delay_alu instid0(VALU_DEP_1) | instskip(NEXT) | instid1(VALU_DEP_1)
	v_ashrrev_i32_e32 v4, 31, v3
	v_lshlrev_b64_e32 v[7:8], 2, v[3:4]
	s_delay_alu instid0(VALU_DEP_1) | instskip(SKIP_1) | instid1(VALU_DEP_2)
	v_add_co_u32 v7, vcc_lo, s6, v7
	s_wait_alu 0xfffd
	v_add_co_ci_u32_e64 v8, null, s7, v8, vcc_lo
	global_load_b32 v1, v[7:8], off
	s_wait_loadcnt 0x0
	v_cmp_class_f16_e64 s14, v1, 0x204
	s_and_saveexec_b32 s12, s14
	s_cbranch_execz .LBB6_14
; %bb.9:                                ;   in Loop: Header=BB6_4 Depth=1
	v_lshrrev_b32_e32 v1, 16, v1
	s_mov_b32 s14, 0
	s_delay_alu instid0(VALU_DEP_1)
	v_cmp_class_f16_e64 s15, v1, 0x204
	s_and_saveexec_b32 s13, s15
	s_cbranch_execz .LBB6_13
; %bb.10:                               ;   in Loop: Header=BB6_4 Depth=1
	v_add_nc_u32_e32 v3, s5, v3
	s_delay_alu instid0(VALU_DEP_1) | instskip(NEXT) | instid1(VALU_DEP_1)
	v_ashrrev_i32_e32 v4, 31, v3
	v_lshlrev_b64_e32 v[3:4], 2, v[3:4]
	s_delay_alu instid0(VALU_DEP_1) | instskip(SKIP_1) | instid1(VALU_DEP_2)
	v_add_co_u32 v3, vcc_lo, s6, v3
	s_wait_alu 0xfffd
	v_add_co_ci_u32_e64 v4, null, s7, v4, vcc_lo
	global_load_b32 v1, v[3:4], off
	s_wait_loadcnt 0x0
	v_cmp_class_f16_e64 s16, v1, 0x204
	s_and_saveexec_b32 s15, s16
; %bb.11:                               ;   in Loop: Header=BB6_4 Depth=1
	v_lshrrev_b32_e32 v1, 16, v1
	s_delay_alu instid0(VALU_DEP_1)
	v_cmp_class_f16_e64 s14, v1, 0x204
	s_and_b32 s14, s14, exec_lo
; %bb.12:                               ;   in Loop: Header=BB6_4 Depth=1
	s_or_b32 exec_lo, exec_lo, s15
	s_delay_alu instid0(SALU_CYCLE_1)
	s_and_b32 s14, s14, exec_lo
.LBB6_13:                               ;   in Loop: Header=BB6_4 Depth=1
	s_or_b32 exec_lo, exec_lo, s13
	s_delay_alu instid0(SALU_CYCLE_1)
	s_and_b32 s13, s14, exec_lo
.LBB6_14:                               ;   in Loop: Header=BB6_4 Depth=1
	s_or_b32 exec_lo, exec_lo, s12
	s_delay_alu instid0(SALU_CYCLE_1)
	s_and_b32 s12, s13, exec_lo
.LBB6_15:                               ;   in Loop: Header=BB6_4 Depth=1
	s_wait_alu 0xfffe
	s_or_b32 exec_lo, exec_lo, s11
	s_delay_alu instid0(SALU_CYCLE_1)
	s_and_b32 s11, s12, exec_lo
.LBB6_16:                               ;   in Loop: Header=BB6_4 Depth=1
	s_wait_alu 0xfffe
	s_or_b32 exec_lo, exec_lo, s10
	s_delay_alu instid0(SALU_CYCLE_1)
	s_and_b32 s10, s11, exec_lo
.LBB6_17:                               ;   in Loop: Header=BB6_4 Depth=1
	s_wait_alu 0xfffe
	s_or_b32 exec_lo, exec_lo, s9
	v_cndmask_b32_e64 v1, 0, 1, s10
	s_mov_b32 s11, exec_lo
	s_delay_alu instid0(VALU_DEP_1)
	v_cmp_ne_u32_e32 vcc_lo, 0, v1
	s_and_saveexec_b32 s9, s0
	s_cbranch_execz .LBB6_3
; %bb.18:                               ;   in Loop: Header=BB6_4 Depth=1
	s_wait_alu 0xfffe
	s_cmp_eq_u32 vcc_lo, s11
	s_cselect_b32 s10, -1, 0
	s_wait_alu 0xfffe
	v_cndmask_b32_e64 v1, 0, 1, s10
	ds_store_b32 v5, v1
	s_branch .LBB6_3
.LBB6_19:                               ;   in Loop: Header=BB6_4 Depth=1
	s_cbranch_execz .LBB6_4
.LBB6_20:
	s_mov_b32 s0, exec_lo
	v_cmpx_eq_u32_e32 0, v0
	s_cbranch_execz .LBB6_22
; %bb.21:
	s_mul_i32 s0, s1, ttmp7
	v_dual_mov_b32 v0, 0 :: v_dual_mov_b32 v1, s4
	s_add_co_i32 s0, s0, ttmp9
	s_delay_alu instid0(SALU_CYCLE_1) | instskip(NEXT) | instid1(SALU_CYCLE_1)
	s_ashr_i32 s1, s0, 31
	s_lshl_b64 s[0:1], s[0:1], 2
	s_delay_alu instid0(SALU_CYCLE_1)
	s_add_nc_u64 s[0:1], s[2:3], s[0:1]
	global_store_b32 v0, v1, s[0:1]
.LBB6_22:
	s_endpgm
	.section	.rodata,"a",@progbits
	.p2align	6, 0x0
	.amdhsa_kernel _ZL25flash_attn_mask_to_KV_maxILi4EEvPK7__half2Piiii
		.amdhsa_group_segment_fixed_size 128
		.amdhsa_private_segment_fixed_size 0
		.amdhsa_kernarg_size 288
		.amdhsa_user_sgpr_count 2
		.amdhsa_user_sgpr_dispatch_ptr 0
		.amdhsa_user_sgpr_queue_ptr 0
		.amdhsa_user_sgpr_kernarg_segment_ptr 1
		.amdhsa_user_sgpr_dispatch_id 0
		.amdhsa_user_sgpr_private_segment_size 0
		.amdhsa_wavefront_size32 1
		.amdhsa_uses_dynamic_stack 0
		.amdhsa_enable_private_segment 0
		.amdhsa_system_sgpr_workgroup_id_x 1
		.amdhsa_system_sgpr_workgroup_id_y 1
		.amdhsa_system_sgpr_workgroup_id_z 0
		.amdhsa_system_sgpr_workgroup_info 0
		.amdhsa_system_vgpr_workitem_id 0
		.amdhsa_next_free_vgpr 9
		.amdhsa_next_free_sgpr 17
		.amdhsa_reserve_vcc 1
		.amdhsa_float_round_mode_32 0
		.amdhsa_float_round_mode_16_64 0
		.amdhsa_float_denorm_mode_32 3
		.amdhsa_float_denorm_mode_16_64 3
		.amdhsa_fp16_overflow 0
		.amdhsa_workgroup_processor_mode 1
		.amdhsa_memory_ordered 1
		.amdhsa_forward_progress 1
		.amdhsa_inst_pref_size 8
		.amdhsa_round_robin_scheduling 0
		.amdhsa_exception_fp_ieee_invalid_op 0
		.amdhsa_exception_fp_denorm_src 0
		.amdhsa_exception_fp_ieee_div_zero 0
		.amdhsa_exception_fp_ieee_overflow 0
		.amdhsa_exception_fp_ieee_underflow 0
		.amdhsa_exception_fp_ieee_inexact 0
		.amdhsa_exception_int_div_zero 0
	.end_amdhsa_kernel
	.section	.text._ZL25flash_attn_mask_to_KV_maxILi4EEvPK7__half2Piiii,"axG",@progbits,_ZL25flash_attn_mask_to_KV_maxILi4EEvPK7__half2Piiii,comdat
.Lfunc_end6:
	.size	_ZL25flash_attn_mask_to_KV_maxILi4EEvPK7__half2Piiii, .Lfunc_end6-_ZL25flash_attn_mask_to_KV_maxILi4EEvPK7__half2Piiii
                                        ; -- End function
	.set _ZL25flash_attn_mask_to_KV_maxILi4EEvPK7__half2Piiii.num_vgpr, 9
	.set _ZL25flash_attn_mask_to_KV_maxILi4EEvPK7__half2Piiii.num_agpr, 0
	.set _ZL25flash_attn_mask_to_KV_maxILi4EEvPK7__half2Piiii.numbered_sgpr, 17
	.set _ZL25flash_attn_mask_to_KV_maxILi4EEvPK7__half2Piiii.num_named_barrier, 0
	.set _ZL25flash_attn_mask_to_KV_maxILi4EEvPK7__half2Piiii.private_seg_size, 0
	.set _ZL25flash_attn_mask_to_KV_maxILi4EEvPK7__half2Piiii.uses_vcc, 1
	.set _ZL25flash_attn_mask_to_KV_maxILi4EEvPK7__half2Piiii.uses_flat_scratch, 0
	.set _ZL25flash_attn_mask_to_KV_maxILi4EEvPK7__half2Piiii.has_dyn_sized_stack, 0
	.set _ZL25flash_attn_mask_to_KV_maxILi4EEvPK7__half2Piiii.has_recursion, 0
	.set _ZL25flash_attn_mask_to_KV_maxILi4EEvPK7__half2Piiii.has_indirect_call, 0
	.section	.AMDGPU.csdata,"",@progbits
; Kernel info:
; codeLenInByte = 912
; TotalNumSgprs: 19
; NumVgprs: 9
; ScratchSize: 0
; MemoryBound: 0
; FloatMode: 240
; IeeeMode: 1
; LDSByteSize: 128 bytes/workgroup (compile time only)
; SGPRBlocks: 0
; VGPRBlocks: 1
; NumSGPRsForWavesPerEU: 19
; NumVGPRsForWavesPerEU: 9
; Occupancy: 16
; WaveLimiterHint : 0
; COMPUTE_PGM_RSRC2:SCRATCH_EN: 0
; COMPUTE_PGM_RSRC2:USER_SGPR: 2
; COMPUTE_PGM_RSRC2:TRAP_HANDLER: 0
; COMPUTE_PGM_RSRC2:TGID_X_EN: 1
; COMPUTE_PGM_RSRC2:TGID_Y_EN: 1
; COMPUTE_PGM_RSRC2:TGID_Z_EN: 0
; COMPUTE_PGM_RSRC2:TIDIG_COMP_CNT: 0
	.section	.text._ZL33flash_attn_stream_k_fixup_uniformILi128ELi4ELi8EEvPfPK15HIP_vector_typeIfLj2EEiiiiiiS1_IjLj3EES5_S5_,"axG",@progbits,_ZL33flash_attn_stream_k_fixup_uniformILi128ELi4ELi8EEvPfPK15HIP_vector_typeIfLj2EEiiiiiiS1_IjLj3EES5_S5_,comdat
	.globl	_ZL33flash_attn_stream_k_fixup_uniformILi128ELi4ELi8EEvPfPK15HIP_vector_typeIfLj2EEiiiiiiS1_IjLj3EES5_S5_ ; -- Begin function _ZL33flash_attn_stream_k_fixup_uniformILi128ELi4ELi8EEvPfPK15HIP_vector_typeIfLj2EEiiiiiiS1_IjLj3EES5_S5_
	.p2align	8
	.type	_ZL33flash_attn_stream_k_fixup_uniformILi128ELi4ELi8EEvPfPK15HIP_vector_typeIfLj2EEiiiiiiS1_IjLj3EES5_S5_,@function
_ZL33flash_attn_stream_k_fixup_uniformILi128ELi4ELi8EEvPfPK15HIP_vector_typeIfLj2EEiiiiiiS1_IjLj3EES5_S5_: ; @_ZL33flash_attn_stream_k_fixup_uniformILi128ELi4ELi8EEvPfPK15HIP_vector_typeIfLj2EEiiiiiiS1_IjLj3EES5_S5_
; %bb.0:
	s_clause 0x1
	s_load_b256 s[4:11], s[0:1], 0x1c
	s_load_b128 s[12:15], s[0:1], 0x3c
	s_wait_kmcnt 0x0
	s_mul_hi_u32 s2, s7, ttmp9
	s_delay_alu instid0(SALU_CYCLE_1) | instskip(NEXT) | instid1(SALU_CYCLE_1)
	s_add_co_i32 s2, ttmp9, s2
	s_lshr_b32 s2, s2, s8
	s_delay_alu instid0(SALU_CYCLE_1) | instskip(SKIP_2) | instid1(SALU_CYCLE_1)
	s_mul_i32 s3, s2, s9
	s_load_b64 s[8:9], s[0:1], 0x10
	s_sub_co_i32 s7, ttmp9, s3
	s_mul_hi_u32 s3, s7, s10
	s_delay_alu instid0(SALU_CYCLE_1) | instskip(NEXT) | instid1(SALU_CYCLE_1)
	s_add_co_i32 s3, s7, s3
	s_lshr_b32 s3, s3, s11
	s_delay_alu instid0(SALU_CYCLE_1) | instskip(NEXT) | instid1(SALU_CYCLE_1)
	s_mul_i32 s10, s3, s12
	s_sub_co_i32 s7, s7, s10
	s_delay_alu instid0(SALU_CYCLE_1) | instskip(NEXT) | instid1(SALU_CYCLE_1)
	s_mul_hi_u32 s10, s7, s13
	s_add_co_i32 s10, s7, s10
	s_delay_alu instid0(SALU_CYCLE_1) | instskip(NEXT) | instid1(SALU_CYCLE_1)
	s_lshr_b32 s12, s10, s14
	s_mul_i32 s10, s12, s15
	s_lshl_b32 s12, s12, 3
	s_sub_co_i32 s11, s7, s10
	s_and_b32 s7, ttmp7, 0xffff
	s_lshl_b32 s13, s11, 2
	s_lshr_b32 s10, ttmp7, 16
	s_add_co_i32 s13, s13, s7
	s_wait_kmcnt 0x0
	s_cmp_lt_i32 s13, s8
	s_cselect_b32 s13, -1, 0
	s_add_co_i32 s14, s12, s10
	s_delay_alu instid0(SALU_CYCLE_1) | instskip(SKIP_1) | instid1(SALU_CYCLE_1)
	s_cmp_lt_i32 s14, s5
	s_cselect_b32 s14, -1, 0
	s_and_b32 s13, s13, s14
	s_delay_alu instid0(SALU_CYCLE_1)
	s_and_not1_b32 vcc_lo, exec_lo, s13
	s_cbranch_vccnz .LBB7_6
; %bb.1:
	s_mul_i32 s2, s2, s8
	s_mul_i32 s5, s3, s5
	s_add_co_i32 s2, s2, s7
	s_delay_alu instid0(SALU_CYCLE_1) | instskip(NEXT) | instid1(SALU_CYCLE_1)
	s_mul_i32 s2, s2, s9
	s_add_co_i32 s8, s2, s10
	s_load_b128 s[0:3], s[0:1], 0x0
	s_add_co_i32 s5, s8, s5
	s_mul_i32 s8, s9, s11
	s_add_co_i32 s5, s5, s12
	s_lshl_b32 s8, s8, 9
	s_lshl_b32 s5, s5, 7
	s_delay_alu instid0(SALU_CYCLE_1)
	s_add_co_i32 s8, s8, s5
	s_lshl_b32 s5, s7, 3
	v_or_b32_e32 v1, s8, v0
	s_mul_i32 s8, s6, ttmp9
	s_wait_alu 0xfffe
	s_add_co_i32 s9, s8, s6
	s_wait_alu 0xfffe
	s_add_co_i32 s12, s9, -2
	v_ashrrev_i32_e32 v2, 31, v1
	s_delay_alu instid0(VALU_DEP_1) | instskip(SKIP_1) | instid1(VALU_DEP_1)
	v_lshlrev_b64_e32 v[1:2], 2, v[1:2]
	s_wait_kmcnt 0x0
	v_add_co_u32 v1, vcc_lo, s0, v1
	s_delay_alu instid0(VALU_DEP_1)
	v_add_co_ci_u32_e64 v2, null, s1, v2, vcc_lo
	s_add_co_i32 s0, s5, s10
	s_lshl_b32 s1, s9, 5
	global_load_b32 v5, v[1:2], off
	s_wait_alu 0xfffe
	s_add_co_i32 s0, s0, s1
	s_wait_alu 0xfffe
	s_sub_co_i32 s0, s0, 32
	s_wait_alu 0xfffe
	s_ashr_i32 s1, s0, 31
	s_wait_alu 0xfffe
	s_lshl_b64 s[0:1], s[0:1], 3
	s_cmp_lt_i32 s12, s8
	s_wait_alu 0xfffe
	s_add_nc_u64 s[0:1], s[2:3], s[0:1]
	s_load_b32 s11, s[0:1], 0x4
	s_cbranch_scc1 .LBB7_4
; %bb.2:
	s_load_b32 s0, s[0:1], 0x0
	s_add_co_i32 s13, ttmp9, 1
	s_lshl_b32 s12, s4, 7
	s_mul_i32 s1, s6, s13
	s_lshl_b32 s6, s7, 10
	s_lshl_b32 s7, s10, 7
	s_wait_alu 0xfffe
	s_lshl_b32 s14, s1, 12
	s_add_co_i32 s6, s7, s6
	s_lshl_b32 s1, s1, 5
	s_add_co_i32 s14, s6, s14
	s_wait_alu 0xfffe
	s_add_co_i32 s1, s10, s1
	v_or_b32_e32 v0, s14, v0
	s_lshl_b32 s4, s4, 5
	s_ashr_i32 s13, s12, 31
	s_wait_alu 0xfffe
	s_add_co_i32 s1, s1, s4
	s_wait_kmcnt 0x0
	v_dual_mov_b32 v6, s11 :: v_dual_add_nc_u32 v3, 0xffffe000, v0
	s_lshl_b64 s[6:7], s[12:13], 2
	s_wait_alu 0xfffe
	s_add_co_i32 s4, s1, s5
	s_add_nc_u64 s[6:7], s[2:3], s[6:7]
	s_add_co_i32 s1, s9, -1
	s_sub_co_i32 s4, s4, 64
.LBB7_3:                                ; =>This Inner Loop Header: Depth=1
	v_ashrrev_i32_e32 v4, 31, v3
	s_ashr_i32 s5, s4, 31
	v_mov_b32_e32 v10, v6
	s_lshl_b64 s[10:11], s[4:5], 3
	s_wait_loadcnt 0x0
	v_mov_b32_e32 v9, v5
	v_lshlrev_b64_e32 v[7:8], 2, v[3:4]
	s_wait_alu 0xfffe
	s_add_nc_u64 s[10:11], s[2:3], s[10:11]
	v_max_num_f32_e64 v4, s0, s0
	s_load_b64 s[10:11], s[10:11], 0x0
	v_add_nc_u32_e32 v3, 0xfffff000, v3
	v_add_co_u32 v7, vcc_lo, s6, v7
	s_wait_alu 0xfffd
	v_add_co_ci_u32_e64 v8, null, s7, v8, vcc_lo
	v_readfirstlane_b32 s5, v4
	global_load_b32 v0, v[7:8], off
	s_wait_kmcnt 0x0
	v_max_num_f32_e64 v4, s10, s10
	s_delay_alu instid0(VALU_DEP_1) | instskip(SKIP_1) | instid1(SALU_CYCLE_3)
	v_readfirstlane_b32 s9, v4
	s_max_num_f32 s5, s5, s9
	s_sub_f32 s0, s0, s5
	s_sub_f32 s9, s10, s5
	s_wait_alu 0xfffe
	s_delay_alu instid0(SALU_CYCLE_1) | instskip(NEXT) | instid1(SALU_CYCLE_1)
	s_mul_f32 s10, s0, 0x3fb8aa3b
	s_mul_f32 s12, s9, 0x3fb8aa3b
	s_wait_alu 0xfffe
	s_delay_alu instid0(SALU_CYCLE_1)
	s_xor_b32 s13, s10, 0x80000000
	s_rndne_f32 s14, s10
	s_fmamk_f32 s13, s0, 0x3fb8aa3b, s13
	s_cmp_nlt_f32 s0, 0xc2ce8ed0
	s_rndne_f32 s15, s12
	s_wait_alu 0xfffe
	s_sub_f32 s10, s10, s14
	s_fmamk_f32 s13, s0, 0x32a5705f, s13
	s_cvt_i32_f32 s14, s14
	s_cselect_b32 vcc_lo, -1, 0
	s_cmp_ngt_f32 s0, 0x42b17218
	s_wait_alu 0xfffe
	s_add_f32 s10, s10, s13
	s_sub_f32 s13, s12, s15
	s_wait_alu 0xfffe
	s_delay_alu instid0(SALU_CYCLE_1) | instskip(SKIP_1) | instid1(TRANS32_DEP_1)
	v_s_exp_f32 s10, s10
	s_wait_alu 0xf1ff
	v_ldexp_f32 v4, s10, s14
	s_cvt_i32_f32 s10, s15
	s_delay_alu instid0(VALU_DEP_1) | instskip(SKIP_3) | instid1(VALU_DEP_1)
	v_cndmask_b32_e32 v4, 0, v4, vcc_lo
	s_cselect_b32 vcc_lo, -1, 0
	s_cmp_ge_f32 s0, 0xc1a00000
	s_wait_alu 0xfffe
	v_cndmask_b32_e32 v4, 0x7f800000, v4, vcc_lo
	s_cselect_b32 vcc_lo, -1, 0
	s_xor_b32 s0, s12, 0x80000000
	s_cmp_nlt_f32 s9, 0xc2ce8ed0
	s_wait_alu 0xfffe
	s_fmamk_f32 s0, s9, 0x3fb8aa3b, s0
	s_wait_alu 0xfffe
	s_delay_alu instid0(SALU_CYCLE_2) | instskip(SKIP_1) | instid1(SALU_CYCLE_2)
	s_fmamk_f32 s0, s9, 0x32a5705f, s0
	s_wait_alu 0xfffe
	s_add_f32 s0, s13, s0
	s_wait_alu 0xfffe
	s_delay_alu instid0(SALU_CYCLE_2) | instskip(SKIP_1) | instid1(TRANS32_DEP_1)
	v_s_exp_f32 s0, s0
	s_wait_alu 0xf1ff
	v_ldexp_f32 v7, s0, s10
	s_cselect_b32 s0, -1, 0
	s_cmp_ngt_f32 s9, 0x42b17218
	s_wait_alu 0xfffe
	s_delay_alu instid0(VALU_DEP_1) | instskip(SKIP_3) | instid1(VALU_DEP_1)
	v_cndmask_b32_e64 v7, 0, v7, s0
	s_cselect_b32 s0, -1, 0
	s_cmp_ge_f32 s9, 0xc1a00000
	s_wait_alu 0xfffe
	v_cndmask_b32_e64 v7, 0x7f800000, v7, s0
	s_cselect_b32 s0, -1, 0
	s_add_co_i32 s1, s1, -1
	s_sub_co_i32 s4, s4, 32
	s_wait_alu 0xfffe
	s_cmp_le_i32 s1, s8
	v_cndmask_b32_e64 v7, 0, v7, s0
	s_mov_b32 s0, s5
	s_wait_loadcnt 0x0
	s_delay_alu instid0(VALU_DEP_1) | instskip(NEXT) | instid1(VALU_DEP_1)
	v_dual_mul_f32 v5, v0, v7 :: v_dual_cndmask_b32 v4, 0, v4
	v_dual_mul_f32 v8, s11, v7 :: v_dual_fmac_f32 v5, v9, v4
	s_delay_alu instid0(VALU_DEP_1) | instskip(NEXT) | instid1(VALU_DEP_1)
	v_mov_b32_e32 v6, v8
	v_fmac_f32_e32 v6, v10, v4
	s_cbranch_scc0 .LBB7_3
	s_branch .LBB7_5
.LBB7_4:
	s_wait_kmcnt 0x0
	v_mov_b32_e32 v6, s11
.LBB7_5:
	s_wait_loadcnt 0x0
	s_delay_alu instid0(VALU_DEP_1) | instskip(NEXT) | instid1(VALU_DEP_1)
	v_div_scale_f32 v0, null, v6, v6, v5
	v_rcp_f32_e32 v3, v0
	s_delay_alu instid0(TRANS32_DEP_1) | instskip(NEXT) | instid1(VALU_DEP_1)
	v_fma_f32 v4, -v0, v3, 1.0
	v_fmac_f32_e32 v3, v4, v3
	v_div_scale_f32 v4, vcc_lo, v5, v6, v5
	s_delay_alu instid0(VALU_DEP_1) | instskip(NEXT) | instid1(VALU_DEP_1)
	v_mul_f32_e32 v7, v4, v3
	v_fma_f32 v8, -v0, v7, v4
	s_delay_alu instid0(VALU_DEP_1) | instskip(NEXT) | instid1(VALU_DEP_1)
	v_fmac_f32_e32 v7, v8, v3
	v_fma_f32 v0, -v0, v7, v4
	s_wait_alu 0xfffd
	s_delay_alu instid0(VALU_DEP_1) | instskip(NEXT) | instid1(VALU_DEP_1)
	v_div_fmas_f32 v0, v0, v3, v7
	v_div_fixup_f32 v0, v0, v6, v5
	global_store_b32 v[1:2], v0, off
.LBB7_6:
	s_endpgm
	.section	.rodata,"a",@progbits
	.p2align	6, 0x0
	.amdhsa_kernel _ZL33flash_attn_stream_k_fixup_uniformILi128ELi4ELi8EEvPfPK15HIP_vector_typeIfLj2EEiiiiiiS1_IjLj3EES5_S5_
		.amdhsa_group_segment_fixed_size 0
		.amdhsa_private_segment_fixed_size 0
		.amdhsa_kernarg_size 76
		.amdhsa_user_sgpr_count 2
		.amdhsa_user_sgpr_dispatch_ptr 0
		.amdhsa_user_sgpr_queue_ptr 0
		.amdhsa_user_sgpr_kernarg_segment_ptr 1
		.amdhsa_user_sgpr_dispatch_id 0
		.amdhsa_user_sgpr_private_segment_size 0
		.amdhsa_wavefront_size32 1
		.amdhsa_uses_dynamic_stack 0
		.amdhsa_enable_private_segment 0
		.amdhsa_system_sgpr_workgroup_id_x 1
		.amdhsa_system_sgpr_workgroup_id_y 1
		.amdhsa_system_sgpr_workgroup_id_z 1
		.amdhsa_system_sgpr_workgroup_info 0
		.amdhsa_system_vgpr_workitem_id 0
		.amdhsa_next_free_vgpr 11
		.amdhsa_next_free_sgpr 16
		.amdhsa_reserve_vcc 1
		.amdhsa_float_round_mode_32 0
		.amdhsa_float_round_mode_16_64 0
		.amdhsa_float_denorm_mode_32 3
		.amdhsa_float_denorm_mode_16_64 3
		.amdhsa_fp16_overflow 0
		.amdhsa_workgroup_processor_mode 1
		.amdhsa_memory_ordered 1
		.amdhsa_forward_progress 1
		.amdhsa_inst_pref_size 9
		.amdhsa_round_robin_scheduling 0
		.amdhsa_exception_fp_ieee_invalid_op 0
		.amdhsa_exception_fp_denorm_src 0
		.amdhsa_exception_fp_ieee_div_zero 0
		.amdhsa_exception_fp_ieee_overflow 0
		.amdhsa_exception_fp_ieee_underflow 0
		.amdhsa_exception_fp_ieee_inexact 0
		.amdhsa_exception_int_div_zero 0
	.end_amdhsa_kernel
	.section	.text._ZL33flash_attn_stream_k_fixup_uniformILi128ELi4ELi8EEvPfPK15HIP_vector_typeIfLj2EEiiiiiiS1_IjLj3EES5_S5_,"axG",@progbits,_ZL33flash_attn_stream_k_fixup_uniformILi128ELi4ELi8EEvPfPK15HIP_vector_typeIfLj2EEiiiiiiS1_IjLj3EES5_S5_,comdat
.Lfunc_end7:
	.size	_ZL33flash_attn_stream_k_fixup_uniformILi128ELi4ELi8EEvPfPK15HIP_vector_typeIfLj2EEiiiiiiS1_IjLj3EES5_S5_, .Lfunc_end7-_ZL33flash_attn_stream_k_fixup_uniformILi128ELi4ELi8EEvPfPK15HIP_vector_typeIfLj2EEiiiiiiS1_IjLj3EES5_S5_
                                        ; -- End function
	.set _ZL33flash_attn_stream_k_fixup_uniformILi128ELi4ELi8EEvPfPK15HIP_vector_typeIfLj2EEiiiiiiS1_IjLj3EES5_S5_.num_vgpr, 11
	.set _ZL33flash_attn_stream_k_fixup_uniformILi128ELi4ELi8EEvPfPK15HIP_vector_typeIfLj2EEiiiiiiS1_IjLj3EES5_S5_.num_agpr, 0
	.set _ZL33flash_attn_stream_k_fixup_uniformILi128ELi4ELi8EEvPfPK15HIP_vector_typeIfLj2EEiiiiiiS1_IjLj3EES5_S5_.numbered_sgpr, 16
	.set _ZL33flash_attn_stream_k_fixup_uniformILi128ELi4ELi8EEvPfPK15HIP_vector_typeIfLj2EEiiiiiiS1_IjLj3EES5_S5_.num_named_barrier, 0
	.set _ZL33flash_attn_stream_k_fixup_uniformILi128ELi4ELi8EEvPfPK15HIP_vector_typeIfLj2EEiiiiiiS1_IjLj3EES5_S5_.private_seg_size, 0
	.set _ZL33flash_attn_stream_k_fixup_uniformILi128ELi4ELi8EEvPfPK15HIP_vector_typeIfLj2EEiiiiiiS1_IjLj3EES5_S5_.uses_vcc, 1
	.set _ZL33flash_attn_stream_k_fixup_uniformILi128ELi4ELi8EEvPfPK15HIP_vector_typeIfLj2EEiiiiiiS1_IjLj3EES5_S5_.uses_flat_scratch, 0
	.set _ZL33flash_attn_stream_k_fixup_uniformILi128ELi4ELi8EEvPfPK15HIP_vector_typeIfLj2EEiiiiiiS1_IjLj3EES5_S5_.has_dyn_sized_stack, 0
	.set _ZL33flash_attn_stream_k_fixup_uniformILi128ELi4ELi8EEvPfPK15HIP_vector_typeIfLj2EEiiiiiiS1_IjLj3EES5_S5_.has_recursion, 0
	.set _ZL33flash_attn_stream_k_fixup_uniformILi128ELi4ELi8EEvPfPK15HIP_vector_typeIfLj2EEiiiiiiS1_IjLj3EES5_S5_.has_indirect_call, 0
	.section	.AMDGPU.csdata,"",@progbits
; Kernel info:
; codeLenInByte = 1140
; TotalNumSgprs: 18
; NumVgprs: 11
; ScratchSize: 0
; MemoryBound: 0
; FloatMode: 240
; IeeeMode: 1
; LDSByteSize: 0 bytes/workgroup (compile time only)
; SGPRBlocks: 0
; VGPRBlocks: 1
; NumSGPRsForWavesPerEU: 18
; NumVGPRsForWavesPerEU: 11
; Occupancy: 16
; WaveLimiterHint : 0
; COMPUTE_PGM_RSRC2:SCRATCH_EN: 0
; COMPUTE_PGM_RSRC2:USER_SGPR: 2
; COMPUTE_PGM_RSRC2:TRAP_HANDLER: 0
; COMPUTE_PGM_RSRC2:TGID_X_EN: 1
; COMPUTE_PGM_RSRC2:TGID_Y_EN: 1
; COMPUTE_PGM_RSRC2:TGID_Z_EN: 1
; COMPUTE_PGM_RSRC2:TIDIG_COMP_CNT: 0
	.section	.text._ZL33flash_attn_stream_k_fixup_generalILi128ELi4ELi8EEvPfPK15HIP_vector_typeIfLj2EEiiiiS1_IjLj3EES5_S5_S5_,"axG",@progbits,_ZL33flash_attn_stream_k_fixup_generalILi128ELi4ELi8EEvPfPK15HIP_vector_typeIfLj2EEiiiiS1_IjLj3EES5_S5_S5_,comdat
	.globl	_ZL33flash_attn_stream_k_fixup_generalILi128ELi4ELi8EEvPfPK15HIP_vector_typeIfLj2EEiiiiS1_IjLj3EES5_S5_S5_ ; -- Begin function _ZL33flash_attn_stream_k_fixup_generalILi128ELi4ELi8EEvPfPK15HIP_vector_typeIfLj2EEiiiiS1_IjLj3EES5_S5_S5_
	.p2align	8
	.type	_ZL33flash_attn_stream_k_fixup_generalILi128ELi4ELi8EEvPfPK15HIP_vector_typeIfLj2EEiiiiS1_IjLj3EES5_S5_S5_,@function
_ZL33flash_attn_stream_k_fixup_generalILi128ELi4ELi8EEvPfPK15HIP_vector_typeIfLj2EEiiiiS1_IjLj3EES5_S5_S5_: ; @_ZL33flash_attn_stream_k_fixup_generalILi128ELi4ELi8EEvPfPK15HIP_vector_typeIfLj2EEiiiiS1_IjLj3EES5_S5_S5_
; %bb.0:
	s_clause 0x1
	s_load_b128 s[4:7], s[0:1], 0x10
	s_load_b32 s16, s[0:1], 0x50
	s_mov_b32 s2, ttmp9
	s_ashr_i32 s3, ttmp9, 31
	s_mov_b32 s17, 0
	s_delay_alu instid0(SALU_CYCLE_1) | instskip(SKIP_3) | instid1(SALU_CYCLE_1)
	s_mov_b32 s8, s17
	s_wait_kmcnt 0x0
	s_ashr_i32 s19, s7, 31
	s_mov_b32 s18, s7
	s_mul_u64 s[2:3], s[18:19], s[2:3]
	s_delay_alu instid0(SALU_CYCLE_1) | instskip(NEXT) | instid1(SALU_CYCLE_1)
	s_mov_b32 s9, s3
	s_cmp_lg_u64 s[8:9], 0
	s_cbranch_scc0 .LBB8_21
; %bb.1:
	s_add_nc_u64 s[8:9], s[16:17], 0
	s_mov_b32 s15, s17
	s_xor_b64 s[8:9], s[8:9], 0
	s_mov_b32 s23, s17
	s_cvt_f32_u32 s7, s8
	s_cvt_f32_u32 s10, s9
	s_sub_nc_u64 s[12:13], 0, s[8:9]
	s_delay_alu instid0(SALU_CYCLE_2) | instskip(NEXT) | instid1(SALU_CYCLE_3)
	s_fmamk_f32 s7, s10, 0x4f800000, s7
	v_s_rcp_f32 s7, s7
	s_delay_alu instid0(TRANS32_DEP_1) | instskip(SKIP_1) | instid1(SALU_CYCLE_2)
	s_mul_f32 s7, s7, 0x5f7ffffc
	s_wait_alu 0xfffe
	s_mul_f32 s10, s7, 0x2f800000
	s_delay_alu instid0(SALU_CYCLE_3) | instskip(NEXT) | instid1(SALU_CYCLE_3)
	s_trunc_f32 s10, s10
	s_fmamk_f32 s7, s10, 0xcf800000, s7
	s_cvt_u32_f32 s11, s10
	s_wait_alu 0xfffe
	s_delay_alu instid0(SALU_CYCLE_1) | instskip(NEXT) | instid1(SALU_CYCLE_3)
	s_cvt_u32_f32 s10, s7
	s_mul_u64 s[20:21], s[12:13], s[10:11]
	s_delay_alu instid0(SALU_CYCLE_1)
	s_mul_hi_u32 s25, s10, s21
	s_mul_i32 s24, s10, s21
	s_mul_hi_u32 s14, s10, s20
	s_mul_i32 s22, s11, s20
	s_add_nc_u64 s[14:15], s[14:15], s[24:25]
	s_mul_hi_u32 s7, s11, s20
	s_mul_hi_u32 s26, s11, s21
	s_add_co_u32 s14, s14, s22
	s_wait_alu 0xfffe
	s_add_co_ci_u32 s22, s15, s7
	s_mul_i32 s20, s11, s21
	s_add_co_ci_u32 s21, s26, 0
	s_delay_alu instid0(SALU_CYCLE_1)
	s_add_nc_u64 s[14:15], s[22:23], s[20:21]
	s_mov_b32 s21, s17
	s_add_co_u32 s10, s10, s14
	s_cselect_b32 s7, -1, 0
	s_wait_alu 0xfffe
	s_cmp_lg_u32 s7, 0
	s_add_co_ci_u32 s11, s11, s15
	s_mov_b32 s15, s17
	s_mul_u64 s[12:13], s[12:13], s[10:11]
	s_delay_alu instid0(SALU_CYCLE_1)
	s_mul_hi_u32 s23, s10, s13
	s_mul_i32 s22, s10, s13
	s_mul_hi_u32 s14, s10, s12
	s_mul_i32 s20, s11, s12
	s_add_nc_u64 s[14:15], s[14:15], s[22:23]
	s_mul_hi_u32 s7, s11, s12
	s_mul_hi_u32 s24, s11, s13
	s_mul_i32 s12, s11, s13
	s_add_co_u32 s13, s14, s20
	s_wait_alu 0xfffe
	s_add_co_ci_u32 s20, s15, s7
	s_add_co_ci_u32 s13, s24, 0
	s_mov_b32 s15, s17
	s_add_nc_u64 s[12:13], s[20:21], s[12:13]
	s_delay_alu instid0(SALU_CYCLE_1) | instskip(SKIP_1) | instid1(SALU_CYCLE_1)
	s_add_co_u32 s7, s10, s12
	s_cselect_b32 s10, -1, 0
	s_cmp_lg_u32 s10, 0
	s_add_co_ci_u32 s20, s11, s13
	s_ashr_i32 s10, s3, 31
	s_delay_alu instid0(SALU_CYCLE_1) | instskip(NEXT) | instid1(SALU_CYCLE_1)
	s_mov_b32 s11, s10
	s_add_nc_u64 s[12:13], s[2:3], s[10:11]
	s_delay_alu instid0(SALU_CYCLE_1) | instskip(NEXT) | instid1(SALU_CYCLE_1)
	s_xor_b64 s[12:13], s[12:13], s[10:11]
	s_mul_hi_u32 s23, s12, s20
	s_mul_i32 s22, s12, s20
	s_wait_alu 0xfffe
	s_mul_hi_u32 s14, s12, s7
	s_mul_hi_u32 s24, s13, s7
	s_mul_i32 s7, s13, s7
	s_add_nc_u64 s[14:15], s[14:15], s[22:23]
	s_mul_hi_u32 s3, s13, s20
	s_wait_alu 0xfffe
	s_add_co_u32 s7, s14, s7
	s_mul_i32 s22, s13, s20
	s_add_co_ci_u32 s20, s15, s24
	s_add_co_ci_u32 s23, s3, 0
	s_delay_alu instid0(SALU_CYCLE_1) | instskip(NEXT) | instid1(SALU_CYCLE_1)
	s_add_nc_u64 s[14:15], s[20:21], s[22:23]
	s_mul_u64 s[20:21], s[8:9], s[14:15]
	s_delay_alu instid0(SALU_CYCLE_1)
	s_sub_co_u32 s3, s12, s20
	s_cselect_b32 s7, -1, 0
	s_sub_co_i32 s12, s13, s21
	s_wait_alu 0xfffe
	s_cmp_lg_u32 s7, 0
	s_sub_co_ci_u32 s12, s12, s9
	s_sub_co_u32 s20, s3, s8
	s_cselect_b32 s22, -1, 0
	s_delay_alu instid0(SALU_CYCLE_1) | instskip(SKIP_2) | instid1(SALU_CYCLE_1)
	s_cmp_lg_u32 s22, 0
	s_add_nc_u64 s[22:23], s[14:15], 1
	s_sub_co_ci_u32 s12, s12, 0
	s_cmp_ge_u32 s12, s9
	s_cselect_b32 s24, -1, 0
	s_cmp_ge_u32 s20, s8
	s_cselect_b32 s20, -1, 0
	s_cmp_eq_u32 s12, s9
	s_cselect_b32 s12, s20, s24
	s_add_nc_u64 s[24:25], s[14:15], 2
	s_cmp_lg_u32 s12, 0
	s_cselect_b32 s12, s24, s22
	s_cselect_b32 s20, s25, s23
	s_cmp_lg_u32 s7, 0
	s_sub_co_ci_u32 s7, s13, s21
	s_wait_alu 0xfffe
	s_cmp_ge_u32 s7, s9
	s_cselect_b32 s13, -1, 0
	s_cmp_ge_u32 s3, s8
	s_cselect_b32 s3, -1, 0
	s_cmp_eq_u32 s7, s9
	s_cselect_b32 s3, s3, s13
	s_delay_alu instid0(SALU_CYCLE_1) | instskip(SKIP_4) | instid1(SALU_CYCLE_1)
	s_cmp_lg_u32 s3, 0
	s_mov_b32 s3, s17
	s_cselect_b32 s9, s20, s15
	s_cselect_b32 s8, s12, s14
	s_xor_b64 s[10:11], s[10:11], 0
	s_xor_b64 s[8:9], s[8:9], s[10:11]
	s_delay_alu instid0(SALU_CYCLE_1)
	s_sub_nc_u64 s[20:21], s[8:9], s[10:11]
	s_and_not1_b32 vcc_lo, exec_lo, s3
	s_cbranch_vccnz .LBB8_3
.LBB8_2:
	v_cvt_f32_u32_e32 v1, s16
	s_sub_co_i32 s7, 0, s16
	s_delay_alu instid0(VALU_DEP_1) | instskip(NEXT) | instid1(TRANS32_DEP_1)
	v_rcp_iflag_f32_e32 v1, v1
	v_mul_f32_e32 v1, 0x4f7ffffe, v1
	s_delay_alu instid0(VALU_DEP_1) | instskip(NEXT) | instid1(VALU_DEP_1)
	v_cvt_u32_f32_e32 v1, v1
	v_readfirstlane_b32 s3, v1
	s_wait_alu 0xfffe
	s_mul_i32 s7, s7, s3
	s_wait_alu 0xfffe
	s_mul_hi_u32 s7, s3, s7
	s_wait_alu 0xfffe
	s_add_co_i32 s3, s3, s7
	s_delay_alu instid0(SALU_CYCLE_1) | instskip(NEXT) | instid1(SALU_CYCLE_1)
	s_mul_hi_u32 s3, s2, s3
	s_mul_i32 s7, s3, s16
	s_wait_alu 0xfffe
	s_sub_co_i32 s2, s2, s7
	s_add_co_i32 s7, s3, 1
	s_sub_co_i32 s8, s2, s16
	s_cmp_ge_u32 s2, s16
	s_wait_alu 0xfffe
	s_cselect_b32 s3, s7, s3
	s_cselect_b32 s2, s8, s2
	s_add_co_i32 s7, s3, 1
	s_cmp_ge_u32 s2, s16
	s_wait_alu 0xfffe
	s_cselect_b32 s20, s7, s3
.LBB8_3:
	s_add_co_i32 s2, ttmp9, 1
	s_mov_b32 s8, 0
	s_ashr_i32 s3, s2, 31
	s_delay_alu instid0(SALU_CYCLE_1) | instskip(NEXT) | instid1(SALU_CYCLE_1)
	s_mul_u64 s[2:3], s[18:19], s[2:3]
	s_mov_b32 s9, s3
	s_delay_alu instid0(SALU_CYCLE_1)
	s_cmp_lg_u64 s[8:9], 0
	s_cbranch_scc0 .LBB8_22
; %bb.4:
	s_add_nc_u64 s[10:11], s[16:17], 0
	s_mov_b32 s23, s8
	s_xor_b64 s[10:11], s[10:11], 0
	s_mov_b32 s27, s8
	s_cvt_f32_u32 s7, s10
	s_cvt_f32_u32 s9, s11
	s_sub_nc_u64 s[14:15], 0, s[10:11]
	s_wait_alu 0xfffe
	s_delay_alu instid0(SALU_CYCLE_1) | instskip(SKIP_1) | instid1(SALU_CYCLE_2)
	s_fmamk_f32 s7, s9, 0x4f800000, s7
	s_wait_alu 0xfffe
	v_s_rcp_f32 s7, s7
	s_delay_alu instid0(TRANS32_DEP_1) | instskip(SKIP_1) | instid1(SALU_CYCLE_2)
	s_mul_f32 s7, s7, 0x5f7ffffc
	s_wait_alu 0xfffe
	s_mul_f32 s9, s7, 0x2f800000
	s_delay_alu instid0(SALU_CYCLE_3) | instskip(NEXT) | instid1(SALU_CYCLE_3)
	s_trunc_f32 s9, s9
	s_fmamk_f32 s7, s9, 0xcf800000, s7
	s_cvt_u32_f32 s13, s9
	s_wait_alu 0xfffe
	s_delay_alu instid0(SALU_CYCLE_1) | instskip(NEXT) | instid1(SALU_CYCLE_3)
	s_cvt_u32_f32 s12, s7
	s_mul_u64 s[24:25], s[14:15], s[12:13]
	s_delay_alu instid0(SALU_CYCLE_1)
	s_mul_hi_u32 s29, s12, s25
	s_mul_i32 s28, s12, s25
	s_mul_hi_u32 s22, s12, s24
	s_mul_i32 s9, s13, s24
	s_add_nc_u64 s[22:23], s[22:23], s[28:29]
	s_mul_hi_u32 s7, s13, s24
	s_mul_hi_u32 s21, s13, s25
	s_add_co_u32 s9, s22, s9
	s_wait_alu 0xfffe
	s_add_co_ci_u32 s26, s23, s7
	s_mul_i32 s24, s13, s25
	s_add_co_ci_u32 s25, s21, 0
	s_delay_alu instid0(SALU_CYCLE_1)
	s_add_nc_u64 s[22:23], s[26:27], s[24:25]
	s_mov_b32 s25, s8
	s_add_co_u32 s12, s12, s22
	s_cselect_b32 s7, -1, 0
	s_wait_alu 0xfffe
	s_cmp_lg_u32 s7, 0
	s_add_co_ci_u32 s13, s13, s23
	s_mov_b32 s23, s8
	s_mul_u64 s[14:15], s[14:15], s[12:13]
	s_delay_alu instid0(SALU_CYCLE_1)
	s_mul_hi_u32 s27, s12, s15
	s_mul_i32 s26, s12, s15
	s_mul_hi_u32 s22, s12, s14
	s_mul_i32 s9, s13, s14
	s_add_nc_u64 s[22:23], s[22:23], s[26:27]
	s_mul_hi_u32 s7, s13, s14
	s_mul_hi_u32 s21, s13, s15
	s_add_co_u32 s9, s22, s9
	s_wait_alu 0xfffe
	s_add_co_ci_u32 s24, s23, s7
	s_mul_i32 s14, s13, s15
	s_add_co_ci_u32 s15, s21, 0
	s_mov_b32 s23, s8
	s_add_nc_u64 s[14:15], s[24:25], s[14:15]
	s_delay_alu instid0(SALU_CYCLE_1) | instskip(SKIP_1) | instid1(SALU_CYCLE_1)
	s_add_co_u32 s7, s12, s14
	s_cselect_b32 s9, -1, 0
	s_cmp_lg_u32 s9, 0
	s_add_co_ci_u32 s9, s13, s15
	s_ashr_i32 s12, s3, 31
	s_delay_alu instid0(SALU_CYCLE_1) | instskip(NEXT) | instid1(SALU_CYCLE_1)
	s_mov_b32 s13, s12
	s_add_nc_u64 s[14:15], s[2:3], s[12:13]
	s_delay_alu instid0(SALU_CYCLE_1) | instskip(NEXT) | instid1(SALU_CYCLE_1)
	s_xor_b64 s[14:15], s[14:15], s[12:13]
	s_mul_hi_u32 s27, s14, s9
	s_mul_i32 s26, s14, s9
	s_wait_alu 0xfffe
	s_mul_hi_u32 s22, s14, s7
	s_mul_hi_u32 s21, s15, s7
	s_mul_i32 s7, s15, s7
	s_add_nc_u64 s[22:23], s[22:23], s[26:27]
	s_mul_hi_u32 s3, s15, s9
	s_wait_alu 0xfffe
	s_add_co_u32 s7, s22, s7
	s_add_co_ci_u32 s24, s23, s21
	s_mul_i32 s26, s15, s9
	s_add_co_ci_u32 s27, s3, 0
	s_delay_alu instid0(SALU_CYCLE_1) | instskip(NEXT) | instid1(SALU_CYCLE_1)
	s_add_nc_u64 s[22:23], s[24:25], s[26:27]
	s_mul_u64 s[24:25], s[10:11], s[22:23]
	s_add_nc_u64 s[26:27], s[22:23], 1
	s_sub_co_u32 s3, s14, s24
	s_cselect_b32 s7, -1, 0
	s_sub_co_i32 s9, s15, s25
	s_wait_alu 0xfffe
	s_cmp_lg_u32 s7, 0
	s_add_nc_u64 s[28:29], s[22:23], 2
	s_sub_co_ci_u32 s9, s9, s11
	s_sub_co_u32 s14, s3, s10
	s_cselect_b32 s21, -1, 0
	s_delay_alu instid0(SALU_CYCLE_1) | instskip(SKIP_1) | instid1(SALU_CYCLE_1)
	s_cmp_lg_u32 s21, 0
	s_sub_co_ci_u32 s9, s9, 0
	s_cmp_ge_u32 s9, s11
	s_cselect_b32 s21, -1, 0
	s_cmp_ge_u32 s14, s10
	s_cselect_b32 s14, -1, 0
	s_cmp_eq_u32 s9, s11
	s_cselect_b32 s9, s14, s21
	s_delay_alu instid0(SALU_CYCLE_1)
	s_cmp_lg_u32 s9, 0
	s_cselect_b32 s9, s28, s26
	s_cselect_b32 s14, s29, s27
	s_cmp_lg_u32 s7, 0
	s_sub_co_ci_u32 s7, s15, s25
	s_wait_alu 0xfffe
	s_cmp_ge_u32 s7, s11
	s_cselect_b32 s15, -1, 0
	s_cmp_ge_u32 s3, s10
	s_cselect_b32 s3, -1, 0
	s_cmp_eq_u32 s7, s11
	s_cselect_b32 s3, s3, s15
	s_delay_alu instid0(SALU_CYCLE_1) | instskip(SKIP_3) | instid1(SALU_CYCLE_1)
	s_cmp_lg_u32 s3, 0
	s_cselect_b32 s11, s14, s23
	s_cselect_b32 s10, s9, s22
	s_xor_b64 s[12:13], s[12:13], 0
	s_xor_b64 s[10:11], s[10:11], s[12:13]
	s_delay_alu instid0(SALU_CYCLE_1)
	s_sub_nc_u64 s[10:11], s[10:11], s[12:13]
	s_load_b96 s[12:14], s[0:1], 0x44
	s_and_not1_b32 vcc_lo, exec_lo, s8
	s_cbranch_vccnz .LBB8_6
.LBB8_5:
	v_cvt_f32_u32_e32 v1, s16
	s_sub_co_i32 s7, 0, s16
	s_delay_alu instid0(VALU_DEP_1) | instskip(NEXT) | instid1(TRANS32_DEP_1)
	v_rcp_iflag_f32_e32 v1, v1
	v_mul_f32_e32 v1, 0x4f7ffffe, v1
	s_delay_alu instid0(VALU_DEP_1) | instskip(NEXT) | instid1(VALU_DEP_1)
	v_cvt_u32_f32_e32 v1, v1
	v_readfirstlane_b32 s3, v1
	s_wait_alu 0xfffe
	s_mul_i32 s7, s7, s3
	s_wait_alu 0xfffe
	s_mul_hi_u32 s7, s3, s7
	s_wait_alu 0xfffe
	s_add_co_i32 s3, s3, s7
	s_delay_alu instid0(SALU_CYCLE_1) | instskip(NEXT) | instid1(SALU_CYCLE_1)
	s_mul_hi_u32 s3, s2, s3
	s_mul_i32 s7, s3, s16
	s_wait_alu 0xfffe
	s_sub_co_i32 s2, s2, s7
	s_add_co_i32 s7, s3, 1
	s_sub_co_i32 s8, s2, s16
	s_cmp_ge_u32 s2, s16
	s_wait_alu 0xfffe
	s_cselect_b32 s3, s7, s3
	s_cselect_b32 s2, s8, s2
	s_add_co_i32 s7, s3, 1
	s_cmp_ge_u32 s2, s16
	s_wait_alu 0xfffe
	s_cselect_b32 s10, s7, s3
.LBB8_6:
	s_mov_b32 s21, 0
	s_wait_kmcnt 0x0
	s_mov_b32 s22, s12
	s_mov_b32 s23, s21
	s_cmp_eq_u32 s20, s10
	s_mul_u64 s[2:3], s[20:21], s[22:23]
	s_cselect_b32 s7, -1, 0
	s_add_co_i32 s2, s3, s20
	s_mov_b32 s11, s21
	s_lshr_b32 s12, s2, s13
	s_mul_u64 s[2:3], s[10:11], s[22:23]
	s_mul_i32 s2, s12, s14
	s_delay_alu instid0(SALU_CYCLE_1) | instskip(SKIP_2) | instid1(SALU_CYCLE_1)
	s_cmp_eq_u32 s2, s20
	s_cselect_b32 s2, -1, 0
	s_add_co_i32 s3, s3, s10
	s_lshr_b32 s3, s3, s13
	s_delay_alu instid0(SALU_CYCLE_1)
	s_cmp_eq_u32 s12, s3
	s_mul_i32 s3, s3, s14
	s_cselect_b32 s8, -1, 0
	s_cmp_lg_u32 s3, s10
	s_cselect_b32 s3, -1, 0
	s_wait_alu 0xfffe
	s_or_b32 s2, s7, s2
	s_and_b32 s3, s8, s3
	s_delay_alu instid0(SALU_CYCLE_1) | instskip(NEXT) | instid1(SALU_CYCLE_1)
	s_or_b32 s2, s2, s3
	s_and_b32 vcc_lo, exec_lo, s2
	s_cbranch_vccnz .LBB8_24
; %bb.7:
	s_load_b256 s[24:31], s[0:1], 0x20
	s_mov_b32 s3, s21
	s_wait_kmcnt 0x0
	s_mov_b32 s2, s24
	s_delay_alu instid0(SALU_CYCLE_1) | instskip(NEXT) | instid1(SALU_CYCLE_1)
	s_mul_u64 s[2:3], s[20:21], s[2:3]
	s_add_co_i32 s2, s3, s20
	s_delay_alu instid0(SALU_CYCLE_1) | instskip(SKIP_2) | instid1(SALU_CYCLE_1)
	s_lshr_b32 s7, s2, s25
	s_load_b32 s2, s[0:1], 0x40
	s_mul_i32 s3, s7, s26
	s_sub_co_i32 s3, s20, s3
	s_delay_alu instid0(SALU_CYCLE_1) | instskip(NEXT) | instid1(SALU_CYCLE_1)
	s_mul_hi_u32 s8, s3, s27
	s_add_co_i32 s8, s3, s8
	s_delay_alu instid0(SALU_CYCLE_1) | instskip(NEXT) | instid1(SALU_CYCLE_1)
	s_lshr_b32 s8, s8, s28
	s_mul_i32 s9, s8, s29
	s_delay_alu instid0(SALU_CYCLE_1) | instskip(NEXT) | instid1(SALU_CYCLE_1)
	s_sub_co_i32 s9, s3, s9
	s_mul_hi_u32 s3, s9, s30
	s_delay_alu instid0(SALU_CYCLE_1) | instskip(NEXT) | instid1(SALU_CYCLE_1)
	s_add_co_i32 s3, s9, s3
	s_lshr_b32 s24, s3, s31
	s_mov_b32 s3, s21
	s_wait_kmcnt 0x0
	s_mul_i32 s2, s24, s2
	s_lshl_b32 s21, s24, 3
	s_sub_co_i32 s2, s9, s2
	s_delay_alu instid0(SALU_CYCLE_1) | instskip(SKIP_2) | instid1(SALU_CYCLE_1)
	s_mul_u64 s[10:11], s[2:3], s[22:23]
	s_lshr_b32 s3, ttmp7, 16
	s_add_co_i32 s2, s2, s11
	s_lshr_b32 s15, s2, s13
	s_and_b32 s2, ttmp7, 0xffff
	s_lshl_b32 s9, s15, 2
	s_delay_alu instid0(SALU_CYCLE_1) | instskip(NEXT) | instid1(SALU_CYCLE_1)
	s_add_co_i32 s9, s9, s2
	s_cmp_lt_i32 s9, s4
	s_cselect_b32 s9, -1, 0
	s_add_co_i32 s10, s21, s3
	s_delay_alu instid0(SALU_CYCLE_1) | instskip(SKIP_1) | instid1(SALU_CYCLE_1)
	s_cmp_lt_i32 s10, s6
	s_cselect_b32 s10, -1, 0
	s_and_b32 s9, s9, s10
	s_delay_alu instid0(SALU_CYCLE_1)
	s_and_not1_b32 vcc_lo, exec_lo, s9
	s_cbranch_vccnz .LBB8_24
; %bb.8:
	s_mul_i32 s4, s7, s4
	s_mul_i32 s6, s8, s6
	s_add_co_i32 s4, s4, s2
	s_load_b128 s[8:11], s[0:1], 0x0
	s_mul_i32 s4, s4, s5
	s_mul_i32 s1, s5, s15
	s_add_co_i32 s4, s4, s3
	s_lshl_b32 s1, s1, 9
	s_add_co_i32 s0, s4, s6
	s_lshl_b32 s15, s2, 3
	s_add_co_i32 s0, s0, s21
	s_add_co_i32 s15, s15, s3
	s_lshl_b32 s0, s0, 7
	v_cvt_f32_u32_e32 v4, s16
	s_add_co_i32 s1, s1, s0
	s_add_co_i32 s34, ttmp9, -1
	v_or_b32_e32 v1, s1, v0
	s_add_nc_u64 s[0:1], s[16:17], 0
	v_rcp_iflag_f32_e32 v4, v4
	s_wait_alu 0xfffe
	s_xor_b64 s[6:7], s[0:1], 0
	s_lshl_b32 s0, ttmp9, 5
	v_ashrrev_i32_e32 v2, 31, v1
	s_wait_alu 0xfffe
	s_cvt_f32_u32 s1, s6
	s_cvt_f32_u32 s2, s7
	s_add_co_i32 s0, s15, s0
	v_lshl_or_b32 v0, s15, 7, v0
	v_lshlrev_b64_e32 v[1:2], 2, v[1:2]
	s_wait_alu 0xfffe
	s_fmamk_f32 s2, s2, 0x4f800000, s1
	s_ashr_i32 s1, s0, 31
	s_sub_nc_u64 s[30:31], 0, s[6:7]
	s_wait_alu 0xfffe
	s_lshl_b64 s[0:1], s[0:1], 3
	v_s_rcp_f32 s2, s2
	s_wait_kmcnt 0x0
	v_add_co_u32 v1, vcc_lo, s8, v1
	s_delay_alu instid0(VALU_DEP_1)
	v_add_co_ci_u32_e64 v2, null, s9, v2, vcc_lo
	s_wait_alu 0xfffe
	s_add_nc_u64 s[0:1], s[10:11], s[0:1]
	s_mov_b32 s8, 0
	s_load_b64 s[26:27], s[0:1], 0x0
	global_load_b32 v3, v[1:2], off
	s_mul_f32 s2, s2, 0x5f7ffffc
	v_mul_f32_e32 v4, 0x4f7ffffe, v4
	s_lshl_b32 s0, s16, 7
	s_wait_alu 0xfffe
	s_mul_f32 s1, s2, 0x2f800000
	s_wait_alu 0xfffe
	s_delay_alu instid0(SALU_CYCLE_2)
	s_trunc_f32 s3, s1
	s_mov_b32 s1, s8
	s_wait_alu 0xfffe
	s_lshl_b64 s[0:1], s[0:1], 2
	s_fmamk_f32 s2, s3, 0xcf800000, s2
	s_cvt_u32_f32 s29, s3
	s_wait_alu 0xfffe
	s_add_nc_u64 s[24:25], s[10:11], s[0:1]
	s_cvt_u32_f32 s28, s2
	s_wait_kmcnt 0x0
	v_mov_b32_e32 v5, s27
	v_cvt_u32_f32_e32 v4, v4
.LBB8_9:                                ; =>This Inner Loop Header: Depth=1
	s_wait_alu 0xfffe
	s_ashr_i32 s35, s34, 31
	s_mov_b32 s2, -1
	s_wait_alu 0xfffe
	s_mul_u64 s[0:1], s[34:35], s[18:19]
                                        ; implicit-def: $sgpr38_sgpr39
	s_wait_alu 0xfffe
	s_mov_b32 s9, s1
	s_wait_alu 0xfffe
	s_cmp_lg_u64 s[8:9], 0
	s_cbranch_scc0 .LBB8_11
; %bb.10:                               ;   in Loop: Header=BB8_9 Depth=1
	s_mul_u64 s[2:3], s[30:31], s[28:29]
	s_mov_b32 s37, s8
	s_wait_alu 0xfffe
	s_mul_hi_u32 s5, s28, s3
	s_mul_i32 s4, s28, s3
	s_mul_hi_u32 s36, s28, s2
	s_mul_hi_u32 s9, s29, s2
	s_wait_alu 0xfffe
	s_add_nc_u64 s[4:5], s[36:37], s[4:5]
	s_mul_i32 s2, s29, s2
	s_mul_hi_u32 s17, s29, s3
	s_wait_alu 0xfffe
	s_add_co_u32 s2, s4, s2
	s_add_co_ci_u32 s2, s5, s9
	s_add_co_ci_u32 s5, s17, 0
	s_mul_i32 s4, s29, s3
	s_mov_b32 s3, s8
	s_mov_b32 s39, s8
	s_wait_alu 0xfffe
	s_add_nc_u64 s[2:3], s[2:3], s[4:5]
	s_wait_alu 0xfffe
	s_add_co_u32 s2, s28, s2
	s_cselect_b32 s4, -1, 0
	s_wait_alu 0xfffe
	s_cmp_lg_u32 s4, 0
	s_add_co_ci_u32 s3, s29, s3
	s_wait_alu 0xfffe
	s_mul_u64 s[4:5], s[30:31], s[2:3]
	s_wait_alu 0xfffe
	s_mul_hi_u32 s37, s2, s5
	s_mul_i32 s36, s2, s5
	s_mul_hi_u32 s38, s2, s4
	s_mul_hi_u32 s9, s3, s4
	s_mul_i32 s4, s3, s4
	s_wait_alu 0xfffe
	s_add_nc_u64 s[36:37], s[38:39], s[36:37]
	s_mul_hi_u32 s17, s3, s5
	s_wait_alu 0xfffe
	s_add_co_u32 s4, s36, s4
	s_add_co_ci_u32 s4, s37, s9
	s_add_co_ci_u32 s37, s17, 0
	s_mul_i32 s36, s3, s5
	s_mov_b32 s5, s8
	s_wait_alu 0xfffe
	s_add_nc_u64 s[4:5], s[4:5], s[36:37]
	s_mov_b32 s37, s8
	s_wait_alu 0xfffe
	s_add_co_u32 s9, s2, s4
	s_cselect_b32 s2, -1, 0
	s_wait_alu 0xfffe
	s_cmp_lg_u32 s2, 0
	s_add_co_ci_u32 s17, s3, s5
	s_ashr_i32 s2, s1, 31
	s_wait_alu 0xfffe
	s_mov_b32 s3, s2
	s_wait_alu 0xfffe
	s_add_nc_u64 s[4:5], s[0:1], s[2:3]
	s_wait_alu 0xfffe
	s_xor_b64 s[4:5], s[4:5], s[2:3]
	s_wait_alu 0xfffe
	s_mul_hi_u32 s39, s4, s17
	s_mul_i32 s38, s4, s17
	s_mul_hi_u32 s36, s4, s9
	s_mul_i32 s21, s5, s9
	s_wait_alu 0xfffe
	s_add_nc_u64 s[36:37], s[36:37], s[38:39]
	s_mul_hi_u32 s9, s5, s9
	s_mul_hi_u32 s1, s5, s17
	s_wait_alu 0xfffe
	s_add_co_u32 s21, s36, s21
	s_add_co_ci_u32 s36, s37, s9
	s_add_co_ci_u32 s39, s1, 0
	s_mul_i32 s38, s5, s17
	s_mov_b32 s37, s8
	s_wait_alu 0xfffe
	s_add_nc_u64 s[36:37], s[36:37], s[38:39]
	s_wait_alu 0xfffe
	s_mul_u64 s[38:39], s[6:7], s[36:37]
	s_add_nc_u64 s[40:41], s[36:37], 1
	s_sub_co_u32 s1, s4, s38
	s_cselect_b32 s4, -1, 0
	s_sub_co_i32 s9, s5, s39
	s_wait_alu 0xfffe
	s_cmp_lg_u32 s4, 0
	s_add_nc_u64 s[42:43], s[36:37], 2
	s_sub_co_ci_u32 s9, s9, s7
	s_sub_co_u32 s17, s1, s6
	s_cselect_b32 s21, -1, 0
	s_delay_alu instid0(SALU_CYCLE_1)
	s_cmp_lg_u32 s21, 0
	s_wait_alu 0xfffe
	s_sub_co_ci_u32 s9, s9, 0
	s_wait_alu 0xfffe
	s_cmp_ge_u32 s9, s7
	s_cselect_b32 s21, -1, 0
	s_cmp_ge_u32 s17, s6
	s_cselect_b32 s17, -1, 0
	s_cmp_eq_u32 s9, s7
	s_wait_alu 0xfffe
	s_cselect_b32 s9, s17, s21
	s_wait_alu 0xfffe
	s_cmp_lg_u32 s9, 0
	s_cselect_b32 s9, s42, s40
	s_cselect_b32 s17, s43, s41
	s_cmp_lg_u32 s4, 0
	s_sub_co_ci_u32 s4, s5, s39
	s_wait_alu 0xfffe
	s_cmp_ge_u32 s4, s7
	s_cselect_b32 s5, -1, 0
	s_cmp_ge_u32 s1, s6
	s_cselect_b32 s1, -1, 0
	s_cmp_eq_u32 s4, s7
	s_wait_alu 0xfffe
	s_cselect_b32 s1, s1, s5
	s_wait_alu 0xfffe
	s_cmp_lg_u32 s1, 0
	s_cselect_b32 s5, s17, s37
	s_cselect_b32 s4, s9, s36
	s_xor_b64 s[2:3], s[2:3], 0
	s_wait_alu 0xfffe
	s_xor_b64 s[4:5], s[4:5], s[2:3]
	s_wait_alu 0xfffe
	s_sub_nc_u64 s[38:39], s[4:5], s[2:3]
	s_mov_b32 s2, 0
.LBB8_11:                               ;   in Loop: Header=BB8_9 Depth=1
	s_wait_alu 0xfffe
	s_and_not1_b32 vcc_lo, exec_lo, s2
	s_wait_alu 0xfffe
	s_cbranch_vccnz .LBB8_13
; %bb.12:                               ;   in Loop: Header=BB8_9 Depth=1
	v_readfirstlane_b32 s1, v4
	s_sub_co_i32 s2, 0, s16
	s_wait_alu 0xfffe
	s_mul_i32 s2, s2, s1
	s_wait_alu 0xfffe
	s_mul_hi_u32 s2, s1, s2
	s_wait_alu 0xfffe
	s_add_co_i32 s1, s1, s2
	s_wait_alu 0xfffe
	s_mul_hi_u32 s1, s0, s1
	s_wait_alu 0xfffe
	s_mul_i32 s2, s1, s16
	s_wait_alu 0xfffe
	s_sub_co_i32 s0, s0, s2
	s_add_co_i32 s2, s1, 1
	s_wait_alu 0xfffe
	s_sub_co_i32 s3, s0, s16
	s_cmp_ge_u32 s0, s16
	s_cselect_b32 s1, s2, s1
	s_wait_alu 0xfffe
	s_cselect_b32 s0, s3, s0
	s_add_co_i32 s2, s1, 1
	s_wait_alu 0xfffe
	s_cmp_ge_u32 s0, s16
	s_cselect_b32 s38, s2, s1
.LBB8_13:                               ;   in Loop: Header=BB8_9 Depth=1
	v_readfirstlane_b32 s9, v0
	s_cmp_lg_u32 s20, s38
	s_mov_b32 s0, -1
                                        ; implicit-def: $sgpr21
                                        ; implicit-def: $vgpr6
                                        ; implicit-def: $vgpr7
                                        ; implicit-def: $sgpr17
                                        ; implicit-def: $sgpr27
	s_cbranch_scc1 .LBB8_16
; %bb.14:                               ;   in Loop: Header=BB8_9 Depth=1
	s_wait_alu 0xfffe
	s_and_not1_b32 vcc_lo, exec_lo, s0
	s_wait_alu 0xfffe
	s_cbranch_vccz .LBB8_19
.LBB8_15:                               ;   in Loop: Header=BB8_9 Depth=1
	s_and_not1_b32 vcc_lo, exec_lo, s21
	s_wait_alu 0xfffe
	s_cbranch_vccnz .LBB8_20
	s_branch .LBB8_23
.LBB8_16:                               ;   in Loop: Header=BB8_9 Depth=1
	s_add_co_i32 s0, s34, s16
	s_mov_b32 s1, s8
	s_wait_alu 0xfffe
	s_lshl_b32 s0, s0, 5
	v_max_num_f32_e64 v6, s26, s26
	s_wait_alu 0xfffe
	s_add_co_i32 s0, s0, s15
	s_mov_b32 s39, s8
	s_wait_alu 0xfffe
	s_lshl_b64 s[0:1], s[0:1], 3
	s_mul_u64 s[40:41], s[38:39], s[22:23]
	s_wait_alu 0xfffe
	s_add_nc_u64 s[0:1], s[10:11], s[0:1]
	s_mov_b32 s27, s20
	s_load_b64 s[36:37], s[0:1], 0x0
	v_readfirstlane_b32 s0, v6
	s_wait_kmcnt 0x0
	v_max_num_f32_e64 v7, s36, s36
	s_delay_alu instid0(VALU_DEP_1) | instskip(SKIP_2) | instid1(SALU_CYCLE_2)
	v_readfirstlane_b32 s1, v7
	s_max_num_f32 s9, s0, s1
	s_wait_alu 0xfffe
	s_sub_f32 s33, s26, s9
	s_sub_f32 s35, s36, s9
	s_wait_alu 0xfffe
	s_delay_alu instid0(SALU_CYCLE_1)
	s_cmp_nlt_f32 s33, 0xc2ce8ed0
	s_cselect_b32 s0, -1, 0
	s_cmp_ngt_f32 s33, 0x42b17218
	s_cselect_b32 s1, -1, 0
	s_cmp_ge_f32 s33, 0xc1a00000
	s_cselect_b32 s2, -1, 0
	s_cmp_nlt_f32 s35, 0xc2ce8ed0
	s_cselect_b32 s3, -1, 0
	s_cmp_ngt_f32 s35, 0x42b17218
	s_cselect_b32 s4, -1, 0
	s_cmp_ge_f32 s35, 0xc1a00000
	s_cselect_b32 s5, -1, 0
	s_add_co_i32 s17, s41, s38
	s_wait_alu 0xfffe
	s_lshr_b32 s17, s17, s13
	s_wait_alu 0xfffe
	s_mul_i32 s21, s17, s14
	s_delay_alu instid0(SALU_CYCLE_1)
	s_cmp_eq_u32 s21, s38
	s_cselect_b32 s21, -1, 0
	s_cmp_lt_u32 s17, s12
	s_cselect_b32 s17, -1, 0
	s_wait_alu 0xfffe
	s_or_b32 s17, s17, s21
	s_mov_b32 s21, -1
	s_wait_alu 0xfffe
	s_and_b32 vcc_lo, exec_lo, s17
	s_mov_b32 s17, s34
	s_wait_alu 0xfffe
	s_cbranch_vccnz .LBB8_18
; %bb.17:                               ;   in Loop: Header=BB8_9 Depth=1
	s_add_co_i32 s17, s34, -1
	s_mov_b32 s21, 0
	s_mov_b32 s27, s38
.LBB8_18:                               ;   in Loop: Header=BB8_9 Depth=1
	v_lshl_add_u32 v6, s34, 12, v0
	s_mul_f32 s36, s35, 0x3fb8aa3b
	s_mul_f32 s38, s33, 0x3fb8aa3b
	s_wait_alu 0xfffe
	s_delay_alu instid0(SALU_CYCLE_1)
	s_xor_b32 s39, s36, 0x80000000
	v_ashrrev_i32_e32 v7, 31, v6
	s_rndne_f32 s40, s36
	s_fmamk_f32 s39, s35, 0x3fb8aa3b, s39
	s_xor_b32 s41, s38, 0x80000000
	s_rndne_f32 s42, s38
	v_lshlrev_b64_e32 v[6:7], 2, v[6:7]
	s_sub_f32 s36, s36, s40
	s_fmamk_f32 s35, s35, 0x32a5705f, s39
	s_fmamk_f32 s39, s33, 0x3fb8aa3b, s41
	s_sub_f32 s38, s38, s42
	s_delay_alu instid0(VALU_DEP_1)
	v_add_co_u32 v6, vcc_lo, s24, v6
	s_wait_alu 0xfffd
	v_add_co_ci_u32_e64 v7, null, s25, v7, vcc_lo
	s_wait_alu 0xfffe
	s_add_f32 s35, s36, s35
	s_fmamk_f32 s33, s33, 0x32a5705f, s39
	s_cvt_i32_f32 s36, s40
	global_load_b32 v6, v[6:7], off
	s_wait_alu 0xfffe
	v_s_exp_f32 s35, s35
	s_add_f32 s33, s38, s33
	s_wait_alu 0xfffe
	s_delay_alu instid0(SALU_CYCLE_2) | instskip(NEXT) | instid1(TRANS32_DEP_2)
	v_s_exp_f32 s33, s33
	v_ldexp_f32 v7, s35, s36
	s_cvt_i32_f32 s35, s42
	s_wait_alu 0xf1fe
	s_delay_alu instid0(TRANS32_DEP_1) | instid1(SALU_CYCLE_2)
	v_ldexp_f32 v8, s33, s35
	s_delay_alu instid0(VALU_DEP_2) | instskip(NEXT) | instid1(VALU_DEP_2)
	v_cndmask_b32_e64 v7, 0, v7, s3
	v_cndmask_b32_e64 v8, 0, v8, s0
	s_delay_alu instid0(VALU_DEP_2) | instskip(NEXT) | instid1(VALU_DEP_2)
	v_cndmask_b32_e64 v7, 0x7f800000, v7, s4
	v_cndmask_b32_e64 v8, 0x7f800000, v8, s1
	;; [unrolled: 3-line block ×3, first 2 shown]
	s_wait_loadcnt 0x0
	s_delay_alu instid0(VALU_DEP_2) | instskip(SKIP_1) | instid1(VALU_DEP_1)
	v_mul_f32_e32 v6, v6, v7
	v_mul_f32_e32 v7, s37, v7
	v_fmac_f32_e32 v7, v5, v8
	s_delay_alu instid0(VALU_DEP_3)
	v_fmac_f32_e32 v6, v3, v8
	s_cbranch_execnz .LBB8_15
.LBB8_19:                               ;   in Loop: Header=BB8_9 Depth=1
	s_wait_loadcnt 0x0
	v_dual_mov_b32 v7, v5 :: v_dual_mov_b32 v6, v3
	s_add_co_i32 s17, s34, -1
	s_mov_b32 s27, s20
	s_mov_b32 s9, s26
	s_cbranch_execz .LBB8_23
.LBB8_20:                               ;   in Loop: Header=BB8_9 Depth=1
	v_mov_b32_e32 v5, v7
	s_wait_loadcnt 0x0
	v_mov_b32_e32 v3, v6
	s_wait_alu 0xfffe
	s_mov_b32 s20, s27
	s_mov_b32 s34, s17
	;; [unrolled: 1-line block ×3, first 2 shown]
	s_branch .LBB8_9
.LBB8_21:
                                        ; implicit-def: $sgpr20_sgpr21
	s_branch .LBB8_2
.LBB8_22:
                                        ; implicit-def: $sgpr10_sgpr11
	s_load_b96 s[12:14], s[0:1], 0x44
	s_branch .LBB8_5
.LBB8_23:
	v_div_scale_f32 v0, null, v7, v7, v6
	s_wait_loadcnt 0x0
	s_delay_alu instid0(VALU_DEP_1) | instskip(NEXT) | instid1(TRANS32_DEP_1)
	v_rcp_f32_e32 v3, v0
	v_fma_f32 v4, -v0, v3, 1.0
	s_delay_alu instid0(VALU_DEP_1) | instskip(SKIP_1) | instid1(VALU_DEP_1)
	v_fmac_f32_e32 v3, v4, v3
	v_div_scale_f32 v4, vcc_lo, v6, v7, v6
	v_mul_f32_e32 v5, v4, v3
	s_delay_alu instid0(VALU_DEP_1) | instskip(NEXT) | instid1(VALU_DEP_1)
	v_fma_f32 v8, -v0, v5, v4
	v_fmac_f32_e32 v5, v8, v3
	s_delay_alu instid0(VALU_DEP_1) | instskip(SKIP_1) | instid1(VALU_DEP_1)
	v_fma_f32 v0, -v0, v5, v4
	s_wait_alu 0xfffd
	v_div_fmas_f32 v0, v0, v3, v5
	s_delay_alu instid0(VALU_DEP_1)
	v_div_fixup_f32 v0, v0, v7, v6
	global_store_b32 v[1:2], v0, off
.LBB8_24:
	s_endpgm
	.section	.rodata,"a",@progbits
	.p2align	6, 0x0
	.amdhsa_kernel _ZL33flash_attn_stream_k_fixup_generalILi128ELi4ELi8EEvPfPK15HIP_vector_typeIfLj2EEiiiiS1_IjLj3EES5_S5_S5_
		.amdhsa_group_segment_fixed_size 0
		.amdhsa_private_segment_fixed_size 0
		.amdhsa_kernarg_size 336
		.amdhsa_user_sgpr_count 2
		.amdhsa_user_sgpr_dispatch_ptr 0
		.amdhsa_user_sgpr_queue_ptr 0
		.amdhsa_user_sgpr_kernarg_segment_ptr 1
		.amdhsa_user_sgpr_dispatch_id 0
		.amdhsa_user_sgpr_private_segment_size 0
		.amdhsa_wavefront_size32 1
		.amdhsa_uses_dynamic_stack 0
		.amdhsa_enable_private_segment 0
		.amdhsa_system_sgpr_workgroup_id_x 1
		.amdhsa_system_sgpr_workgroup_id_y 1
		.amdhsa_system_sgpr_workgroup_id_z 1
		.amdhsa_system_sgpr_workgroup_info 0
		.amdhsa_system_vgpr_workitem_id 0
		.amdhsa_next_free_vgpr 9
		.amdhsa_next_free_sgpr 44
		.amdhsa_reserve_vcc 1
		.amdhsa_float_round_mode_32 0
		.amdhsa_float_round_mode_16_64 0
		.amdhsa_float_denorm_mode_32 3
		.amdhsa_float_denorm_mode_16_64 3
		.amdhsa_fp16_overflow 0
		.amdhsa_workgroup_processor_mode 1
		.amdhsa_memory_ordered 1
		.amdhsa_forward_progress 1
		.amdhsa_inst_pref_size 28
		.amdhsa_round_robin_scheduling 0
		.amdhsa_exception_fp_ieee_invalid_op 0
		.amdhsa_exception_fp_denorm_src 0
		.amdhsa_exception_fp_ieee_div_zero 0
		.amdhsa_exception_fp_ieee_overflow 0
		.amdhsa_exception_fp_ieee_underflow 0
		.amdhsa_exception_fp_ieee_inexact 0
		.amdhsa_exception_int_div_zero 0
	.end_amdhsa_kernel
	.section	.text._ZL33flash_attn_stream_k_fixup_generalILi128ELi4ELi8EEvPfPK15HIP_vector_typeIfLj2EEiiiiS1_IjLj3EES5_S5_S5_,"axG",@progbits,_ZL33flash_attn_stream_k_fixup_generalILi128ELi4ELi8EEvPfPK15HIP_vector_typeIfLj2EEiiiiS1_IjLj3EES5_S5_S5_,comdat
.Lfunc_end8:
	.size	_ZL33flash_attn_stream_k_fixup_generalILi128ELi4ELi8EEvPfPK15HIP_vector_typeIfLj2EEiiiiS1_IjLj3EES5_S5_S5_, .Lfunc_end8-_ZL33flash_attn_stream_k_fixup_generalILi128ELi4ELi8EEvPfPK15HIP_vector_typeIfLj2EEiiiiS1_IjLj3EES5_S5_S5_
                                        ; -- End function
	.set _ZL33flash_attn_stream_k_fixup_generalILi128ELi4ELi8EEvPfPK15HIP_vector_typeIfLj2EEiiiiS1_IjLj3EES5_S5_S5_.num_vgpr, 9
	.set _ZL33flash_attn_stream_k_fixup_generalILi128ELi4ELi8EEvPfPK15HIP_vector_typeIfLj2EEiiiiS1_IjLj3EES5_S5_S5_.num_agpr, 0
	.set _ZL33flash_attn_stream_k_fixup_generalILi128ELi4ELi8EEvPfPK15HIP_vector_typeIfLj2EEiiiiS1_IjLj3EES5_S5_S5_.numbered_sgpr, 44
	.set _ZL33flash_attn_stream_k_fixup_generalILi128ELi4ELi8EEvPfPK15HIP_vector_typeIfLj2EEiiiiS1_IjLj3EES5_S5_S5_.num_named_barrier, 0
	.set _ZL33flash_attn_stream_k_fixup_generalILi128ELi4ELi8EEvPfPK15HIP_vector_typeIfLj2EEiiiiS1_IjLj3EES5_S5_S5_.private_seg_size, 0
	.set _ZL33flash_attn_stream_k_fixup_generalILi128ELi4ELi8EEvPfPK15HIP_vector_typeIfLj2EEiiiiS1_IjLj3EES5_S5_S5_.uses_vcc, 1
	.set _ZL33flash_attn_stream_k_fixup_generalILi128ELi4ELi8EEvPfPK15HIP_vector_typeIfLj2EEiiiiS1_IjLj3EES5_S5_S5_.uses_flat_scratch, 0
	.set _ZL33flash_attn_stream_k_fixup_generalILi128ELi4ELi8EEvPfPK15HIP_vector_typeIfLj2EEiiiiS1_IjLj3EES5_S5_S5_.has_dyn_sized_stack, 0
	.set _ZL33flash_attn_stream_k_fixup_generalILi128ELi4ELi8EEvPfPK15HIP_vector_typeIfLj2EEiiiiS1_IjLj3EES5_S5_S5_.has_recursion, 0
	.set _ZL33flash_attn_stream_k_fixup_generalILi128ELi4ELi8EEvPfPK15HIP_vector_typeIfLj2EEiiiiS1_IjLj3EES5_S5_S5_.has_indirect_call, 0
	.section	.AMDGPU.csdata,"",@progbits
; Kernel info:
; codeLenInByte = 3548
; TotalNumSgprs: 46
; NumVgprs: 9
; ScratchSize: 0
; MemoryBound: 0
; FloatMode: 240
; IeeeMode: 1
; LDSByteSize: 0 bytes/workgroup (compile time only)
; SGPRBlocks: 0
; VGPRBlocks: 1
; NumSGPRsForWavesPerEU: 46
; NumVGPRsForWavesPerEU: 9
; Occupancy: 16
; WaveLimiterHint : 0
; COMPUTE_PGM_RSRC2:SCRATCH_EN: 0
; COMPUTE_PGM_RSRC2:USER_SGPR: 2
; COMPUTE_PGM_RSRC2:TRAP_HANDLER: 0
; COMPUTE_PGM_RSRC2:TGID_X_EN: 1
; COMPUTE_PGM_RSRC2:TGID_Y_EN: 1
; COMPUTE_PGM_RSRC2:TGID_Z_EN: 1
; COMPUTE_PGM_RSRC2:TIDIG_COMP_CNT: 0
	.section	.text._ZL15flash_attn_tileILi128ELi128ELi2ELi8ELb0EEvPKcS1_S1_S1_S1_PKiPfP15HIP_vector_typeIfLj2EEffffjfiS5_IjLj3EEiiiiiiiiiiiliiliiiiil,"axG",@progbits,_ZL15flash_attn_tileILi128ELi128ELi2ELi8ELb0EEvPKcS1_S1_S1_S1_PKiPfP15HIP_vector_typeIfLj2EEffffjfiS5_IjLj3EEiiiiiiiiiiiliiliiiiil,comdat
	.globl	_ZL15flash_attn_tileILi128ELi128ELi2ELi8ELb0EEvPKcS1_S1_S1_S1_PKiPfP15HIP_vector_typeIfLj2EEffffjfiS5_IjLj3EEiiiiiiiiiiiliiliiiiil ; -- Begin function _ZL15flash_attn_tileILi128ELi128ELi2ELi8ELb0EEvPKcS1_S1_S1_S1_PKiPfP15HIP_vector_typeIfLj2EEffffjfiS5_IjLj3EEiiiiiiiiiiiliiliiiiil
	.p2align	8
	.type	_ZL15flash_attn_tileILi128ELi128ELi2ELi8ELb0EEvPKcS1_S1_S1_S1_PKiPfP15HIP_vector_typeIfLj2EEffffjfiS5_IjLj3EEiiiiiiiiiiiliiliiiiil,@function
_ZL15flash_attn_tileILi128ELi128ELi2ELi8ELb0EEvPKcS1_S1_S1_S1_PKiPfP15HIP_vector_typeIfLj2EEffffjfiS5_IjLj3EEiiiiiiiiiiiliiliiiiil: ; @_ZL15flash_attn_tileILi128ELi128ELi2ELi8ELb0EEvPKcS1_S1_S1_S1_PKiPfP15HIP_vector_typeIfLj2EEffffjfiS5_IjLj3EEiiiiiiiiiiiliiliiiiil
; %bb.0:
	s_clause 0x1
	s_load_b128 s[36:39], s[0:1], 0x5c
	s_load_b64 s[40:41], s[0:1], 0x80
	s_lshr_b32 s5, ttmp7, 16
	s_clause 0x1
	s_load_b512 s[16:31], s[0:1], 0x0
	s_load_b64 s[8:9], s[0:1], 0xb8
	s_mov_b64 s[42:43], 0
	s_wait_kmcnt 0x0
	s_ashr_i32 s2, s39, 31
	s_delay_alu instid0(SALU_CYCLE_1) | instskip(NEXT) | instid1(SALU_CYCLE_1)
	s_lshr_b32 s2, s2, 29
	s_add_co_i32 s2, s39, s2
	s_delay_alu instid0(SALU_CYCLE_1) | instskip(NEXT) | instid1(SALU_CYCLE_1)
	s_ashr_i32 s2, s2, 3
	s_cvt_f32_u32 s3, s2
	s_sub_co_i32 s4, 0, s2
	s_delay_alu instid0(SALU_CYCLE_2) | instskip(NEXT) | instid1(TRANS32_DEP_1)
	v_rcp_iflag_f32_e32 v1, s3
	v_readfirstlane_b32 s3, v1
	s_mul_f32 s3, s3, 0x4f7ffffe
	s_wait_alu 0xfffe
	s_delay_alu instid0(SALU_CYCLE_2) | instskip(SKIP_1) | instid1(SALU_CYCLE_2)
	s_cvt_u32_f32 s3, s3
	s_wait_alu 0xfffe
	s_mul_i32 s4, s4, s3
	s_delay_alu instid0(SALU_CYCLE_1) | instskip(NEXT) | instid1(SALU_CYCLE_1)
	s_mul_hi_u32 s4, s3, s4
	s_add_co_i32 s3, s3, s4
	s_wait_alu 0xfffe
	s_mul_hi_u32 s3, s5, s3
	s_wait_alu 0xfffe
	s_mul_i32 s4, s3, s2
	s_add_co_i32 s6, s3, 1
	s_sub_co_i32 s4, s5, s4
	s_delay_alu instid0(SALU_CYCLE_1)
	s_sub_co_i32 s7, s4, s2
	s_cmp_ge_u32 s4, s2
	s_cselect_b32 s3, s6, s3
	s_cselect_b32 s4, s7, s4
	s_wait_alu 0xfffe
	s_add_co_i32 s6, s3, 1
	s_cmp_ge_u32 s4, s2
	s_cselect_b32 s34, s6, s3
	s_abs_i32 s2, s41
	s_abs_i32 s7, s39
	s_wait_alu 0xfffe
	s_cvt_f32_u32 s3, s2
	s_sub_co_i32 s4, 0, s2
	s_lshl_b32 s5, s5, 3
	s_mul_i32 s6, s34, s39
	s_wait_alu 0xfffe
	v_rcp_iflag_f32_e32 v1, s3
	s_sub_co_i32 s33, s5, s6
	s_delay_alu instid0(TRANS32_DEP_1) | instskip(SKIP_2) | instid1(SALU_CYCLE_2)
	v_readfirstlane_b32 s3, v1
	s_mul_f32 s3, s3, 0x4f7ffffe
	s_wait_alu 0xfffe
	s_cvt_u32_f32 s3, s3
	s_wait_alu 0xfffe
	s_delay_alu instid0(SALU_CYCLE_2) | instskip(NEXT) | instid1(SALU_CYCLE_1)
	s_mul_i32 s4, s4, s3
	s_mul_hi_u32 s4, s3, s4
	s_delay_alu instid0(SALU_CYCLE_1)
	s_add_co_i32 s3, s3, s4
	s_xor_b32 s4, s39, s41
	s_wait_alu 0xfffe
	s_mul_hi_u32 s3, s7, s3
	s_ashr_i32 s4, s4, 31
	s_wait_alu 0xfffe
	s_mul_i32 s5, s3, s2
	s_add_co_i32 s6, s3, 1
	s_sub_co_i32 s5, s7, s5
	s_delay_alu instid0(SALU_CYCLE_1)
	s_sub_co_i32 s7, s5, s2
	s_cmp_ge_u32 s5, s2
	s_cselect_b32 s3, s6, s3
	s_cselect_b32 s5, s7, s5
	s_wait_alu 0xfffe
	s_add_co_i32 s6, s3, 1
	s_cmp_ge_u32 s5, s2
	s_cselect_b32 s2, s6, s3
	s_mov_b32 s3, 0
	s_wait_alu 0xfffe
	s_xor_b32 s2, s2, s4
	s_wait_alu 0xfffe
	s_sub_co_i32 s11, s2, s4
	s_delay_alu instid0(SALU_CYCLE_1) | instskip(SKIP_3) | instid1(SALU_CYCLE_2)
	s_abs_i32 s10, s11
	s_cmp_eq_u64 s[22:23], 0
	s_cvt_f32_u32 s2, s10
	s_wait_alu 0xfffe
	v_rcp_iflag_f32_e32 v1, s2
	s_delay_alu instid0(TRANS32_DEP_1)
	v_readfirstlane_b32 s2, v1
	s_cbranch_scc1 .LBB9_2
; %bb.1:
	s_abs_i32 s6, s8
	s_delay_alu instid0(SALU_CYCLE_1) | instskip(NEXT) | instid1(SALU_CYCLE_3)
	s_cvt_f32_u32 s4, s6
	v_rcp_iflag_f32_e32 v1, s4
	s_delay_alu instid0(TRANS32_DEP_1) | instskip(SKIP_2) | instid1(SALU_CYCLE_2)
	v_readfirstlane_b32 s4, v1
	s_mul_f32 s4, s4, 0x4f7ffffe
	s_wait_alu 0xfffe
	s_cvt_u32_f32 s7, s4
	s_sub_co_i32 s4, 0, s6
	s_wait_alu 0xfffe
	s_delay_alu instid0(SALU_CYCLE_1) | instskip(SKIP_4) | instid1(SALU_CYCLE_1)
	s_mul_i32 s4, s4, s7
	s_wait_alu 0xfffe
	s_mul_hi_u32 s8, s7, s4
	s_load_b64 s[4:5], s[0:1], 0xc8
	s_add_co_i32 s7, s7, s8
	s_mul_hi_u32 s7, s34, s7
	s_delay_alu instid0(SALU_CYCLE_1) | instskip(NEXT) | instid1(SALU_CYCLE_1)
	s_mul_i32 s7, s7, s6
	s_sub_co_i32 s7, s34, s7
	s_delay_alu instid0(SALU_CYCLE_1) | instskip(SKIP_2) | instid1(SALU_CYCLE_1)
	s_sub_co_i32 s8, s7, s6
	s_cmp_ge_u32 s7, s6
	s_cselect_b32 s7, s8, s7
	s_sub_co_i32 s8, s7, s6
	s_cmp_ge_u32 s7, s6
	s_cselect_b32 s6, s8, s7
	s_delay_alu instid0(SALU_CYCLE_1)
	s_ashr_i32 s7, s6, 31
	s_wait_kmcnt 0x0
	s_mul_u64 s[4:5], s[4:5], s[6:7]
	s_wait_alu 0xfffe
	s_add_nc_u64 s[42:43], s[22:23], s[4:5]
.LBB9_2:
	v_lshrrev_b32_e32 v1, 10, v0
	s_load_b96 s[4:6], s[0:1], 0x70
	v_bfe_u32 v12, v0, 10, 10
	s_delay_alu instid0(VALU_DEP_2) | instskip(NEXT) | instid1(VALU_DEP_2)
	v_bfe_u32 v1, v1, 2, 8
	v_lshlrev_b32_e32 v2, 1, v12
	s_delay_alu instid0(VALU_DEP_2) | instskip(NEXT) | instid1(VALU_DEP_2)
	v_lshl_add_u32 v148, ttmp9, 1, v1
	v_or_b32_e32 v13, 1, v2
	s_delay_alu instid0(VALU_DEP_2) | instskip(NEXT) | instid1(VALU_DEP_2)
	v_mul_hi_u32 v1, s36, v148
	v_and_b32_e32 v14, 7, v13
	s_wait_kmcnt 0x0
	s_mul_i32 s12, s33, s5
	s_ashr_i32 s15, s5, 31
	s_delay_alu instid0(VALU_DEP_2)
	v_add_nc_u32_e32 v1, v148, v1
	s_mov_b32 s14, s5
	s_ashr_i32 s5, s4, 31
	s_ashr_i32 s13, s12, 31
	s_wait_alu 0xfffe
	s_lshr_b64 s[22:23], s[4:5], 2
	v_lshrrev_b32_e32 v1, s37, v1
	s_lshr_b32 s4, s5, 2
	s_lshr_b32 s5, s15, 2
	s_delay_alu instid0(VALU_DEP_1) | instskip(NEXT) | instid1(VALU_DEP_1)
	v_mul_lo_u32 v1, v1, s38
	v_sub_nc_u32_e32 v1, v148, v1
	s_delay_alu instid0(VALU_DEP_1) | instskip(SKIP_4) | instid1(VALU_DEP_1)
	v_mad_co_u64_u32 v[3:4], null, s22, v1, 0
	s_lshr_b64 s[22:23], s[14:15], 2
	s_wait_alu 0xfffe
	v_mad_co_u64_u32 v[7:8], null, s22, v14, 0
	v_and_b32_e32 v185, 6, v2
	v_mad_co_u64_u32 v[5:6], null, s22, v185, 0
	s_delay_alu instid0(VALU_DEP_1) | instskip(NEXT) | instid1(VALU_DEP_2)
	v_mad_co_u64_u32 v[9:10], null, s4, v1, v[4:5]
	v_dual_mov_b32 v0, v6 :: v_dual_and_b32 v149, 0x3ff, v0
	v_mov_b32_e32 v6, v8
	s_mul_i32 s4, s34, s6
	s_delay_alu instid0(VALU_DEP_3) | instskip(NEXT) | instid1(VALU_DEP_3)
	v_mov_b32_e32 v4, v9
	v_mad_co_u64_u32 v[10:11], null, s5, v185, v[0:1]
	s_delay_alu instid0(VALU_DEP_3)
	v_mad_co_u64_u32 v[8:9], null, s5, v14, v[6:7]
	s_wait_alu 0xfffe
	s_ashr_i32 s5, s4, 31
	v_lshlrev_b64_e32 v[3:4], 2, v[3:4]
	s_wait_alu 0xfffe
	s_add_nc_u64 s[4:5], s[16:17], s[4:5]
	v_lshlrev_b32_e32 v0, 4, v149
	s_wait_alu 0xfffe
	s_add_nc_u64 s[4:5], s[4:5], s[12:13]
	v_dual_mov_b32 v6, v10 :: v_dual_lshlrev_b32 v187, 3, v149
	s_wait_alu 0xfffe
	v_add_co_u32 v9, vcc_lo, s4, v3
	s_delay_alu instid0(VALU_DEP_1) | instskip(NEXT) | instid1(VALU_DEP_3)
	v_add_co_ci_u32_e64 v10, null, s5, v4, vcc_lo
	v_lshlrev_b64_e32 v[3:4], 2, v[5:6]
	s_delay_alu instid0(VALU_DEP_3) | instskip(SKIP_3) | instid1(VALU_DEP_3)
	v_add_co_u32 v0, vcc_lo, v9, v0
	v_lshlrev_b64_e32 v[5:6], 2, v[7:8]
	s_wait_alu 0xfffd
	v_add_co_ci_u32_e64 v9, null, 0, v10, vcc_lo
	v_add_co_u32 v3, vcc_lo, v0, v3
	s_load_b32 s4, s[0:1], 0x40
	v_add_co_ci_u32_e64 v4, null, v9, v4, vcc_lo
	v_add_co_u32 v7, vcc_lo, v0, v5
	s_wait_alu 0xfffd
	v_add_co_ci_u32_e64 v8, null, v9, v6, vcc_lo
	s_clause 0x1
	global_load_b128 v[3:6], v[3:4], off
	global_load_b128 v[7:10], v[7:8], off
	v_lshlrev_b32_e32 v0, 9, v12
	v_add_nc_u32_e32 v11, 0x9800, v187
	s_cmp_eq_u64 s[26:27], 0
	s_delay_alu instid0(VALU_DEP_1)
	v_add_nc_u32_e32 v12, v11, v0
	s_wait_loadcnt 0x1
	s_wait_kmcnt 0x0
	v_fma_mixlo_f16 v3, s4, v3, 0
	v_fma_mixlo_f16 v4, s4, v4, 0
	s_wait_loadcnt 0x0
	v_fma_mixlo_f16 v7, s4, v7, 0
	v_fma_mixlo_f16 v8, s4, v8, 0
	;; [unrolled: 1-line block ×4, first 2 shown]
	v_lshlrev_b32_e32 v4, 16, v4
	v_and_b32_e32 v3, 0xffff, v3
	v_fma_mixlo_f16 v9, s4, v9, 0
	v_fma_mixlo_f16 v10, s4, v10, 0
	v_lshlrev_b32_e32 v8, 16, v8
	v_and_b32_e32 v7, 0xffff, v7
	v_lshlrev_b32_e32 v6, 16, v6
	v_and_b32_e32 v5, 0xffff, v5
	v_or_b32_e32 v3, v4, v3
	v_lshlrev_b32_e32 v10, 16, v10
	v_and_b32_e32 v9, 0xffff, v9
	v_or_b32_e32 v7, v8, v7
	v_or3_b32 v4, v6, v5, 0
	v_or3_b32 v3, 0, 0, v3
	v_lshl_add_u32 v8, v13, 8, v11
	v_or3_b32 v6, v10, v9, 0
	v_or3_b32 v5, 0, 0, v7
	ds_store_b64 v12, v[3:4]
	ds_store_b64 v8, v[5:6]
	s_wait_dscnt 0x0
	s_barrier_signal -1
	s_barrier_wait -1
	global_inv scope:SCOPE_SE
	s_cbranch_scc1 .LBB9_4
; %bb.3:
	s_load_b32 s4, s[0:1], 0xd0
	s_mov_b32 s5, 0
	s_wait_kmcnt 0x0
	s_mul_i32 s4, s4, s34
	s_wait_alu 0xfffe
	s_add_co_i32 s4, s4, ttmp9
	s_wait_alu 0xfffe
	s_lshl_b64 s[4:5], s[4:5], 2
	s_wait_alu 0xfffe
	s_add_nc_u64 s[4:5], s[26:27], s[4:5]
	s_load_b32 s40, s[4:5], 0x0
.LBB9_4:
	s_and_b32 s22, ttmp7, 0xffff
	v_mbcnt_lo_u32_b32 v188, -1, 0
	s_wait_alu 0xfffe
	s_lshl_b32 s26, s22, 7
	s_wait_kmcnt 0x0
	s_cmp_lt_i32 s26, s40
	s_cbranch_scc1 .LBB9_7
; %bb.5:
	v_mbcnt_lo_u32_b32 v3, -1, 0
	v_mov_b32_e32 v189, 32
	s_delay_alu instid0(VALU_DEP_2)
	v_xor_b32_e32 v196, 16, v3
	v_xor_b32_e32 v195, 8, v3
	;; [unrolled: 1-line block ×5, first 2 shown]
	v_lshlrev_b32_e32 v186, 2, v149
	s_mov_b32 s35, 0
	s_cbranch_execz .LBB9_8
; %bb.6:
	v_dual_mov_b32 v50, 0 :: v_dual_mov_b32 v183, 0xfeffffff
	v_dual_mov_b32 v140, 0 :: v_dual_mov_b32 v233, 0
	;; [unrolled: 1-line block ×4, first 2 shown]
	s_branch .LBB9_11
.LBB9_7:
                                        ; implicit-def: $vgpr3
                                        ; implicit-def: $vgpr189
                                        ; implicit-def: $vgpr196
                                        ; implicit-def: $vgpr195
                                        ; implicit-def: $vgpr193
                                        ; implicit-def: $vgpr192
                                        ; implicit-def: $vgpr190
	v_lshlrev_b32_e32 v186, 2, v149
	s_mov_b32 s35, 0
.LBB9_8:
	s_mul_f32 s2, s2, 0x4f7ffffe
	s_clause 0x1
	s_load_b128 s[4:7], s[0:1], 0x98
	s_load_b64 s[12:13], s[0:1], 0x8c
	s_sub_co_i32 s14, 0, s10
	s_mov_b32 s15, s3
	s_cvt_u32_f32 s8, s2
	s_abs_i32 s2, s33
	s_ashr_i32 s23, s33, 31
	s_ashr_i32 s11, s11, 31
	s_mul_i32 s14, s14, s8
	s_load_b64 s[16:17], s[0:1], 0xa8
	s_mul_hi_u32 s14, s8, s14
	v_lshrrev_b32_e32 v3, 4, v149
	s_add_co_i32 s14, s8, s14
	s_xor_b32 s8, s23, s11
	s_mul_u64 s[14:15], s[2:3], s[14:15]
	s_ashr_i32 s14, s9, 1
	s_mul_i32 s3, s15, s10
	s_add_co_i32 s9, s15, 1
	s_wait_alu 0xfffe
	s_sub_co_i32 s2, s2, s3
	v_dual_mov_b32 v44, 0 :: v_dual_add_nc_u32 v13, v3, v2
	s_wait_kmcnt 0x0
	s_ashr_i32 s36, s6, 2
	s_ashr_i32 s44, s12, 2
	s_wait_alu 0xfffe
	s_sub_co_i32 s3, s2, s10
	s_cmp_ge_u32 s2, s10
	v_mul_lo_u32 v2, s44, v13
	s_cselect_b32 s6, s9, s15
	s_wait_alu 0xfffe
	s_cselect_b32 s2, s3, s2
	s_add_co_i32 s3, s6, 1
	s_wait_alu 0xfffe
	s_cmp_ge_u32 s2, s10
	v_mul_lo_u32 v12, s36, v13
	s_cselect_b32 s6, s3, s6
	s_mul_u64 s[2:3], s[4:5], s[34:35]
	s_xor_b32 s4, s6, s8
	s_wait_alu 0xfffe
	s_add_nc_u64 s[2:3], s[18:19], s[2:3]
	s_sub_co_i32 s6, s4, s8
	s_mul_u64 s[8:9], s[16:17], s[34:35]
	s_mul_i32 s4, s6, s13
	s_lshl_b32 s10, s44, 4
	s_wait_alu 0xfffe
	s_ashr_i32 s5, s4, 31
	v_dual_mov_b32 v189, 32 :: v_dual_add_nc_u32 v4, s10, v2
	s_wait_alu 0xfffe
	s_add_nc_u64 s[46:47], s[2:3], s[4:5]
	s_mul_i32 s2, s6, s7
	s_add_nc_u64 s[4:5], s[20:21], s[8:9]
	s_wait_alu 0xfffe
	s_ashr_i32 s3, s2, 31
	v_dual_mov_b32 v45, 0 :: v_dual_add_nc_u32 v6, s10, v4
	s_wait_alu 0xfffe
	s_add_nc_u64 s[48:49], s[4:5], s[2:3]
	s_lshl_b32 s2, s36, 4
	s_delay_alu instid0(VALU_DEP_1)
	v_dual_mov_b32 v51, 0 :: v_dual_add_nc_u32 v8, s10, v6
	s_wait_alu 0xfffe
	v_add_nc_u32_e32 v16, s2, v12
	v_add_nc_u32_e32 v203, 0x9800, v0
	;; [unrolled: 1-line block ×3, first 2 shown]
	v_dual_mov_b32 v183, 0xfeffffff :: v_dual_and_b32 v32, 60, v186
	s_delay_alu instid0(VALU_DEP_4) | instskip(SKIP_2) | instid1(VALU_DEP_4)
	v_add_nc_u32_e32 v20, s2, v16
	v_add_nc_u32_e32 v10, s10, v8
	v_ashrrev_i32_e32 v3, 31, v2
	v_dual_mov_b32 v50, 0 :: v_dual_lshlrev_b32 v17, 2, v32
	s_delay_alu instid0(VALU_DEP_4) | instskip(NEXT) | instid1(VALU_DEP_4)
	v_add_nc_u32_e32 v24, s2, v20
	v_add_nc_u32_e32 v14, s10, v10
	v_ashrrev_i32_e32 v5, 31, v4
	s_delay_alu instid0(VALU_DEP_4)
	v_mad_u32_u24 v191, 0x110, v13, v17
	v_ashrrev_i32_e32 v7, 31, v6
	v_add_nc_u32_e32 v26, s2, v24
	v_add_nc_u32_e32 v18, s10, v14
	v_ashrrev_i32_e32 v9, 31, v8
	v_ashrrev_i32_e32 v11, 31, v10
	;; [unrolled: 1-line block ×3, first 2 shown]
	v_add_nc_u32_e32 v0, s2, v26
	v_add_nc_u32_e32 v22, s10, v18
	v_ashrrev_i32_e32 v19, 31, v18
	v_lshl_or_b32 v205, v13, 8, v17
	v_mad_co_u64_u32 v[150:151], null, v1, s14, v[149:150]
	v_add_nc_u32_e32 v28, s2, v0
	v_ashrrev_i32_e32 v23, 31, v22
	v_ashrrev_i32_e32 v13, 31, v12
	;; [unrolled: 1-line block ×4, first 2 shown]
	v_add_nc_u32_e32 v30, s2, v28
	v_ashrrev_i32_e32 v25, 31, v24
	v_ashrrev_i32_e32 v27, 31, v26
	v_ashrrev_i32_e32 v1, 31, v0
	v_ashrrev_i32_e32 v29, 31, v28
	v_ashrrev_i32_e32 v31, 31, v30
	v_lshlrev_b64_e32 v[151:152], 2, v[2:3]
	v_lshlrev_b64_e32 v[153:154], 2, v[4:5]
	;; [unrolled: 1-line block ×16, first 2 shown]
	v_dual_mov_b32 v233, 0 :: v_dual_add_nc_u32 v194, 0x1100, v191
	v_dual_mov_b32 v140, 0 :: v_dual_add_nc_u32 v197, 0x2200, v191
	v_add_nc_u32_e32 v198, 0x3300, v191
	v_add_nc_u32_e32 v199, 0x4400, v191
	;; [unrolled: 1-line block ×5, first 2 shown]
	v_mul_u32_u24_e32 v204, 0x110, v149
	v_add_nc_u32_e32 v207, 0x1000, v205
	v_add_nc_u32_e32 v208, 0x2000, v205
	;; [unrolled: 1-line block ×7, first 2 shown]
	v_lshlrev_b32_e32 v214, 2, v32
	v_xor_b32_e32 v196, 16, v188
	v_xor_b32_e32 v195, 8, v188
	v_xor_b32_e32 v193, 4, v188
	v_xor_b32_e32 v192, 2, v188
	v_xor_b32_e32 v190, 1, v188
	v_dual_mov_b32 v184, 0xfeffffff :: v_dual_add_nc_u32 v215, v206, v186
	v_add_nc_u32_e32 v216, 0x800, v187
	v_add_nc_u32_e32 v217, 0x1000, v187
	;; [unrolled: 1-line block ×15, first 2 shown]
	s_ashr_i32 s45, s44, 31
	s_ashr_i32 s37, s36, 31
	s_add_nc_u64 s[50:51], s[0:1], 0xd0
.LBB9_9:                                ; =>This Inner Loop Header: Depth=1
	v_cmp_gt_i32_e32 vcc_lo, 32, v196
	v_cmp_gt_i32_e64 s4, 32, v192
	v_cmp_gt_i32_e64 s2, 32, v195
	;; [unrolled: 1-line block ×3, first 2 shown]
	s_ashr_i32 s27, s26, 31
	v_cmp_gt_i32_e64 s5, 32, v190
	v_dual_mov_b32 v27, 0 :: v_dual_add_nc_u32 v0, s26, v150
	s_wait_alu 0xfffe
	s_mul_u64 s[6:7], s[26:27], s[44:45]
	v_cndmask_b32_e64 v5, v188, v192, s4
	s_wait_alu 0xfffd
	v_cndmask_b32_e32 v2, v188, v196, vcc_lo
	s_mul_u64 s[8:9], s[26:27], s[36:37]
	v_cndmask_b32_e64 v3, v188, v195, s2
	v_cndmask_b32_e64 v4, v188, v193, s3
	s_wait_alu 0xfffe
	s_lshl_b64 s[2:3], s[6:7], 2
	v_cndmask_b32_e64 v6, v188, v190, s5
	s_lshl_b64 s[4:5], s[8:9], 2
	s_wait_alu 0xfffe
	s_add_nc_u64 s[16:17], s[46:47], s[2:3]
	v_ashrrev_i32_e32 v1, 31, v0
	s_add_nc_u64 s[18:19], s[48:49], s[4:5]
	v_lshlrev_b32_e32 v29, 2, v5
	v_lshlrev_b32_e32 v32, 2, v2
	s_wait_alu 0xfffe
	v_add_co_u32 v2, vcc_lo, s16, v151
	v_dual_mov_b32 v232, v140 :: v_dual_lshlrev_b32 v31, 2, v3
	v_add_co_u32 v3, s2, s16, v153
	v_lshlrev_b32_e32 v30, 2, v4
	v_lshlrev_b32_e32 v28, 2, v6
	v_add_co_u32 v4, s3, s16, v155
	v_add_co_u32 v5, s4, s16, v157
	;; [unrolled: 1-line block ×8, first 2 shown]
	s_wait_alu 0xfffd
	v_add_co_ci_u32_e64 v35, null, s17, v152, vcc_lo
	s_wait_alu 0xf1ff
	v_add_co_ci_u32_e64 v36, null, s17, v154, s2
	v_lshlrev_b64_e32 v[0:1], 1, v[0:1]
	v_add_co_ci_u32_e64 v39, null, s17, v156, s3
	v_add_co_u32 v10, s9, s18, v167
	v_add_co_u32 v11, s10, s18, v169
	;; [unrolled: 1-line block ×6, first 2 shown]
	v_add_co_ci_u32_e64 v40, null, s17, v158, s4
	v_add_co_u32 v33, vcc_lo, v2, v214
	v_add_co_ci_u32_e64 v43, null, s17, v160, s5
	v_add_co_ci_u32_e64 v46, null, s17, v162, s6
	;; [unrolled: 1-line block ×4, first 2 shown]
	v_add_co_u32 v37, s2, v3, v214
	s_wait_alu 0xf1ff
	v_add_co_ci_u32_e64 v49, null, s19, v168, s9
	v_add_co_ci_u32_e64 v54, null, s19, v170, s10
	;; [unrolled: 1-line block ×8, first 2 shown]
	v_add_co_u32 v41, s3, v4, v214
	v_add_co_u32 v64, s7, v8, v214
	;; [unrolled: 1-line block ×4, first 2 shown]
	s_wait_alu 0xfffd
	v_add_co_ci_u32_e64 v34, null, 0, v35, vcc_lo
	v_add_co_u32 v52, s4, v5, v214
	v_add_co_ci_u32_e64 v38, null, 0, v36, s2
	v_add_co_u32 v56, s5, v6, v214
	v_add_co_u32 v60, s6, v7, v214
	;; [unrolled: 1-line block ×3, first 2 shown]
	s_wait_alu 0xf1ff
	v_add_co_ci_u32_e64 v42, null, 0, v39, s3
	v_add_co_u32 v16, s9, s42, v0
	v_add_co_u32 v0, s10, v10, v214
	;; [unrolled: 1-line block ×7, first 2 shown]
	v_add_co_ci_u32_e64 v53, null, 0, v40, s4
	v_add_co_ci_u32_e64 v57, null, 0, v43, s5
	;; [unrolled: 1-line block ×5, first 2 shown]
	s_wait_alu 0xf1ff
	v_add_co_ci_u32_e64 v17, null, s43, v1, s9
	v_add_co_ci_u32_e64 v1, null, 0, v49, s10
	v_add_co_ci_u32_e64 v3, null, 0, v54, s11
	v_add_co_ci_u32_e64 v5, null, 0, v55, s12
	v_add_co_ci_u32_e64 v7, null, 0, v58, s13
	v_add_co_ci_u32_e64 v9, null, 0, v59, s14
	v_add_co_ci_u32_e64 v11, null, 0, v62, s15
	v_add_co_ci_u32_e64 v13, null, 0, v63, s16
	v_add_co_ci_u32_e64 v15, null, 0, v66, s17
	s_clause 0x7
	global_load_b128 v[33:36], v[33:34], off
	global_load_b128 v[37:40], v[37:38], off
	;; [unrolled: 1-line block ×8, first 2 shown]
	v_dual_mov_b32 v19, v183 :: v_dual_mov_b32 v20, 0
	v_dual_mov_b32 v21, 0 :: v_dual_mov_b32 v22, 0
	;; [unrolled: 1-line block ×5, first 2 shown]
	s_wait_loadcnt 0x7
	ds_store_b128 v191, v[33:36]
	s_wait_loadcnt 0x6
	ds_store_b128 v194, v[37:40]
	;; [unrolled: 2-line block ×8, first 2 shown]
	s_wait_dscnt 0x0
	s_barrier_signal -1
	s_barrier_wait -1
	global_inv scope:SCOPE_SE
	ds_load_b128 v[33:36], v204
	ds_load_b128 v[37:40], v203
	ds_load_b128 v[46:49], v203 offset:256
	ds_load_b128 v[52:55], v204 offset:8704
	;; [unrolled: 1-line block ×4, first 2 shown]
	s_wait_dscnt 0x4
	;;#ASMSTART
	v_dot2_f32_f16 v20, v33, v37, v20
	;;#ASMEND
	;;#ASMSTART
	v_dot2_f32_f16 v20, v34, v38, v20
	;;#ASMEND
	;;#ASMSTART
	v_dot2_f32_f16 v20, v35, v39, v20
	;;#ASMEND
	;;#ASMSTART
	v_dot2_f32_f16 v20, v36, v40, v20
	;;#ASMEND
	s_wait_dscnt 0x3
	;;#ASMSTART
	v_dot2_f32_f16 v21, v33, v46, v21
	;;#ASMEND
	;;#ASMSTART
	v_dot2_f32_f16 v21, v34, v47, v21
	;;#ASMEND
	;;#ASMSTART
	v_dot2_f32_f16 v21, v35, v48, v21
	;;#ASMEND
	;;#ASMSTART
	v_dot2_f32_f16 v21, v36, v49, v21
	;;#ASMEND
	s_wait_dscnt 0x2
	;;#ASMSTART
	v_dot2_f32_f16 v22, v52, v37, v22
	;;#ASMEND
	;;#ASMSTART
	v_dot2_f32_f16 v22, v53, v38, v22
	;;#ASMEND
	;;#ASMSTART
	v_dot2_f32_f16 v22, v54, v39, v22
	;;#ASMEND
	;;#ASMSTART
	v_dot2_f32_f16 v22, v55, v40, v22
	;;#ASMEND
	;;#ASMSTART
	v_dot2_f32_f16 v23, v52, v46, v23
	;;#ASMEND
	;;#ASMSTART
	v_dot2_f32_f16 v23, v53, v47, v23
	;;#ASMEND
	;; [unrolled: 3-line block ×4, first 2 shown]
	s_wait_dscnt 0x1
	;;#ASMSTART
	v_dot2_f32_f16 v24, v56, v37, v24
	;;#ASMEND
	;;#ASMSTART
	v_dot2_f32_f16 v24, v57, v38, v24
	;;#ASMEND
	;; [unrolled: 3-line block ×8, first 2 shown]
	s_wait_dscnt 0x0
	;;#ASMSTART
	v_dot2_f32_f16 v26, v60, v37, v26
	;;#ASMEND
	;;#ASMSTART
	v_dot2_f32_f16 v26, v61, v38, v26
	;;#ASMEND
	;; [unrolled: 3-line block ×8, first 2 shown]
	ds_load_b128 v[33:36], v204 offset:16
	ds_load_b128 v[37:40], v203 offset:16
	;; [unrolled: 1-line block ×6, first 2 shown]
	s_wait_dscnt 0x4
	;;#ASMSTART
	v_dot2_f32_f16 v20, v33, v37, v20
	;;#ASMEND
	;;#ASMSTART
	v_dot2_f32_f16 v20, v34, v38, v20
	;;#ASMEND
	;;#ASMSTART
	v_dot2_f32_f16 v20, v35, v39, v20
	;;#ASMEND
	;;#ASMSTART
	v_dot2_f32_f16 v20, v36, v40, v20
	;;#ASMEND
	s_wait_dscnt 0x3
	;;#ASMSTART
	v_dot2_f32_f16 v21, v33, v46, v21
	;;#ASMEND
	;;#ASMSTART
	v_dot2_f32_f16 v21, v34, v47, v21
	;;#ASMEND
	;;#ASMSTART
	v_dot2_f32_f16 v21, v35, v48, v21
	;;#ASMEND
	;;#ASMSTART
	v_dot2_f32_f16 v21, v36, v49, v21
	;;#ASMEND
	;; [unrolled: 13-line block ×3, first 2 shown]
	;;#ASMSTART
	v_dot2_f32_f16 v23, v52, v46, v23
	;;#ASMEND
	;;#ASMSTART
	v_dot2_f32_f16 v23, v53, v47, v23
	;;#ASMEND
	;; [unrolled: 3-line block ×4, first 2 shown]
	s_wait_dscnt 0x1
	;;#ASMSTART
	v_dot2_f32_f16 v24, v56, v37, v24
	;;#ASMEND
	;;#ASMSTART
	v_dot2_f32_f16 v24, v57, v38, v24
	;;#ASMEND
	;; [unrolled: 3-line block ×8, first 2 shown]
	s_wait_dscnt 0x0
	;;#ASMSTART
	v_dot2_f32_f16 v26, v60, v37, v26
	;;#ASMEND
	;;#ASMSTART
	v_dot2_f32_f16 v26, v61, v38, v26
	;;#ASMEND
	;; [unrolled: 3-line block ×8, first 2 shown]
	ds_load_b128 v[33:36], v204 offset:32
	ds_load_b128 v[37:40], v203 offset:32
	ds_load_b128 v[46:49], v203 offset:288
	ds_load_b128 v[52:55], v204 offset:8736
	ds_load_b128 v[56:59], v204 offset:17440
	ds_load_b128 v[60:63], v204 offset:26144
	s_wait_dscnt 0x4
	;;#ASMSTART
	v_dot2_f32_f16 v20, v33, v37, v20
	;;#ASMEND
	;;#ASMSTART
	v_dot2_f32_f16 v20, v34, v38, v20
	;;#ASMEND
	;;#ASMSTART
	v_dot2_f32_f16 v20, v35, v39, v20
	;;#ASMEND
	;;#ASMSTART
	v_dot2_f32_f16 v20, v36, v40, v20
	;;#ASMEND
	s_wait_dscnt 0x3
	;;#ASMSTART
	v_dot2_f32_f16 v21, v33, v46, v21
	;;#ASMEND
	;;#ASMSTART
	v_dot2_f32_f16 v21, v34, v47, v21
	;;#ASMEND
	;;#ASMSTART
	v_dot2_f32_f16 v21, v35, v48, v21
	;;#ASMEND
	;;#ASMSTART
	v_dot2_f32_f16 v21, v36, v49, v21
	;;#ASMEND
	s_wait_dscnt 0x2
	;;#ASMSTART
	v_dot2_f32_f16 v22, v52, v37, v22
	;;#ASMEND
	;;#ASMSTART
	v_dot2_f32_f16 v22, v53, v38, v22
	;;#ASMEND
	;;#ASMSTART
	v_dot2_f32_f16 v22, v54, v39, v22
	;;#ASMEND
	;;#ASMSTART
	v_dot2_f32_f16 v22, v55, v40, v22
	;;#ASMEND
	;;#ASMSTART
	v_dot2_f32_f16 v23, v52, v46, v23
	;;#ASMEND
	;;#ASMSTART
	v_dot2_f32_f16 v23, v53, v47, v23
	;;#ASMEND
	;; [unrolled: 3-line block ×4, first 2 shown]
	s_wait_dscnt 0x1
	;;#ASMSTART
	v_dot2_f32_f16 v24, v56, v37, v24
	;;#ASMEND
	;;#ASMSTART
	v_dot2_f32_f16 v24, v57, v38, v24
	;;#ASMEND
	;; [unrolled: 3-line block ×8, first 2 shown]
	s_wait_dscnt 0x0
	;;#ASMSTART
	v_dot2_f32_f16 v26, v60, v37, v26
	;;#ASMEND
	;;#ASMSTART
	v_dot2_f32_f16 v26, v61, v38, v26
	;;#ASMEND
	;; [unrolled: 3-line block ×8, first 2 shown]
	ds_load_b128 v[33:36], v204 offset:48
	ds_load_b128 v[37:40], v203 offset:48
	;; [unrolled: 1-line block ×6, first 2 shown]
	s_wait_dscnt 0x4
	;;#ASMSTART
	v_dot2_f32_f16 v20, v33, v37, v20
	;;#ASMEND
	;;#ASMSTART
	v_dot2_f32_f16 v20, v34, v38, v20
	;;#ASMEND
	;;#ASMSTART
	v_dot2_f32_f16 v20, v35, v39, v20
	;;#ASMEND
	;;#ASMSTART
	v_dot2_f32_f16 v20, v36, v40, v20
	;;#ASMEND
	s_wait_dscnt 0x3
	;;#ASMSTART
	v_dot2_f32_f16 v21, v33, v46, v21
	;;#ASMEND
	;;#ASMSTART
	v_dot2_f32_f16 v21, v34, v47, v21
	;;#ASMEND
	;;#ASMSTART
	v_dot2_f32_f16 v21, v35, v48, v21
	;;#ASMEND
	;;#ASMSTART
	v_dot2_f32_f16 v21, v36, v49, v21
	;;#ASMEND
	;; [unrolled: 13-line block ×3, first 2 shown]
	;;#ASMSTART
	v_dot2_f32_f16 v23, v52, v46, v23
	;;#ASMEND
	;;#ASMSTART
	v_dot2_f32_f16 v23, v53, v47, v23
	;;#ASMEND
	;; [unrolled: 3-line block ×4, first 2 shown]
	s_wait_dscnt 0x1
	;;#ASMSTART
	v_dot2_f32_f16 v24, v56, v37, v24
	;;#ASMEND
	;;#ASMSTART
	v_dot2_f32_f16 v24, v57, v38, v24
	;;#ASMEND
	;; [unrolled: 3-line block ×8, first 2 shown]
	s_wait_dscnt 0x0
	;;#ASMSTART
	v_dot2_f32_f16 v26, v60, v37, v26
	;;#ASMEND
	;;#ASMSTART
	v_dot2_f32_f16 v26, v61, v38, v26
	;;#ASMEND
	;; [unrolled: 3-line block ×8, first 2 shown]
	ds_load_b128 v[33:36], v204 offset:64
	ds_load_b128 v[37:40], v203 offset:64
	;; [unrolled: 1-line block ×6, first 2 shown]
	s_wait_dscnt 0x4
	;;#ASMSTART
	v_dot2_f32_f16 v20, v33, v37, v20
	;;#ASMEND
	;;#ASMSTART
	v_dot2_f32_f16 v20, v34, v38, v20
	;;#ASMEND
	;;#ASMSTART
	v_dot2_f32_f16 v20, v35, v39, v20
	;;#ASMEND
	;;#ASMSTART
	v_dot2_f32_f16 v20, v36, v40, v20
	;;#ASMEND
	s_wait_dscnt 0x3
	;;#ASMSTART
	v_dot2_f32_f16 v21, v33, v46, v21
	;;#ASMEND
	;;#ASMSTART
	v_dot2_f32_f16 v21, v34, v47, v21
	;;#ASMEND
	;;#ASMSTART
	v_dot2_f32_f16 v21, v35, v48, v21
	;;#ASMEND
	;;#ASMSTART
	v_dot2_f32_f16 v21, v36, v49, v21
	;;#ASMEND
	;; [unrolled: 13-line block ×3, first 2 shown]
	;;#ASMSTART
	v_dot2_f32_f16 v23, v52, v46, v23
	;;#ASMEND
	;;#ASMSTART
	v_dot2_f32_f16 v23, v53, v47, v23
	;;#ASMEND
	;; [unrolled: 3-line block ×4, first 2 shown]
	s_wait_dscnt 0x1
	;;#ASMSTART
	v_dot2_f32_f16 v24, v56, v37, v24
	;;#ASMEND
	;;#ASMSTART
	v_dot2_f32_f16 v24, v57, v38, v24
	;;#ASMEND
	;; [unrolled: 3-line block ×8, first 2 shown]
	s_wait_dscnt 0x0
	;;#ASMSTART
	v_dot2_f32_f16 v26, v60, v37, v26
	;;#ASMEND
	;;#ASMSTART
	v_dot2_f32_f16 v26, v61, v38, v26
	;;#ASMEND
	;; [unrolled: 3-line block ×8, first 2 shown]
	ds_load_b128 v[33:36], v204 offset:80
	ds_load_b128 v[37:40], v203 offset:80
	ds_load_b128 v[46:49], v203 offset:336
	ds_load_b128 v[52:55], v204 offset:8784
	ds_load_b128 v[56:59], v204 offset:17488
	ds_load_b128 v[60:63], v204 offset:26192
	s_wait_dscnt 0x4
	;;#ASMSTART
	v_dot2_f32_f16 v20, v33, v37, v20
	;;#ASMEND
	;;#ASMSTART
	v_dot2_f32_f16 v20, v34, v38, v20
	;;#ASMEND
	;;#ASMSTART
	v_dot2_f32_f16 v20, v35, v39, v20
	;;#ASMEND
	;;#ASMSTART
	v_dot2_f32_f16 v20, v36, v40, v20
	;;#ASMEND
	s_wait_dscnt 0x3
	;;#ASMSTART
	v_dot2_f32_f16 v21, v33, v46, v21
	;;#ASMEND
	;;#ASMSTART
	v_dot2_f32_f16 v21, v34, v47, v21
	;;#ASMEND
	;;#ASMSTART
	v_dot2_f32_f16 v21, v35, v48, v21
	;;#ASMEND
	;;#ASMSTART
	v_dot2_f32_f16 v21, v36, v49, v21
	;;#ASMEND
	s_wait_dscnt 0x2
	;;#ASMSTART
	v_dot2_f32_f16 v22, v52, v37, v22
	;;#ASMEND
	;;#ASMSTART
	v_dot2_f32_f16 v22, v53, v38, v22
	;;#ASMEND
	;;#ASMSTART
	v_dot2_f32_f16 v22, v54, v39, v22
	;;#ASMEND
	;;#ASMSTART
	v_dot2_f32_f16 v22, v55, v40, v22
	;;#ASMEND
	;;#ASMSTART
	v_dot2_f32_f16 v23, v52, v46, v23
	;;#ASMEND
	;;#ASMSTART
	v_dot2_f32_f16 v23, v53, v47, v23
	;;#ASMEND
	;; [unrolled: 3-line block ×4, first 2 shown]
	s_wait_dscnt 0x1
	;;#ASMSTART
	v_dot2_f32_f16 v24, v56, v37, v24
	;;#ASMEND
	;;#ASMSTART
	v_dot2_f32_f16 v24, v57, v38, v24
	;;#ASMEND
	;;#ASMSTART
	v_dot2_f32_f16 v24, v58, v39, v24
	;;#ASMEND
	;;#ASMSTART
	v_dot2_f32_f16 v24, v59, v40, v24
	;;#ASMEND
	;;#ASMSTART
	v_dot2_f32_f16 v25, v56, v46, v25
	;;#ASMEND
	;;#ASMSTART
	v_dot2_f32_f16 v25, v57, v47, v25
	;;#ASMEND
	;;#ASMSTART
	v_dot2_f32_f16 v25, v58, v48, v25
	;;#ASMEND
	;;#ASMSTART
	v_dot2_f32_f16 v25, v59, v49, v25
	;;#ASMEND
	s_wait_dscnt 0x0
	;;#ASMSTART
	v_dot2_f32_f16 v26, v60, v37, v26
	;;#ASMEND
	;;#ASMSTART
	v_dot2_f32_f16 v26, v61, v38, v26
	;;#ASMEND
	;; [unrolled: 3-line block ×8, first 2 shown]
	ds_load_b128 v[33:36], v204 offset:96
	ds_load_b128 v[37:40], v203 offset:96
	;; [unrolled: 1-line block ×6, first 2 shown]
	s_wait_dscnt 0x4
	;;#ASMSTART
	v_dot2_f32_f16 v20, v33, v37, v20
	;;#ASMEND
	;;#ASMSTART
	v_dot2_f32_f16 v20, v34, v38, v20
	;;#ASMEND
	;;#ASMSTART
	v_dot2_f32_f16 v20, v35, v39, v20
	;;#ASMEND
	;;#ASMSTART
	v_dot2_f32_f16 v20, v36, v40, v20
	;;#ASMEND
	s_wait_dscnt 0x3
	;;#ASMSTART
	v_dot2_f32_f16 v21, v33, v46, v21
	;;#ASMEND
	;;#ASMSTART
	v_dot2_f32_f16 v21, v34, v47, v21
	;;#ASMEND
	;;#ASMSTART
	v_dot2_f32_f16 v21, v35, v48, v21
	;;#ASMEND
	;;#ASMSTART
	v_dot2_f32_f16 v21, v36, v49, v21
	;;#ASMEND
	;; [unrolled: 13-line block ×3, first 2 shown]
	;;#ASMSTART
	v_dot2_f32_f16 v23, v52, v46, v23
	;;#ASMEND
	;;#ASMSTART
	v_dot2_f32_f16 v23, v53, v47, v23
	;;#ASMEND
	;; [unrolled: 3-line block ×4, first 2 shown]
	s_wait_dscnt 0x1
	;;#ASMSTART
	v_dot2_f32_f16 v24, v56, v37, v24
	;;#ASMEND
	;;#ASMSTART
	v_dot2_f32_f16 v24, v57, v38, v24
	;;#ASMEND
	;; [unrolled: 3-line block ×8, first 2 shown]
	s_wait_dscnt 0x0
	;;#ASMSTART
	v_dot2_f32_f16 v26, v60, v37, v26
	;;#ASMEND
	;;#ASMSTART
	v_dot2_f32_f16 v26, v61, v38, v26
	;;#ASMEND
	;; [unrolled: 3-line block ×8, first 2 shown]
	ds_load_b128 v[33:36], v204 offset:112
	ds_load_b128 v[37:40], v203 offset:112
	;; [unrolled: 1-line block ×6, first 2 shown]
	s_wait_dscnt 0x4
	;;#ASMSTART
	v_dot2_f32_f16 v20, v33, v37, v20
	;;#ASMEND
	;;#ASMSTART
	v_dot2_f32_f16 v20, v34, v38, v20
	;;#ASMEND
	;;#ASMSTART
	v_dot2_f32_f16 v20, v35, v39, v20
	;;#ASMEND
	;;#ASMSTART
	v_dot2_f32_f16 v20, v36, v40, v20
	;;#ASMEND
	s_wait_dscnt 0x3
	;;#ASMSTART
	v_dot2_f32_f16 v21, v33, v46, v21
	;;#ASMEND
	;;#ASMSTART
	v_dot2_f32_f16 v21, v34, v47, v21
	;;#ASMEND
	;;#ASMSTART
	v_dot2_f32_f16 v21, v35, v48, v21
	;;#ASMEND
	;;#ASMSTART
	v_dot2_f32_f16 v21, v36, v49, v21
	;;#ASMEND
	s_wait_dscnt 0x2
	;;#ASMSTART
	v_dot2_f32_f16 v22, v52, v37, v22
	;;#ASMEND
	;;#ASMSTART
	v_dot2_f32_f16 v22, v53, v38, v22
	;;#ASMEND
	;;#ASMSTART
	v_dot2_f32_f16 v22, v54, v39, v22
	;;#ASMEND
	;;#ASMSTART
	v_dot2_f32_f16 v22, v55, v40, v22
	;;#ASMEND
	;;#ASMSTART
	v_dot2_f32_f16 v23, v52, v46, v23
	;;#ASMEND
	;;#ASMSTART
	v_dot2_f32_f16 v23, v53, v47, v23
	;;#ASMEND
	;; [unrolled: 3-line block ×4, first 2 shown]
	s_wait_dscnt 0x1
	;;#ASMSTART
	v_dot2_f32_f16 v24, v56, v37, v24
	;;#ASMEND
	;;#ASMSTART
	v_dot2_f32_f16 v24, v57, v38, v24
	;;#ASMEND
	;; [unrolled: 3-line block ×8, first 2 shown]
	s_wait_dscnt 0x0
	;;#ASMSTART
	v_dot2_f32_f16 v26, v60, v37, v26
	;;#ASMEND
	;;#ASMSTART
	v_dot2_f32_f16 v26, v61, v38, v26
	;;#ASMEND
	;; [unrolled: 3-line block ×8, first 2 shown]
	ds_load_b128 v[33:36], v204 offset:128
	ds_load_b128 v[37:40], v203 offset:128
	;; [unrolled: 1-line block ×6, first 2 shown]
	s_wait_dscnt 0x4
	;;#ASMSTART
	v_dot2_f32_f16 v20, v33, v37, v20
	;;#ASMEND
	;;#ASMSTART
	v_dot2_f32_f16 v20, v34, v38, v20
	;;#ASMEND
	;;#ASMSTART
	v_dot2_f32_f16 v20, v35, v39, v20
	;;#ASMEND
	;;#ASMSTART
	v_dot2_f32_f16 v20, v36, v40, v20
	;;#ASMEND
	s_wait_dscnt 0x3
	;;#ASMSTART
	v_dot2_f32_f16 v21, v33, v46, v21
	;;#ASMEND
	;;#ASMSTART
	v_dot2_f32_f16 v21, v34, v47, v21
	;;#ASMEND
	;;#ASMSTART
	v_dot2_f32_f16 v21, v35, v48, v21
	;;#ASMEND
	;;#ASMSTART
	v_dot2_f32_f16 v21, v36, v49, v21
	;;#ASMEND
	;; [unrolled: 13-line block ×3, first 2 shown]
	;;#ASMSTART
	v_dot2_f32_f16 v23, v52, v46, v23
	;;#ASMEND
	;;#ASMSTART
	v_dot2_f32_f16 v23, v53, v47, v23
	;;#ASMEND
	;; [unrolled: 3-line block ×4, first 2 shown]
	s_wait_dscnt 0x1
	;;#ASMSTART
	v_dot2_f32_f16 v24, v56, v37, v24
	;;#ASMEND
	;;#ASMSTART
	v_dot2_f32_f16 v24, v57, v38, v24
	;;#ASMEND
	;; [unrolled: 3-line block ×8, first 2 shown]
	s_wait_dscnt 0x0
	;;#ASMSTART
	v_dot2_f32_f16 v26, v60, v37, v26
	;;#ASMEND
	;;#ASMSTART
	v_dot2_f32_f16 v26, v61, v38, v26
	;;#ASMEND
	;; [unrolled: 3-line block ×8, first 2 shown]
	ds_load_b128 v[33:36], v204 offset:144
	ds_load_b128 v[37:40], v203 offset:144
	;; [unrolled: 1-line block ×6, first 2 shown]
	s_wait_dscnt 0x4
	;;#ASMSTART
	v_dot2_f32_f16 v20, v33, v37, v20
	;;#ASMEND
	;;#ASMSTART
	v_dot2_f32_f16 v20, v34, v38, v20
	;;#ASMEND
	;;#ASMSTART
	v_dot2_f32_f16 v20, v35, v39, v20
	;;#ASMEND
	;;#ASMSTART
	v_dot2_f32_f16 v20, v36, v40, v20
	;;#ASMEND
	s_wait_dscnt 0x3
	;;#ASMSTART
	v_dot2_f32_f16 v21, v33, v46, v21
	;;#ASMEND
	;;#ASMSTART
	v_dot2_f32_f16 v21, v34, v47, v21
	;;#ASMEND
	;;#ASMSTART
	v_dot2_f32_f16 v21, v35, v48, v21
	;;#ASMEND
	;;#ASMSTART
	v_dot2_f32_f16 v21, v36, v49, v21
	;;#ASMEND
	;; [unrolled: 13-line block ×3, first 2 shown]
	;;#ASMSTART
	v_dot2_f32_f16 v23, v52, v46, v23
	;;#ASMEND
	;;#ASMSTART
	v_dot2_f32_f16 v23, v53, v47, v23
	;;#ASMEND
	;; [unrolled: 3-line block ×4, first 2 shown]
	s_wait_dscnt 0x1
	;;#ASMSTART
	v_dot2_f32_f16 v24, v56, v37, v24
	;;#ASMEND
	;;#ASMSTART
	v_dot2_f32_f16 v24, v57, v38, v24
	;;#ASMEND
	;; [unrolled: 3-line block ×8, first 2 shown]
	s_wait_dscnt 0x0
	;;#ASMSTART
	v_dot2_f32_f16 v26, v60, v37, v26
	;;#ASMEND
	;;#ASMSTART
	v_dot2_f32_f16 v26, v61, v38, v26
	;;#ASMEND
	;; [unrolled: 3-line block ×8, first 2 shown]
	ds_load_b128 v[33:36], v204 offset:160
	ds_load_b128 v[37:40], v203 offset:160
	;; [unrolled: 1-line block ×6, first 2 shown]
	s_wait_dscnt 0x4
	;;#ASMSTART
	v_dot2_f32_f16 v20, v33, v37, v20
	;;#ASMEND
	;;#ASMSTART
	v_dot2_f32_f16 v20, v34, v38, v20
	;;#ASMEND
	;;#ASMSTART
	v_dot2_f32_f16 v20, v35, v39, v20
	;;#ASMEND
	;;#ASMSTART
	v_dot2_f32_f16 v20, v36, v40, v20
	;;#ASMEND
	s_wait_dscnt 0x3
	;;#ASMSTART
	v_dot2_f32_f16 v21, v33, v46, v21
	;;#ASMEND
	;;#ASMSTART
	v_dot2_f32_f16 v21, v34, v47, v21
	;;#ASMEND
	;;#ASMSTART
	v_dot2_f32_f16 v21, v35, v48, v21
	;;#ASMEND
	;;#ASMSTART
	v_dot2_f32_f16 v21, v36, v49, v21
	;;#ASMEND
	;; [unrolled: 13-line block ×3, first 2 shown]
	;;#ASMSTART
	v_dot2_f32_f16 v23, v52, v46, v23
	;;#ASMEND
	;;#ASMSTART
	v_dot2_f32_f16 v23, v53, v47, v23
	;;#ASMEND
	;; [unrolled: 3-line block ×4, first 2 shown]
	s_wait_dscnt 0x1
	;;#ASMSTART
	v_dot2_f32_f16 v24, v56, v37, v24
	;;#ASMEND
	;;#ASMSTART
	v_dot2_f32_f16 v24, v57, v38, v24
	;;#ASMEND
	;; [unrolled: 3-line block ×8, first 2 shown]
	s_wait_dscnt 0x0
	;;#ASMSTART
	v_dot2_f32_f16 v26, v60, v37, v26
	;;#ASMEND
	;;#ASMSTART
	v_dot2_f32_f16 v26, v61, v38, v26
	;;#ASMEND
	;; [unrolled: 3-line block ×8, first 2 shown]
	ds_load_b128 v[33:36], v204 offset:176
	ds_load_b128 v[37:40], v203 offset:176
	;; [unrolled: 1-line block ×6, first 2 shown]
	s_wait_dscnt 0x4
	;;#ASMSTART
	v_dot2_f32_f16 v20, v33, v37, v20
	;;#ASMEND
	;;#ASMSTART
	v_dot2_f32_f16 v20, v34, v38, v20
	;;#ASMEND
	;;#ASMSTART
	v_dot2_f32_f16 v20, v35, v39, v20
	;;#ASMEND
	;;#ASMSTART
	v_dot2_f32_f16 v20, v36, v40, v20
	;;#ASMEND
	s_wait_dscnt 0x3
	;;#ASMSTART
	v_dot2_f32_f16 v21, v33, v46, v21
	;;#ASMEND
	;;#ASMSTART
	v_dot2_f32_f16 v21, v34, v47, v21
	;;#ASMEND
	;;#ASMSTART
	v_dot2_f32_f16 v21, v35, v48, v21
	;;#ASMEND
	;;#ASMSTART
	v_dot2_f32_f16 v21, v36, v49, v21
	;;#ASMEND
	;; [unrolled: 13-line block ×3, first 2 shown]
	;;#ASMSTART
	v_dot2_f32_f16 v23, v52, v46, v23
	;;#ASMEND
	;;#ASMSTART
	v_dot2_f32_f16 v23, v53, v47, v23
	;;#ASMEND
	;;#ASMSTART
	v_dot2_f32_f16 v23, v54, v48, v23
	;;#ASMEND
	;;#ASMSTART
	v_dot2_f32_f16 v23, v55, v49, v23
	;;#ASMEND
	s_wait_dscnt 0x1
	;;#ASMSTART
	v_dot2_f32_f16 v24, v56, v37, v24
	;;#ASMEND
	;;#ASMSTART
	v_dot2_f32_f16 v24, v57, v38, v24
	;;#ASMEND
	;; [unrolled: 3-line block ×8, first 2 shown]
	s_wait_dscnt 0x0
	;;#ASMSTART
	v_dot2_f32_f16 v26, v60, v37, v26
	;;#ASMEND
	;;#ASMSTART
	v_dot2_f32_f16 v26, v61, v38, v26
	;;#ASMEND
	;; [unrolled: 3-line block ×8, first 2 shown]
	ds_load_b128 v[33:36], v204 offset:192
	ds_load_b128 v[37:40], v203 offset:192
	;; [unrolled: 1-line block ×6, first 2 shown]
	s_wait_dscnt 0x4
	;;#ASMSTART
	v_dot2_f32_f16 v20, v33, v37, v20
	;;#ASMEND
	;;#ASMSTART
	v_dot2_f32_f16 v20, v34, v38, v20
	;;#ASMEND
	;;#ASMSTART
	v_dot2_f32_f16 v20, v35, v39, v20
	;;#ASMEND
	;;#ASMSTART
	v_dot2_f32_f16 v20, v36, v40, v20
	;;#ASMEND
	s_wait_dscnt 0x3
	;;#ASMSTART
	v_dot2_f32_f16 v21, v33, v46, v21
	;;#ASMEND
	;;#ASMSTART
	v_dot2_f32_f16 v21, v34, v47, v21
	;;#ASMEND
	;;#ASMSTART
	v_dot2_f32_f16 v21, v35, v48, v21
	;;#ASMEND
	;;#ASMSTART
	v_dot2_f32_f16 v21, v36, v49, v21
	;;#ASMEND
	;; [unrolled: 13-line block ×3, first 2 shown]
	;;#ASMSTART
	v_dot2_f32_f16 v23, v52, v46, v23
	;;#ASMEND
	;;#ASMSTART
	v_dot2_f32_f16 v23, v53, v47, v23
	;;#ASMEND
	;; [unrolled: 3-line block ×4, first 2 shown]
	s_wait_dscnt 0x1
	;;#ASMSTART
	v_dot2_f32_f16 v24, v56, v37, v24
	;;#ASMEND
	;;#ASMSTART
	v_dot2_f32_f16 v24, v57, v38, v24
	;;#ASMEND
	;; [unrolled: 3-line block ×8, first 2 shown]
	s_wait_dscnt 0x0
	;;#ASMSTART
	v_dot2_f32_f16 v26, v60, v37, v26
	;;#ASMEND
	;;#ASMSTART
	v_dot2_f32_f16 v26, v61, v38, v26
	;;#ASMEND
	;; [unrolled: 3-line block ×8, first 2 shown]
	ds_load_b128 v[33:36], v204 offset:208
	ds_load_b128 v[37:40], v203 offset:208
	;; [unrolled: 1-line block ×6, first 2 shown]
	s_wait_dscnt 0x4
	;;#ASMSTART
	v_dot2_f32_f16 v20, v33, v37, v20
	;;#ASMEND
	;;#ASMSTART
	v_dot2_f32_f16 v20, v34, v38, v20
	;;#ASMEND
	;;#ASMSTART
	v_dot2_f32_f16 v20, v35, v39, v20
	;;#ASMEND
	;;#ASMSTART
	v_dot2_f32_f16 v20, v36, v40, v20
	;;#ASMEND
	s_wait_dscnt 0x3
	;;#ASMSTART
	v_dot2_f32_f16 v21, v33, v46, v21
	;;#ASMEND
	;;#ASMSTART
	v_dot2_f32_f16 v21, v34, v47, v21
	;;#ASMEND
	;;#ASMSTART
	v_dot2_f32_f16 v21, v35, v48, v21
	;;#ASMEND
	;;#ASMSTART
	v_dot2_f32_f16 v21, v36, v49, v21
	;;#ASMEND
	;; [unrolled: 13-line block ×3, first 2 shown]
	;;#ASMSTART
	v_dot2_f32_f16 v23, v52, v46, v23
	;;#ASMEND
	;;#ASMSTART
	v_dot2_f32_f16 v23, v53, v47, v23
	;;#ASMEND
	;; [unrolled: 3-line block ×4, first 2 shown]
	s_wait_dscnt 0x1
	;;#ASMSTART
	v_dot2_f32_f16 v24, v56, v37, v24
	;;#ASMEND
	;;#ASMSTART
	v_dot2_f32_f16 v24, v57, v38, v24
	;;#ASMEND
	;; [unrolled: 3-line block ×8, first 2 shown]
	s_wait_dscnt 0x0
	;;#ASMSTART
	v_dot2_f32_f16 v26, v60, v37, v26
	;;#ASMEND
	;;#ASMSTART
	v_dot2_f32_f16 v26, v61, v38, v26
	;;#ASMEND
	;; [unrolled: 3-line block ×8, first 2 shown]
	ds_load_b128 v[33:36], v204 offset:224
	ds_load_b128 v[37:40], v203 offset:224
	;; [unrolled: 1-line block ×6, first 2 shown]
	s_wait_dscnt 0x4
	;;#ASMSTART
	v_dot2_f32_f16 v20, v33, v37, v20
	;;#ASMEND
	;;#ASMSTART
	v_dot2_f32_f16 v20, v34, v38, v20
	;;#ASMEND
	;;#ASMSTART
	v_dot2_f32_f16 v20, v35, v39, v20
	;;#ASMEND
	;;#ASMSTART
	v_dot2_f32_f16 v20, v36, v40, v20
	;;#ASMEND
	s_wait_dscnt 0x3
	;;#ASMSTART
	v_dot2_f32_f16 v21, v33, v46, v21
	;;#ASMEND
	;;#ASMSTART
	v_dot2_f32_f16 v21, v34, v47, v21
	;;#ASMEND
	;;#ASMSTART
	v_dot2_f32_f16 v21, v35, v48, v21
	;;#ASMEND
	;;#ASMSTART
	v_dot2_f32_f16 v21, v36, v49, v21
	;;#ASMEND
	;; [unrolled: 13-line block ×3, first 2 shown]
	;;#ASMSTART
	v_dot2_f32_f16 v23, v52, v46, v23
	;;#ASMEND
	;;#ASMSTART
	v_dot2_f32_f16 v23, v53, v47, v23
	;;#ASMEND
	;; [unrolled: 3-line block ×4, first 2 shown]
	s_wait_dscnt 0x1
	;;#ASMSTART
	v_dot2_f32_f16 v24, v56, v37, v24
	;;#ASMEND
	;;#ASMSTART
	v_dot2_f32_f16 v24, v57, v38, v24
	;;#ASMEND
	;;#ASMSTART
	v_dot2_f32_f16 v24, v58, v39, v24
	;;#ASMEND
	;;#ASMSTART
	v_dot2_f32_f16 v24, v59, v40, v24
	;;#ASMEND
	;;#ASMSTART
	v_dot2_f32_f16 v25, v56, v46, v25
	;;#ASMEND
	;;#ASMSTART
	v_dot2_f32_f16 v25, v57, v47, v25
	;;#ASMEND
	;;#ASMSTART
	v_dot2_f32_f16 v25, v58, v48, v25
	;;#ASMEND
	;;#ASMSTART
	v_dot2_f32_f16 v25, v59, v49, v25
	;;#ASMEND
	s_wait_dscnt 0x0
	;;#ASMSTART
	v_dot2_f32_f16 v26, v60, v37, v26
	;;#ASMEND
	;;#ASMSTART
	v_dot2_f32_f16 v26, v61, v38, v26
	;;#ASMEND
	;; [unrolled: 3-line block ×8, first 2 shown]
	ds_load_b128 v[33:36], v204 offset:240
	ds_load_b128 v[37:40], v203 offset:240
	;; [unrolled: 1-line block ×6, first 2 shown]
	s_wait_dscnt 0x4
	;;#ASMSTART
	v_dot2_f32_f16 v20, v33, v37, v20
	;;#ASMEND
	;;#ASMSTART
	v_dot2_f32_f16 v20, v34, v38, v20
	;;#ASMEND
	;;#ASMSTART
	v_dot2_f32_f16 v20, v35, v39, v20
	;;#ASMEND
	;;#ASMSTART
	v_dot2_f32_f16 v20, v36, v40, v20
	;;#ASMEND
	s_wait_dscnt 0x3
	;;#ASMSTART
	v_dot2_f32_f16 v21, v33, v46, v21
	;;#ASMEND
	;;#ASMSTART
	v_dot2_f32_f16 v21, v34, v47, v21
	;;#ASMEND
	;;#ASMSTART
	v_dot2_f32_f16 v21, v35, v48, v21
	;;#ASMEND
	;;#ASMSTART
	v_dot2_f32_f16 v21, v36, v49, v21
	;;#ASMEND
	;; [unrolled: 13-line block ×3, first 2 shown]
	;;#ASMSTART
	v_dot2_f32_f16 v23, v52, v46, v23
	;;#ASMEND
	;;#ASMSTART
	v_dot2_f32_f16 v23, v53, v47, v23
	;;#ASMEND
	;;#ASMSTART
	v_dot2_f32_f16 v23, v54, v48, v23
	;;#ASMEND
	;;#ASMSTART
	v_dot2_f32_f16 v23, v55, v49, v23
	;;#ASMEND
	s_wait_dscnt 0x1
	;;#ASMSTART
	v_dot2_f32_f16 v24, v56, v37, v24
	;;#ASMEND
	;;#ASMSTART
	v_dot2_f32_f16 v24, v57, v38, v24
	;;#ASMEND
	;; [unrolled: 3-line block ×8, first 2 shown]
	s_wait_dscnt 0x0
	;;#ASMSTART
	v_dot2_f32_f16 v26, v60, v37, v26
	;;#ASMEND
	;;#ASMSTART
	v_dot2_f32_f16 v26, v61, v38, v26
	;;#ASMEND
	;; [unrolled: 3-line block ×8, first 2 shown]
	s_clause 0x3
	global_load_u16 v41, v[16:17], off
	global_load_u16 v42, v[16:17], off offset:64
	global_load_u16 v43, v[16:17], off offset:128
	;; [unrolled: 1-line block ×3, first 2 shown]
	s_wait_loadcnt 0x0
	s_barrier_signal -1
	s_barrier_wait -1
	global_inv scope:SCOPE_SE
	s_clause 0x7
	global_load_b128 v[33:36], v[0:1], off
	global_load_b128 v[0:3], v[2:3], off
	;; [unrolled: 1-line block ×8, first 2 shown]
	v_cvt_f32_f16_e32 v17, v41
	v_cvt_f32_f16_e32 v41, v42
	v_cvt_f32_f16_e32 v42, v43
	v_cvt_f32_f16_e32 v16, v16
	s_delay_alu instid0(VALU_DEP_4) | instskip(NEXT) | instid1(VALU_DEP_3)
	v_add_f32_e32 v20, v20, v17
	v_dual_add_f32 v17, v21, v17 :: v_dual_add_f32 v24, v24, v42
	v_add_f32_e32 v21, v23, v41
	v_add_f32_e32 v23, v25, v42
	s_delay_alu instid0(VALU_DEP_4) | instskip(NEXT) | instid1(VALU_DEP_4)
	v_add_f32_e32 v25, 0x40051340, v20
	v_add_f32_e32 v43, 0x40051340, v17
	v_dual_add_f32 v22, v22, v41 :: v_dual_add_f32 v41, 0x40051340, v24
	v_add_f32_e32 v26, v26, v16
	v_dual_add_f32 v16, v27, v16 :: v_dual_add_f32 v57, 0x40051340, v23
	s_delay_alu instid0(VALU_DEP_3) | instskip(NEXT) | instid1(VALU_DEP_3)
	v_dual_add_f32 v27, 0x40051340, v22 :: v_dual_add_f32 v56, 0x40051340, v21
	v_add_f32_e32 v42, 0x40051340, v26
	s_delay_alu instid0(VALU_DEP_2) | instskip(NEXT) | instid1(VALU_DEP_3)
	v_max3_num_f32 v25, v19, v25, v27
	v_max3_num_f32 v27, v18, v43, v56
	s_delay_alu instid0(VALU_DEP_2) | instskip(SKIP_3) | instid1(VALU_DEP_1)
	v_max3_num_f32 v25, v25, v41, v42
	ds_bpermute_b32 v41, v32, v25
	s_wait_dscnt 0x0
	v_dual_max_num_f32 v41, v41, v41 :: v_dual_add_f32 v58, 0x40051340, v16
	v_max_num_f32_e32 v25, v25, v41
	s_delay_alu instid0(VALU_DEP_2) | instskip(SKIP_3) | instid1(VALU_DEP_1)
	v_max3_num_f32 v27, v27, v57, v58
	ds_bpermute_b32 v32, v32, v27
	s_wait_dscnt 0x0
	v_max_num_f32_e32 v32, v32, v32
	v_max_num_f32_e32 v27, v27, v32
	ds_bpermute_b32 v32, v31, v25
	ds_bpermute_b32 v31, v31, v27
	s_wait_dscnt 0x0
	v_dual_max_num_f32 v31, v31, v31 :: v_dual_max_num_f32 v32, v32, v32
	s_delay_alu instid0(VALU_DEP_1) | instskip(NEXT) | instid1(VALU_DEP_2)
	v_max_num_f32_e32 v27, v27, v31
	v_max_num_f32_e32 v25, v25, v32
	ds_bpermute_b32 v31, v30, v25
	ds_bpermute_b32 v30, v30, v27
	s_wait_dscnt 0x0
	v_dual_max_num_f32 v31, v31, v31 :: v_dual_max_num_f32 v30, v30, v30
	s_delay_alu instid0(VALU_DEP_1) | instskip(NEXT) | instid1(VALU_DEP_2)
	;; [unrolled: 7-line block ×3, first 2 shown]
	v_max_num_f32_e32 v25, v25, v30
	v_max_num_f32_e32 v27, v27, v29
	ds_bpermute_b32 v29, v28, v25
	s_wait_dscnt 0x0
	v_max_num_f32_e32 v29, v29, v29
	s_delay_alu instid0(VALU_DEP_1) | instskip(NEXT) | instid1(VALU_DEP_1)
	v_max_num_f32_e32 v183, v25, v29
	v_sub_f32_e32 v24, v24, v183
	ds_bpermute_b32 v28, v28, v27
	v_cmp_ngt_f32_e64 s2, 0xc2ce8ed0, v24
	v_cmp_nlt_f32_e64 s12, 0x42b17218, v24
	s_wait_dscnt 0x0
	v_max_num_f32_e32 v28, v28, v28
	s_delay_alu instid0(VALU_DEP_1) | instskip(SKIP_1) | instid1(VALU_DEP_2)
	v_max_num_f32_e32 v184, v27, v28
	v_mul_f32_e32 v28, 0x3fb8aa3b, v24
	v_sub_f32_e32 v16, v16, v184
	v_sub_f32_e32 v20, v20, v183
	;; [unrolled: 1-line block ×6, first 2 shown]
	s_delay_alu instid0(VALU_DEP_4) | instskip(SKIP_2) | instid1(VALU_DEP_3)
	v_dual_mul_f32 v26, 0x3fb8aa3b, v20 :: v_dual_mul_f32 v27, 0x3fb8aa3b, v22
	v_mul_f32_e32 v42, 0x3fb8aa3b, v16
	v_dual_sub_f32 v17, v17, v184 :: v_dual_mul_f32 v30, 0x3fb8aa3b, v19
	v_fma_f32 v56, 0x3fb8aa3b, v20, -v26
	v_rndne_f32_e32 v57, v26
	v_sub_f32_e32 v21, v21, v184
	v_fma_f32 v58, 0x3fb8aa3b, v22, -v27
	v_rndne_f32_e32 v59, v27
	v_mul_f32_e32 v29, 0x3fb8aa3b, v25
	v_cmp_ngt_f32_e32 vcc_lo, 0xc2ce8ed0, v22
	v_cmp_ngt_f32_e64 s10, 0xc2ce8ed0, v20
	v_cmp_nlt_f32_e64 s11, 0x42b17218, v22
	v_cmp_nlt_f32_e64 s20, 0x42b17218, v20
	v_fma_f32 v64, 0x3fb8aa3b, v19, -v30
	v_rndne_f32_e32 v65, v30
	v_fma_f32 v72, 0x3fb8aa3b, v16, -v42
	v_rndne_f32_e32 v73, v42
	v_mul_f32_e32 v43, 0x3fb8aa3b, v18
	v_fmac_f32_e32 v58, 0x32a5705f, v22
	v_sub_f32_e32 v22, v27, v59
	v_rndne_f32_e32 v63, v29
	v_fmac_f32_e32 v56, 0x32a5705f, v20
	v_dual_sub_f32 v20, v26, v57 :: v_dual_sub_f32 v23, v23, v184
	v_mul_f32_e32 v32, 0x3fb8aa3b, v21
	v_cmp_ngt_f32_e64 s4, 0xc2ce8ed0, v19
	v_cmp_ngt_f32_e64 s8, 0xc2ce8ed0, v16
	v_cmp_nlt_f32_e64 s14, 0x42b17218, v19
	v_cmp_nlt_f32_e64 s18, 0x42b17218, v16
	v_fma_f32 v60, 0x3fb8aa3b, v24, -v28
	v_rndne_f32_e32 v61, v28
	v_mul_f32_e32 v41, 0x3fb8aa3b, v23
	v_fma_f32 v62, 0x3fb8aa3b, v25, -v29
	v_fma_f32 v68, 0x3fb8aa3b, v21, -v32
	v_rndne_f32_e32 v69, v32
	v_dual_fmac_f32 v64, 0x32a5705f, v19 :: v_dual_sub_f32 v19, v30, v65
	v_fmac_f32_e32 v72, 0x32a5705f, v16
	v_sub_f32_e32 v16, v42, v73
	v_fma_f32 v74, 0x3fb8aa3b, v18, -v43
	v_rndne_f32_e32 v75, v43
	v_mul_f32_e32 v31, 0x3fb8aa3b, v17
	v_cmp_ngt_f32_e64 s3, 0xc2ce8ed0, v25
	v_cmp_ngt_f32_e64 s6, 0xc2ce8ed0, v21
	;; [unrolled: 1-line block ×3, first 2 shown]
	v_cmp_nlt_f32_e64 s13, 0x42b17218, v25
	v_cmp_nlt_f32_e64 s16, 0x42b17218, v21
	;; [unrolled: 1-line block ×3, first 2 shown]
	v_fmac_f32_e32 v68, 0x32a5705f, v21
	v_sub_f32_e32 v21, v32, v69
	v_dual_add_f32 v19, v19, v64 :: v_dual_fmac_f32 v74, 0x32a5705f, v18
	v_sub_f32_e32 v18, v43, v75
	v_fma_f32 v66, 0x3fb8aa3b, v17, -v31
	v_rndne_f32_e32 v67, v31
	v_fmac_f32_e32 v60, 0x32a5705f, v24
	v_sub_f32_e32 v24, v28, v61
	v_fma_f32 v70, 0x3fb8aa3b, v23, -v41
	v_rndne_f32_e32 v71, v41
	v_dual_fmac_f32 v62, 0x32a5705f, v25 :: v_dual_sub_f32 v25, v29, v63
	v_cmp_ngt_f32_e64 s7, 0xc2ce8ed0, v23
	v_cmp_nlt_f32_e64 s17, 0x42b17218, v23
	v_fmac_f32_e32 v70, 0x32a5705f, v23
	v_dual_sub_f32 v23, v41, v71 :: v_dual_fmac_f32 v66, 0x32a5705f, v17
	v_add_f32_e32 v25, v25, v62
	v_cvt_i32_f32_e32 v29, v63
	v_add_f32_e32 v21, v21, v68
	v_cmp_ngt_f32_e64 s5, 0xc2ce8ed0, v17
	v_cmp_nlt_f32_e64 s15, 0x42b17218, v17
	v_exp_f32_e32 v25, v25
	v_sub_f32_e32 v17, v31, v67
	v_cvt_i32_f32_e32 v43, v75
	v_exp_f32_e32 v19, v19
	v_exp_f32_e32 v21, v21
	v_cvt_i32_f32_e32 v30, v65
	v_add_f32_e32 v17, v17, v66
	v_add_f32_e32 v23, v23, v70
	v_cvt_i32_f32_e32 v31, v67
	v_cvt_i32_f32_e32 v32, v69
	v_ldexp_f32 v25, v25, v29
	v_exp_f32_e32 v17, v17
	v_exp_f32_e32 v23, v23
	v_cvt_i32_f32_e32 v41, v71
	v_ldexp_f32 v19, v19, v30
	s_wait_alu 0xf1ff
	v_cndmask_b32_e64 v25, 0, v25, s3
	v_ldexp_f32 v21, v21, v32
	v_cvt_i32_f32_e32 v28, v61
	v_add_f32_e32 v16, v16, v72
	v_cndmask_b32_e64 v19, 0, v19, s4
	v_cndmask_b32_e64 v25, 0x7f800000, v25, s13
	v_add_f32_e32 v18, v18, v74
	v_ldexp_f32 v17, v17, v31
	v_ldexp_f32 v23, v23, v41
	v_cndmask_b32_e64 v21, 0, v21, s6
	v_cndmask_b32_e64 v234, 0x7f800000, v19, s14
	v_exp_f32_e32 v18, v18
	v_cndmask_b32_e64 v17, 0, v17, s5
	v_cndmask_b32_e64 v23, 0, v23, s7
	v_cndmask_b32_e64 v19, 0x7f800000, v21, s16
	v_cvt_i32_f32_e32 v26, v57
	v_cvt_i32_f32_e32 v27, v59
	v_cndmask_b32_e64 v17, 0x7f800000, v17, s15
	v_add_f32_e32 v20, v20, v56
	v_cndmask_b32_e64 v21, 0x7f800000, v23, s17
	v_exp_f32_e32 v16, v16
	v_ldexp_f32 v18, v18, v43
	v_cvt_i32_f32_e32 v42, v73
	s_delay_alu instid0(VALU_DEP_3) | instskip(NEXT) | instid1(VALU_DEP_3)
	v_cvt_f16_f32_e32 v29, v21
	v_cndmask_b32_e64 v18, 0, v18, s9
	s_delay_alu instid0(TRANS32_DEP_1) | instid1(VALU_DEP_3)
	v_ldexp_f32 v16, v16, v42
	s_delay_alu instid0(VALU_DEP_2) | instskip(NEXT) | instid1(VALU_DEP_2)
	v_cndmask_b32_e64 v235, 0x7f800000, v18, s19
	v_cndmask_b32_e64 v16, 0, v16, s8
	s_delay_alu instid0(VALU_DEP_2) | instskip(SKIP_1) | instid1(VALU_DEP_3)
	v_cvt_f16_f32_e64 v30, v235
	v_add_f32_e32 v24, v24, v60
	v_cndmask_b32_e64 v16, 0x7f800000, v16, s18
	s_delay_alu instid0(VALU_DEP_2) | instskip(NEXT) | instid1(VALU_DEP_1)
	v_exp_f32_e32 v24, v24
	v_cvt_f16_f32_e32 v31, v16
	s_delay_alu instid0(TRANS32_DEP_1) | instskip(SKIP_3) | instid1(VALU_DEP_3)
	v_ldexp_f32 v24, v24, v28
	v_cvt_f16_f32_e32 v28, v17
	v_dual_add_f32 v17, v17, v19 :: v_dual_add_f32 v22, v22, v58
	v_exp_f32_e32 v20, v20
	v_cndmask_b32_e64 v24, 0, v24, s2
	v_cvt_f16_f32_e32 v19, v19
	s_delay_alu instid0(VALU_DEP_3) | instskip(SKIP_3) | instid1(VALU_DEP_3)
	v_add_f32_e32 v17, v21, v17
	v_exp_f32_e32 v22, v22
	v_and_b32_e32 v21, 0xffff, v30
	v_cndmask_b32_e64 v24, 0x7f800000, v24, s12
	v_add_f32_e32 v236, v16, v17
	s_delay_alu instid0(TRANS32_DEP_2) | instskip(NEXT) | instid1(VALU_DEP_3)
	v_ldexp_f32 v20, v20, v26
	v_cvt_f16_f32_e32 v23, v24
	v_cvt_f16_f32_e32 v26, v25
	v_mul_u32_u24_e32 v104, 0x10001, v21
	s_delay_alu instid0(TRANS32_DEP_1) | instskip(SKIP_2) | instid1(VALU_DEP_4)
	v_ldexp_f32 v22, v22, v27
	v_cndmask_b32_e64 v20, 0, v20, s10
	v_cvt_f16_f32_e64 v27, v234
	v_pk_mul_f16 v44, v44, v104
	s_wait_alu 0xfffd
	v_cndmask_b32_e32 v22, 0, v22, vcc_lo
	v_cndmask_b32_e64 v20, 0x7f800000, v20, s20
	s_delay_alu instid0(VALU_DEP_2) | instskip(NEXT) | instid1(VALU_DEP_2)
	v_cndmask_b32_e64 v22, 0x7f800000, v22, s11
	v_cvt_f16_f32_e32 v18, v20
	s_delay_alu instid0(VALU_DEP_2) | instskip(SKIP_1) | instid1(VALU_DEP_3)
	v_add_f32_e32 v20, v20, v22
	v_cvt_f16_f32_e32 v22, v22
	v_pack_b32_f16 v18, v18, v28
	s_delay_alu instid0(VALU_DEP_3) | instskip(NEXT) | instid1(VALU_DEP_3)
	v_add_f32_e32 v20, v24, v20
	v_pack_b32_f16 v19, v22, v19
	v_pack_b32_f16 v22, v23, v29
	;; [unrolled: 1-line block ×3, first 2 shown]
	ds_store_2addr_b32 v215, v18, v19 offset1:32
	ds_store_2addr_b32 v215, v22, v23 offset0:64 offset1:96
	s_wait_loadcnt 0x7
	ds_store_b128 v205, v[33:36]
	s_wait_loadcnt 0x6
	ds_store_b128 v207, v[0:3]
	;; [unrolled: 2-line block ×8, first 2 shown]
	v_dual_add_f32 v233, v25, v20 :: v_dual_and_b32 v24, 0xffff, v27
	s_wait_dscnt 0x0
	s_barrier_signal -1
	s_barrier_wait -1
	global_inv scope:SCOPE_SE
	v_fmac_f32_e32 v233, v231, v234
	v_mul_u32_u24_e32 v105, 0x10001, v24
	ds_load_2addr_b64 v[80:83], v187 offset1:32
	ds_load_2addr_b64 v[88:91], v187 offset0:64 offset1:96
	ds_load_2addr_b64 v[84:87], v187 offset0:128 offset1:160
	ds_load_b128 v[96:99], v206
	ds_load_b128 v[72:75], v206 offset:16
	ds_load_2addr_b64 v[68:71], v187 offset0:192 offset1:224
	ds_load_2addr_b64 v[40:43], v216 offset1:32
	ds_load_2addr_b64 v[24:27], v216 offset0:64 offset1:96
	ds_load_2addr_b64 v[56:59], v216 offset0:128 offset1:160
	ds_load_b128 v[100:103], v206 offset:32
	ds_load_b128 v[46:49], v206 offset:48
	ds_load_2addr_b64 v[28:31], v216 offset0:192 offset1:224
	ds_load_2addr_b64 v[52:55], v217 offset1:32
	ds_load_b128 v[32:35], v206 offset:64
	ds_load_b128 v[36:39], v206 offset:80
	;; [unrolled: 1-line block ×10, first 2 shown]
	ds_load_2addr_b64 v[108:111], v217 offset0:64 offset1:96
	ds_load_2addr_b64 v[237:240], v217 offset0:128 offset1:160
	ds_load_2addr_b64 v[241:244], v217 offset0:192 offset1:224
	ds_load_2addr_b64 v[120:123], v218 offset1:32
	ds_load_2addr_b64 v[144:147], v218 offset0:64 offset1:96
	ds_load_2addr_b64 v[124:127], v218 offset0:128 offset1:160
	;; [unrolled: 1-line block ×3, first 2 shown]
	ds_load_2addr_b64 v[132:135], v219 offset1:32
	ds_load_2addr_b64 v[136:139], v219 offset0:64 offset1:96
	ds_load_2addr_b64 v[92:95], v219 offset0:128 offset1:160
	ds_load_2addr_b64 v[76:79], v219 offset0:192 offset1:224
	s_wait_dscnt 0x1e
	v_and_b32_e32 v106, 0xffff, v96
	v_lshrrev_b32_e32 v96, 16, v96
	ds_load_2addr_b64 v[128:131], v220 offset1:32
	v_pk_mul_f16 v51, v51, v105
	ds_load_2addr_b64 v[116:119], v220 offset0:128 offset1:160
	v_mul_u32_u24_e32 v106, 0x10001, v106
	v_mul_u32_u24_e32 v96, 0x10001, v96
	ds_load_2addr_b64 v[112:115], v220 offset0:192 offset1:224
	v_pk_mul_f16 v107, v80, v106
	v_pk_mul_f16 v80, v80, v96
	v_pk_fma_f16 v44, v81, v96, v44
	v_and_b32_e32 v96, 0xffff, v98
	v_pk_fma_f16 v51, v81, v106, v51
	v_pk_fma_f16 v50, v50, v105, v107
	v_and_b32_e32 v105, 0xffff, v97
	v_lshrrev_b32_e32 v97, 16, v97
	v_pk_fma_f16 v45, v45, v104, v80
	v_mul_u32_u24_e32 v96, 0x10001, v96
	s_delay_alu instid0(VALU_DEP_4) | instskip(NEXT) | instid1(VALU_DEP_4)
	v_mul_u32_u24_e32 v105, 0x10001, v105
	v_mul_u32_u24_e32 v97, 0x10001, v97
	s_delay_alu instid0(VALU_DEP_2) | instskip(NEXT) | instid1(VALU_DEP_2)
	v_pk_fma_f16 v50, v82, v105, v50
	v_pk_fma_f16 v44, v83, v97, v44
	;; [unrolled: 1-line block ×3, first 2 shown]
	v_lshrrev_b32_e32 v97, 16, v98
	v_lshrrev_b32_e32 v98, 16, v99
	v_pk_fma_f16 v51, v83, v105, v51
	v_and_b32_e32 v99, 0xffff, v99
	v_pk_fma_f16 v50, v88, v96, v50
	v_mul_u32_u24_e32 v97, 0x10001, v97
	v_mul_u32_u24_e32 v98, 0x10001, v98
	v_pk_fma_f16 v51, v89, v96, v51
	v_mul_u32_u24_e32 v99, 0x10001, v99
	ds_load_2addr_b64 v[80:83], v220 offset0:64 offset1:96
	v_pk_fma_f16 v44, v89, v97, v44
	v_pk_fma_f16 v45, v88, v97, v45
	s_wait_dscnt 0x21
	v_and_b32_e32 v88, 0xffff, v72
	v_lshrrev_b32_e32 v72, 16, v72
	v_and_b32_e32 v89, 0xffff, v73
	v_pk_fma_f16 v44, v91, v98, v44
	v_pk_fma_f16 v45, v90, v98, v45
	v_lshrrev_b32_e32 v73, 16, v73
	v_mul_u32_u24_e32 v72, 0x10001, v72
	v_pk_fma_f16 v51, v91, v99, v51
	v_pk_fma_f16 v50, v90, v99, v50
	v_mul_u32_u24_e32 v88, 0x10001, v88
	v_mul_u32_u24_e32 v73, 0x10001, v73
	v_pk_fma_f16 v44, v85, v72, v44
	v_pk_fma_f16 v45, v84, v72, v45
	v_mul_u32_u24_e32 v89, 0x10001, v89
	v_pk_fma_f16 v51, v85, v88, v51
	v_pk_fma_f16 v50, v84, v88, v50
	v_pk_fma_f16 v44, v87, v73, v44
	v_pk_fma_f16 v45, v86, v73, v45
	v_and_b32_e32 v72, 0xffff, v74
	v_lshrrev_b32_e32 v73, 16, v74
	v_pk_fma_f16 v51, v87, v89, v51
	v_pk_fma_f16 v50, v86, v89, v50
	v_lshrrev_b32_e32 v74, 16, v75
	v_and_b32_e32 v75, 0xffff, v75
	v_mul_u32_u24_e32 v72, 0x10001, v72
	v_mul_u32_u24_e32 v73, 0x10001, v73
	s_wait_dscnt 0x15
	v_and_b32_e32 v88, 0xffff, v64
	v_mul_u32_u24_e32 v74, 0x10001, v74
	v_mul_u32_u24_e32 v75, 0x10001, v75
	v_pk_fma_f16 v51, v69, v72, v51
	v_pk_fma_f16 v44, v69, v73, v44
	v_pk_fma_f16 v50, v68, v72, v50
	v_pk_fma_f16 v45, v68, v73, v45
	v_and_b32_e32 v68, 0xffff, v100
	v_lshrrev_b32_e32 v69, 16, v100
	v_pk_fma_f16 v51, v71, v75, v51
	v_pk_fma_f16 v44, v71, v74, v44
	;; [unrolled: 1-line block ×4, first 2 shown]
	v_and_b32_e32 v70, 0xffff, v101
	v_lshrrev_b32_e32 v71, 16, v101
	v_mul_u32_u24_e32 v68, 0x10001, v68
	v_mul_u32_u24_e32 v69, 0x10001, v69
	v_and_b32_e32 v72, 0xffff, v60
	v_mul_u32_u24_e32 v70, 0x10001, v70
	v_mul_u32_u24_e32 v71, 0x10001, v71
	v_pk_fma_f16 v51, v41, v68, v51
	v_pk_fma_f16 v41, v41, v69, v44
	;; [unrolled: 1-line block ×4, first 2 shown]
	v_and_b32_e32 v68, 0xffff, v102
	v_lshrrev_b32_e32 v69, 16, v102
	v_pk_fma_f16 v45, v43, v70, v51
	v_pk_fma_f16 v50, v43, v71, v41
	;; [unrolled: 1-line block ×4, first 2 shown]
	v_lshrrev_b32_e32 v70, 16, v103
	v_and_b32_e32 v71, 0xffff, v103
	v_mul_u32_u24_e32 v68, 0x10001, v68
	v_mul_u32_u24_e32 v69, 0x10001, v69
	v_lshrrev_b32_e32 v60, 16, v60
	v_mul_u32_u24_e32 v70, 0x10001, v70
	v_mul_u32_u24_e32 v71, 0x10001, v71
	v_pk_fma_f16 v45, v25, v68, v45
	v_pk_fma_f16 v25, v25, v69, v50
	v_pk_fma_f16 v44, v24, v68, v44
	v_and_b32_e32 v68, 0xffff, v46
	v_lshrrev_b32_e32 v46, 16, v46
	v_pk_fma_f16 v24, v24, v69, v51
	v_pk_fma_f16 v45, v27, v71, v45
	;; [unrolled: 1-line block ×4, first 2 shown]
	v_and_b32_e32 v69, 0xffff, v47
	v_lshrrev_b32_e32 v47, 16, v47
	v_mul_u32_u24_e32 v68, 0x10001, v68
	v_mul_u32_u24_e32 v46, 0x10001, v46
	v_pk_fma_f16 v51, v26, v70, v24
	v_mul_u32_u24_e32 v69, 0x10001, v69
	v_mul_u32_u24_e32 v47, 0x10001, v47
	v_pk_fma_f16 v45, v57, v68, v45
	v_pk_fma_f16 v50, v57, v46, v50
	v_pk_fma_f16 v44, v56, v68, v44
	v_pk_fma_f16 v46, v56, v46, v51
	v_and_b32_e32 v68, 0xffff, v48
	v_pk_fma_f16 v56, v59, v69, v45
	v_pk_fma_f16 v57, v59, v47, v50
	;; [unrolled: 1-line block ×3, first 2 shown]
	v_lshrrev_b32_e32 v69, 16, v48
	v_lshrrev_b32_e32 v70, 16, v49
	v_and_b32_e32 v71, 0xffff, v49
	v_mul_u32_u24_e32 v68, 0x10001, v68
	v_pk_fma_f16 v58, v58, v47, v46
	v_mul_u32_u24_e32 v69, 0x10001, v69
	v_mul_u32_u24_e32 v70, 0x10001, v70
	;; [unrolled: 1-line block ×3, first 2 shown]
	v_pk_fma_f16 v56, v29, v68, v56
	v_and_b32_e32 v73, 0xffff, v61
	v_pk_fma_f16 v29, v29, v69, v57
	v_pk_fma_f16 v57, v28, v68, v59
	v_and_b32_e32 v68, 0xffff, v32
	v_lshrrev_b32_e32 v32, 16, v32
	v_pk_fma_f16 v28, v28, v69, v58
	v_pk_fma_f16 v56, v31, v71, v56
	;; [unrolled: 1-line block ×4, first 2 shown]
	v_and_b32_e32 v69, 0xffff, v33
	v_lshrrev_b32_e32 v33, 16, v33
	v_mul_u32_u24_e32 v68, 0x10001, v68
	v_mul_u32_u24_e32 v32, 0x10001, v32
	v_pk_fma_f16 v59, v30, v70, v28
	v_mul_u32_u24_e32 v69, 0x10001, v69
	v_mul_u32_u24_e32 v33, 0x10001, v33
	v_pk_fma_f16 v56, v53, v68, v56
	v_pk_fma_f16 v53, v53, v32, v58
	;; [unrolled: 1-line block ×4, first 2 shown]
	v_lshrrev_b32_e32 v58, 16, v35
	v_pk_fma_f16 v52, v55, v69, v56
	v_pk_fma_f16 v53, v55, v33, v53
	;; [unrolled: 1-line block ×3, first 2 shown]
	v_lshrrev_b32_e32 v57, 16, v34
	v_pk_fma_f16 v54, v54, v33, v32
	v_and_b32_e32 v56, 0xffff, v34
	v_mul_u32_u24_e32 v58, 0x10001, v58
	v_and_b32_e32 v68, 0xffff, v36
	v_mul_u32_u24_e32 v57, 0x10001, v57
	v_lshrrev_b32_e32 v36, 16, v36
	v_and_b32_e32 v59, 0xffff, v35
	v_mul_u32_u24_e32 v56, 0x10001, v56
	v_and_b32_e32 v69, 0xffff, v37
	s_wait_dscnt 0xe
	v_pk_fma_f16 v53, v109, v57, v53
	v_pk_fma_f16 v54, v108, v57, v54
	v_lshrrev_b32_e32 v37, 16, v37
	v_mul_u32_u24_e32 v36, 0x10001, v36
	v_mul_u32_u24_e32 v59, 0x10001, v59
	v_pk_fma_f16 v57, v111, v58, v53
	v_pk_fma_f16 v58, v110, v58, v54
	;; [unrolled: 1-line block ×4, first 2 shown]
	v_mul_u32_u24_e32 v37, 0x10001, v37
	s_wait_dscnt 0xd
	v_pk_fma_f16 v57, v238, v36, v57
	v_pk_fma_f16 v36, v237, v36, v58
	;; [unrolled: 1-line block ×4, first 2 shown]
	v_mul_u32_u24_e32 v68, 0x10001, v68
	v_pk_fma_f16 v70, v240, v37, v57
	v_pk_fma_f16 v36, v239, v37, v36
	v_and_b32_e32 v37, 0xffff, v38
	v_lshrrev_b32_e32 v38, 16, v38
	v_mul_u32_u24_e32 v69, 0x10001, v69
	v_pk_fma_f16 v56, v238, v68, v56
	v_pk_fma_f16 v59, v237, v68, v59
	v_lshrrev_b32_e32 v71, 16, v39
	v_mul_u32_u24_e32 v38, 0x10001, v38
	v_and_b32_e32 v39, 0xffff, v39
	v_pk_fma_f16 v68, v240, v69, v56
	v_pk_fma_f16 v69, v239, v69, v59
	v_mul_u32_u24_e32 v37, 0x10001, v37
	v_mul_u32_u24_e32 v71, 0x10001, v71
	s_wait_dscnt 0xc
	v_pk_fma_f16 v70, v242, v38, v70
	v_pk_fma_f16 v36, v241, v38, v36
	v_mul_u32_u24_e32 v39, 0x10001, v39
	v_pk_fma_f16 v68, v242, v37, v68
	v_pk_fma_f16 v37, v241, v37, v69
	;; [unrolled: 1-line block ×4, first 2 shown]
	v_lshrrev_b32_e32 v61, 16, v61
	v_mul_u32_u24_e32 v60, 0x10001, v60
	v_pk_fma_f16 v68, v244, v39, v68
	v_pk_fma_f16 v70, v243, v39, v37
	v_mul_u32_u24_e32 v72, 0x10001, v72
	v_mul_u32_u24_e32 v61, 0x10001, v61
	s_wait_dscnt 0xb
	v_pk_fma_f16 v69, v121, v60, v69
	v_pk_fma_f16 v60, v120, v60, v71
	v_mul_u32_u24_e32 v73, 0x10001, v73
	v_pk_fma_f16 v68, v121, v72, v68
	v_pk_fma_f16 v70, v120, v72, v70
	;; [unrolled: 1-line block ×4, first 2 shown]
	v_and_b32_e32 v61, 0xffff, v62
	v_lshrrev_b32_e32 v62, 16, v62
	v_pk_fma_f16 v72, v123, v73, v68
	v_pk_fma_f16 v73, v122, v73, v70
	v_lshrrev_b32_e32 v75, 16, v63
	v_and_b32_e32 v63, 0xffff, v63
	v_mul_u32_u24_e32 v61, 0x10001, v61
	v_mul_u32_u24_e32 v62, 0x10001, v62
	v_lshrrev_b32_e32 v64, 16, v64
	v_mul_u32_u24_e32 v75, 0x10001, v75
	v_mul_u32_u24_e32 v63, 0x10001, v63
	s_wait_dscnt 0xa
	v_pk_fma_f16 v72, v145, v61, v72
	v_pk_fma_f16 v74, v145, v62, v74
	;; [unrolled: 1-line block ×4, first 2 shown]
	v_and_b32_e32 v89, 0xffff, v65
	v_pk_fma_f16 v72, v147, v63, v72
	v_pk_fma_f16 v73, v147, v75, v74
	;; [unrolled: 1-line block ×3, first 2 shown]
	v_mul_u32_u24_e32 v88, 0x10001, v88
	v_pk_fma_f16 v75, v146, v75, v60
	v_lshrrev_b32_e32 v65, 16, v65
	v_mul_u32_u24_e32 v64, 0x10001, v64
	v_mul_u32_u24_e32 v89, 0x10001, v89
	s_wait_dscnt 0x9
	v_pk_fma_f16 v72, v125, v88, v72
	v_pk_fma_f16 v74, v124, v88, v74
	v_mul_u32_u24_e32 v65, 0x10001, v65
	v_pk_fma_f16 v73, v125, v64, v73
	v_pk_fma_f16 v64, v124, v64, v75
	;; [unrolled: 1-line block ×4, first 2 shown]
	v_and_b32_e32 v88, 0xffff, v66
	v_lshrrev_b32_e32 v89, 16, v66
	v_pk_fma_f16 v73, v127, v65, v73
	v_pk_fma_f16 v75, v126, v65, v64
	v_lshrrev_b32_e32 v90, 16, v67
	v_mul_u32_u24_e32 v88, 0x10001, v88
	v_mul_u32_u24_e32 v89, 0x10001, v89
	v_and_b32_e32 v91, 0xffff, v67
	ds_load_2addr_b64 v[104:107], v221 offset1:32
	v_mul_u32_u24_e32 v90, 0x10001, v90
	s_wait_dscnt 0x9
	v_pk_fma_f16 v74, v140, v88, v74
	v_pk_fma_f16 v73, v141, v89, v73
	;; [unrolled: 1-line block ×3, first 2 shown]
	v_and_b32_e32 v140, 0xffff, v20
	v_lshrrev_b32_e32 v20, 16, v20
	v_mul_u32_u24_e32 v91, 0x10001, v91
	v_pk_fma_f16 v72, v141, v88, v72
	v_pk_fma_f16 v89, v143, v90, v73
	;; [unrolled: 1-line block ×3, first 2 shown]
	v_and_b32_e32 v141, 0xffff, v21
	v_lshrrev_b32_e32 v21, 16, v21
	v_mul_u32_u24_e32 v20, 0x10001, v20
	v_pk_fma_f16 v88, v143, v91, v72
	v_mul_u32_u24_e32 v140, 0x10001, v140
	v_pk_fma_f16 v91, v142, v91, v74
	v_mul_u32_u24_e32 v21, 0x10001, v21
	s_wait_dscnt 0x8
	v_pk_fma_f16 v89, v133, v20, v89
	v_pk_fma_f16 v20, v132, v20, v90
	v_mul_u32_u24_e32 v141, 0x10001, v141
	v_pk_fma_f16 v88, v133, v140, v88
	v_pk_fma_f16 v91, v132, v140, v91
	;; [unrolled: 1-line block ×4, first 2 shown]
	v_and_b32_e32 v21, 0xffff, v22
	v_pk_fma_f16 v140, v135, v141, v88
	v_lshrrev_b32_e32 v22, 16, v22
	v_lshrrev_b32_e32 v143, 16, v23
	v_and_b32_e32 v23, 0xffff, v23
	v_mul_u32_u24_e32 v21, 0x10001, v21
	v_pk_fma_f16 v141, v134, v141, v91
	v_mul_u32_u24_e32 v22, 0x10001, v22
	v_mul_u32_u24_e32 v143, 0x10001, v143
	;; [unrolled: 1-line block ×3, first 2 shown]
	s_wait_dscnt 0x7
	v_pk_fma_f16 v140, v137, v21, v140
	v_pk_fma_f16 v21, v136, v21, v141
	;; [unrolled: 1-line block ×4, first 2 shown]
	v_and_b32_e32 v141, 0xffff, v17
	v_pk_fma_f16 v136, v139, v23, v140
	v_and_b32_e32 v140, 0xffff, v16
	v_lshrrev_b32_e32 v16, 16, v16
	v_pk_fma_f16 v137, v139, v143, v137
	v_pk_fma_f16 v139, v138, v23, v21
	;; [unrolled: 1-line block ×3, first 2 shown]
	v_lshrrev_b32_e32 v17, 16, v17
	v_mul_u32_u24_e32 v140, 0x10001, v140
	v_mul_u32_u24_e32 v16, 0x10001, v16
	;; [unrolled: 1-line block ×3, first 2 shown]
	v_lshrrev_b32_e32 v143, 16, v19
	v_mul_u32_u24_e32 v17, 0x10001, v17
	s_wait_dscnt 0x6
	v_pk_fma_f16 v136, v93, v140, v136
	v_pk_fma_f16 v93, v93, v16, v137
	;; [unrolled: 1-line block ×4, first 2 shown]
	v_and_b32_e32 v19, 0xffff, v19
	v_pk_fma_f16 v140, v95, v141, v136
	v_pk_fma_f16 v142, v95, v17, v93
	;; [unrolled: 1-line block ×3, first 2 shown]
	v_and_b32_e32 v17, 0xffff, v18
	v_pk_fma_f16 v141, v94, v141, v137
	v_lshrrev_b32_e32 v18, 16, v18
	v_mul_u32_u24_e32 v19, 0x10001, v19
	v_mul_u32_u24_e32 v143, 0x10001, v143
	;; [unrolled: 1-line block ×3, first 2 shown]
	ds_load_2addr_b64 v[96:99], v221 offset0:64 offset1:96
	v_mul_u32_u24_e32 v18, 0x10001, v18
	ds_load_2addr_b64 v[84:87], v221 offset0:128 offset1:160
	ds_load_2addr_b64 v[40:43], v221 offset0:192 offset1:224
	s_wait_dscnt 0x8
	v_pk_fma_f16 v140, v77, v17, v140
	v_pk_fma_f16 v17, v76, v17, v141
	;; [unrolled: 1-line block ×4, first 2 shown]
	v_and_b32_e32 v141, 0xffff, v13
	v_pk_fma_f16 v18, v79, v19, v140
	v_pk_fma_f16 v17, v78, v19, v17
	v_and_b32_e32 v19, 0xffff, v12
	v_lshrrev_b32_e32 v12, 16, v12
	v_pk_fma_f16 v140, v79, v143, v77
	v_pk_fma_f16 v16, v78, v143, v16
	v_lshrrev_b32_e32 v13, 16, v13
	v_mul_u32_u24_e32 v19, 0x10001, v19
	v_mul_u32_u24_e32 v12, 0x10001, v12
	v_mul_u32_u24_e32 v141, 0x10001, v141
	v_lshrrev_b32_e32 v143, 16, v15
	v_mul_u32_u24_e32 v13, 0x10001, v13
	s_wait_dscnt 0x7
	v_pk_fma_f16 v18, v129, v19, v18
	v_pk_fma_f16 v129, v129, v12, v140
	;; [unrolled: 1-line block ×4, first 2 shown]
	v_and_b32_e32 v15, 0xffff, v15
	v_pk_fma_f16 v140, v131, v141, v18
	v_pk_fma_f16 v142, v131, v13, v129
	;; [unrolled: 1-line block ×3, first 2 shown]
	v_and_b32_e32 v13, 0xffff, v14
	v_pk_fma_f16 v141, v130, v141, v17
	v_lshrrev_b32_e32 v14, 16, v14
	v_mul_u32_u24_e32 v15, 0x10001, v15
	v_mul_u32_u24_e32 v143, 0x10001, v143
	;; [unrolled: 1-line block ×3, first 2 shown]
	ds_load_b128 v[44:47], v206 offset:224
	ds_load_b128 v[100:103], v206 offset:240
	v_mul_u32_u24_e32 v14, 0x10001, v14
	ds_load_2addr_b64 v[24:27], v222 offset1:32
	s_wait_dscnt 0x7
	v_pk_fma_f16 v140, v81, v13, v140
	v_pk_fma_f16 v13, v80, v13, v141
	v_and_b32_e32 v141, 0xffff, v9
	v_pk_fma_f16 v81, v81, v14, v142
	v_pk_fma_f16 v12, v80, v14, v12
	;; [unrolled: 1-line block ×4, first 2 shown]
	v_and_b32_e32 v15, 0xffff, v8
	v_lshrrev_b32_e32 v8, 16, v8
	v_pk_fma_f16 v140, v83, v143, v81
	v_pk_fma_f16 v12, v82, v143, v12
	v_lshrrev_b32_e32 v9, 16, v9
	v_mul_u32_u24_e32 v15, 0x10001, v15
	v_mul_u32_u24_e32 v8, 0x10001, v8
	;; [unrolled: 1-line block ×3, first 2 shown]
	v_lshrrev_b32_e32 v143, 16, v11
	v_mul_u32_u24_e32 v9, 0x10001, v9
	v_pk_fma_f16 v14, v117, v15, v14
	v_pk_fma_f16 v117, v117, v8, v140
	;; [unrolled: 1-line block ×4, first 2 shown]
	v_and_b32_e32 v11, 0xffff, v11
	v_pk_fma_f16 v140, v119, v141, v14
	v_pk_fma_f16 v142, v119, v9, v117
	;; [unrolled: 1-line block ×3, first 2 shown]
	v_and_b32_e32 v9, 0xffff, v10
	v_lshrrev_b32_e32 v10, 16, v10
	v_pk_fma_f16 v141, v118, v141, v13
	v_mul_u32_u24_e32 v11, 0x10001, v11
	v_mul_u32_u24_e32 v143, 0x10001, v143
	;; [unrolled: 1-line block ×4, first 2 shown]
	ds_load_2addr_b64 v[48:51], v222 offset0:64 offset1:96
	ds_load_2addr_b64 v[28:31], v222 offset0:128 offset1:160
	s_wait_dscnt 0x4
	v_and_b32_e32 v147, 0xffff, v46
	v_pk_fma_f16 v140, v113, v9, v140
	v_pk_fma_f16 v113, v113, v10, v142
	;; [unrolled: 1-line block ×4, first 2 shown]
	v_and_b32_e32 v141, 0xffff, v5
	v_pk_fma_f16 v112, v115, v11, v140
	v_and_b32_e32 v140, 0xffff, v4
	v_lshrrev_b32_e32 v4, 16, v4
	v_pk_fma_f16 v113, v115, v143, v113
	v_pk_fma_f16 v115, v114, v11, v9
	v_lshrrev_b32_e32 v5, 16, v5
	v_mul_u32_u24_e32 v140, 0x10001, v140
	v_mul_u32_u24_e32 v4, 0x10001, v4
	v_mul_u32_u24_e32 v141, 0x10001, v141
	v_pk_fma_f16 v114, v114, v143, v8
	v_mul_u32_u24_e32 v5, 0x10001, v5
	v_pk_fma_f16 v112, v105, v140, v112
	v_pk_fma_f16 v105, v105, v4, v113
	;; [unrolled: 1-line block ×3, first 2 shown]
	v_and_b32_e32 v140, 0xffff, v6
	v_pk_fma_f16 v4, v104, v4, v114
	v_pk_fma_f16 v112, v107, v141, v112
	;; [unrolled: 1-line block ×4, first 2 shown]
	v_lshrrev_b32_e32 v141, 16, v6
	v_lshrrev_b32_e32 v142, 16, v7
	v_and_b32_e32 v143, 0xffff, v7
	v_mul_u32_u24_e32 v140, 0x10001, v140
	v_pk_fma_f16 v115, v106, v5, v4
	v_mul_u32_u24_e32 v141, 0x10001, v141
	v_mul_u32_u24_e32 v142, 0x10001, v142
	;; [unrolled: 1-line block ×3, first 2 shown]
	v_pk_fma_f16 v112, v97, v140, v112
	v_pk_fma_f16 v113, v96, v140, v113
	;; [unrolled: 1-line block ×3, first 2 shown]
	v_and_b32_e32 v140, 0xffff, v0
	v_lshrrev_b32_e32 v0, 16, v0
	v_pk_fma_f16 v96, v96, v141, v115
	v_pk_fma_f16 v112, v99, v143, v112
	;; [unrolled: 1-line block ×4, first 2 shown]
	v_and_b32_e32 v141, 0xffff, v1
	v_lshrrev_b32_e32 v1, 16, v1
	v_mul_u32_u24_e32 v140, 0x10001, v140
	v_mul_u32_u24_e32 v0, 0x10001, v0
	v_pk_fma_f16 v115, v98, v142, v96
	v_mul_u32_u24_e32 v141, 0x10001, v141
	v_mul_u32_u24_e32 v1, 0x10001, v1
	v_pk_fma_f16 v112, v85, v140, v112
	v_pk_fma_f16 v85, v85, v0, v114
	;; [unrolled: 1-line block ×4, first 2 shown]
	v_and_b32_e32 v140, 0xffff, v2
	v_pk_fma_f16 v84, v87, v141, v112
	v_pk_fma_f16 v85, v87, v1, v85
	;; [unrolled: 1-line block ×3, first 2 shown]
	v_lshrrev_b32_e32 v141, 16, v2
	v_pk_fma_f16 v86, v86, v1, v0
	v_lshrrev_b32_e32 v142, 16, v3
	v_and_b32_e32 v143, 0xffff, v3
	v_mul_u32_u24_e32 v140, 0x10001, v140
	v_mul_u32_u24_e32 v141, 0x10001, v141
	v_lshrrev_b32_e32 v46, 16, v46
	v_mul_u32_u24_e32 v142, 0x10001, v142
	v_mul_u32_u24_e32 v143, 0x10001, v143
	v_pk_fma_f16 v84, v41, v140, v84
	v_pk_fma_f16 v41, v41, v141, v85
	;; [unrolled: 1-line block ×4, first 2 shown]
	v_and_b32_e32 v140, 0xffff, v44
	v_lshrrev_b32_e32 v44, 16, v44
	v_pk_fma_f16 v84, v43, v143, v84
	v_pk_fma_f16 v86, v43, v142, v41
	v_pk_fma_f16 v85, v42, v143, v85
	v_pk_fma_f16 v87, v42, v142, v40
	v_and_b32_e32 v141, 0xffff, v45
	v_lshrrev_b32_e32 v45, 16, v45
	v_mul_u32_u24_e32 v140, 0x10001, v140
	v_mul_u32_u24_e32 v44, 0x10001, v44
	ds_load_b128 v[108:111], v206 offset:256
	ds_load_b128 v[120:123], v206 offset:272
	v_mul_u32_u24_e32 v141, 0x10001, v141
	v_mul_u32_u24_e32 v45, 0x10001, v45
	s_wait_dscnt 0x4
	v_pk_fma_f16 v84, v25, v140, v84
	v_pk_fma_f16 v25, v25, v44, v86
	;; [unrolled: 1-line block ×4, first 2 shown]
	v_lshrrev_b32_e32 v231, 16, v47
	v_pk_fma_f16 v44, v27, v141, v84
	v_pk_fma_f16 v145, v27, v45, v25
	;; [unrolled: 1-line block ×4, first 2 shown]
	v_and_b32_e32 v47, 0xffff, v47
	v_mul_u32_u24_e32 v147, 0x10001, v147
	v_mul_u32_u24_e32 v46, 0x10001, v46
	ds_load_2addr_b64 v[32:35], v222 offset0:192 offset1:224
	ds_load_2addr_b64 v[52:55], v223 offset1:32
	v_mul_u32_u24_e32 v47, 0x10001, v47
	s_wait_dscnt 0x5
	v_pk_fma_f16 v44, v49, v147, v44
	v_pk_fma_f16 v146, v48, v147, v146
	v_lshrrev_b32_e32 v147, 16, v100
	v_pk_fma_f16 v49, v49, v46, v145
	v_pk_fma_f16 v45, v48, v46, v45
	v_and_b32_e32 v46, 0xffff, v100
	v_mul_u32_u24_e32 v100, 0x10001, v231
	v_pk_fma_f16 v44, v51, v47, v44
	v_pk_fma_f16 v47, v50, v47, v146
	v_lshrrev_b32_e32 v48, 16, v101
	v_mul_u32_u24_e32 v46, 0x10001, v46
	v_pk_fma_f16 v49, v51, v100, v49
	v_pk_fma_f16 v45, v50, v100, v45
	v_and_b32_e32 v50, 0xffff, v101
	v_mul_u32_u24_e32 v147, 0x10001, v147
	v_lshrrev_b32_e32 v51, 16, v102
	v_and_b32_e32 v145, 0xffff, v102
	s_wait_dscnt 0x4
	v_pk_fma_f16 v44, v29, v46, v44
	v_pk_fma_f16 v46, v28, v46, v47
	;; [unrolled: 1-line block ×3, first 2 shown]
	v_mul_u32_u24_e32 v49, 0x10001, v50
	v_mul_u32_u24_e32 v48, 0x10001, v48
	v_and_b32_e32 v231, 0xffff, v103
	s_wait_dscnt 0x3
	v_lshrrev_b32_e32 v47, 16, v108
	v_pk_fma_f16 v28, v28, v147, v45
	v_and_b32_e32 v45, 0xffff, v108
	v_pk_fma_f16 v44, v31, v49, v44
	v_pk_fma_f16 v46, v30, v49, v46
	v_lshrrev_b32_e32 v49, 16, v109
	v_pk_fma_f16 v50, v31, v48, v29
	v_and_b32_e32 v108, 0xffff, v109
	v_mul_u32_u24_e32 v109, 0x10001, v145
	v_mul_u32_u24_e32 v51, 0x10001, v51
	ds_load_b128 v[124:127], v206 offset:288
	ds_load_b128 v[132:135], v206 offset:304
	v_lshrrev_b32_e32 v146, 16, v103
	v_pk_fma_f16 v48, v30, v48, v28
	s_wait_dscnt 0x3
	v_pk_fma_f16 v44, v33, v109, v44
	v_pk_fma_f16 v46, v32, v109, v46
	;; [unrolled: 1-line block ×3, first 2 shown]
	v_mul_u32_u24_e32 v50, 0x10001, v231
	ds_load_2addr_b64 v[56:59], v223 offset0:64 offset1:96
	v_pk_fma_f16 v32, v32, v51, v48
	v_mul_u32_u24_e32 v51, 0x10001, v146
	v_mul_u32_u24_e32 v45, 0x10001, v45
	v_pk_fma_f16 v44, v35, v50, v44
	v_pk_fma_f16 v46, v34, v50, v46
	v_mov_b32_e32 v140, v236
	v_pk_fma_f16 v109, v35, v51, v33
	v_pk_fma_f16 v51, v34, v51, v32
	s_wait_dscnt 0x3
	v_pk_fma_f16 v44, v53, v45, v44
	v_pk_fma_f16 v45, v52, v45, v46
	v_mul_u32_u24_e32 v46, 0x10001, v47
	ds_load_2addr_b64 v[36:39], v223 offset0:128 offset1:160
	v_fmac_f32_e32 v140, v232, v235
	v_lshrrev_b32_e32 v147, 16, v110
	v_and_b32_e32 v232, 0xffff, v110
	v_pk_fma_f16 v47, v53, v46, v109
	v_pk_fma_f16 v46, v52, v46, v51
	v_mul_u32_u24_e32 v52, 0x10001, v108
	v_mul_u32_u24_e32 v49, 0x10001, v49
	v_and_b32_e32 v235, 0xffff, v111
	s_wait_dscnt 0x3
	v_lshrrev_b32_e32 v53, 16, v126
	v_lshrrev_b32_e32 v234, 16, v111
	v_pk_fma_f16 v44, v55, v52, v44
	v_pk_fma_f16 v45, v54, v52, v45
	v_lshrrev_b32_e32 v52, 16, v125
	v_pk_fma_f16 v47, v55, v49, v47
	v_pk_fma_f16 v46, v54, v49, v46
	v_and_b32_e32 v49, 0xffff, v125
	v_and_b32_e32 v54, 0xffff, v126
	v_mul_u32_u24_e32 v125, 0x10001, v232
	v_mul_u32_u24_e32 v126, 0x10001, v147
	v_and_b32_e32 v48, 0xffff, v120
	ds_load_2addr_b64 v[68:71], v223 offset0:192 offset1:224
	v_lshrrev_b32_e32 v145, 16, v120
	s_wait_dscnt 0x2
	v_pk_fma_f16 v44, v57, v125, v44
	v_pk_fma_f16 v45, v56, v125, v45
	;; [unrolled: 1-line block ×3, first 2 shown]
	v_mul_u32_u24_e32 v56, 0x10001, v235
	v_pk_fma_f16 v47, v57, v126, v47
	v_mul_u32_u24_e32 v48, 0x10001, v48
	v_and_b32_e32 v120, 0xffff, v121
	v_lshrrev_b32_e32 v50, 16, v121
	v_pk_fma_f16 v57, v59, v56, v44
	v_pk_fma_f16 v56, v58, v56, v45
	v_mul_u32_u24_e32 v44, 0x10001, v234
	v_lshrrev_b32_e32 v121, 16, v122
	v_and_b32_e32 v122, 0xffff, v122
	s_wait_dscnt 0x1
	v_pk_fma_f16 v57, v37, v48, v57
	v_pk_fma_f16 v48, v36, v48, v56
	;; [unrolled: 1-line block ×4, first 2 shown]
	v_mul_u32_u24_e32 v56, 0x10001, v145
	ds_load_2addr_b64 v[60:63], v224 offset1:32
	v_mul_u32_u24_e32 v50, 0x10001, v50
	v_lshrrev_b32_e32 v146, 16, v123
	v_and_b32_e32 v123, 0xffff, v123
	v_pk_fma_f16 v37, v37, v56, v59
	v_pk_fma_f16 v36, v36, v56, v58
	v_mul_u32_u24_e32 v56, 0x10001, v120
	v_mul_u32_u24_e32 v58, 0x10001, v122
	v_and_b32_e32 v51, 0xffff, v124
	ds_load_2addr_b64 v[64:67], v224 offset0:64 offset1:96
	v_lshrrev_b32_e32 v231, 16, v124
	v_pk_fma_f16 v57, v39, v56, v57
	v_pk_fma_f16 v48, v38, v56, v48
	;; [unrolled: 1-line block ×4, first 2 shown]
	v_mul_u32_u24_e32 v51, 0x10001, v51
	s_wait_dscnt 0x2
	v_pk_fma_f16 v57, v69, v58, v57
	v_pk_fma_f16 v48, v68, v58, v48
	v_mul_u32_u24_e32 v58, 0x10001, v121
	v_mul_u32_u24_e32 v49, 0x10001, v49
	ds_load_2addr_b64 v[72:75], v224 offset0:128 offset1:160
	v_and_b32_e32 v124, 0xffff, v127
	v_mul_u32_u24_e32 v54, 0x10001, v54
	v_pk_fma_f16 v56, v69, v58, v56
	v_pk_fma_f16 v50, v68, v58, v50
	v_mul_u32_u24_e32 v58, 0x10001, v123
	v_mul_u32_u24_e32 v53, 0x10001, v53
	v_lshrrev_b32_e32 v55, 16, v127
	v_and_b32_e32 v126, 0xffff, v132
	ds_load_2addr_b64 v[88:91], v224 offset0:192 offset1:224
	v_pk_fma_f16 v68, v71, v58, v57
	v_pk_fma_f16 v48, v70, v58, v48
	v_mul_u32_u24_e32 v57, 0x10001, v146
	v_lshrrev_b32_e32 v125, 16, v132
	v_and_b32_e32 v132, 0xffff, v133
	s_wait_dscnt 0x3
	v_pk_fma_f16 v68, v61, v51, v68
	v_pk_fma_f16 v48, v60, v51, v48
	;; [unrolled: 1-line block ×4, first 2 shown]
	v_mul_u32_u24_e32 v51, 0x10001, v231
	ds_load_b128 v[136:139], v206 offset:320
	ds_load_b128 v[128:131], v206 offset:336
	v_lshrrev_b32_e32 v127, 16, v133
	v_lshrrev_b32_e32 v133, 16, v134
	v_pk_fma_f16 v61, v61, v51, v69
	v_pk_fma_f16 v50, v60, v51, v50
	;; [unrolled: 1-line block ×4, first 2 shown]
	v_mul_u32_u24_e32 v48, 0x10001, v52
	v_and_b32_e32 v134, 0xffff, v134
	ds_load_2addr_b64 v[20:23], v225 offset1:32
	s_wait_dscnt 0x5
	v_pk_fma_f16 v60, v65, v54, v60
	v_pk_fma_f16 v54, v64, v54, v68
	;; [unrolled: 1-line block ×4, first 2 shown]
	v_mul_u32_u24_e32 v68, 0x10001, v134
	v_lshrrev_b32_e32 v147, 16, v135
	v_and_b32_e32 v135, 0xffff, v135
	v_pk_fma_f16 v52, v65, v53, v52
	v_pk_fma_f16 v53, v64, v53, v61
	v_mul_u32_u24_e32 v61, 0x10001, v124
	v_mul_u32_u24_e32 v64, 0x10001, v126
	s_wait_dscnt 0x2
	v_lshrrev_b32_e32 v232, 16, v136
	v_and_b32_e32 v136, 0xffff, v136
	ds_load_2addr_b64 v[92:95], v225 offset0:64 offset1:96
	v_pk_fma_f16 v60, v67, v61, v60
	v_pk_fma_f16 v61, v66, v61, v54
	v_mul_u32_u24_e32 v54, 0x10001, v55
	v_lshrrev_b32_e32 v120, 16, v137
	v_and_b32_e32 v137, 0xffff, v137
	v_pk_fma_f16 v60, v73, v64, v60
	v_pk_fma_f16 v61, v72, v64, v61
	v_pk_fma_f16 v62, v67, v54, v52
	v_pk_fma_f16 v63, v66, v54, v53
	v_mul_u32_u24_e32 v64, 0x10001, v125
	v_mul_u32_u24_e32 v134, 0x10001, v232
	ds_load_2addr_b64 v[76:79], v225 offset0:128 offset1:160
	ds_load_2addr_b64 v[16:19], v225 offset0:192 offset1:224
	ds_load_2addr_b64 v[80:83], v226 offset1:32
	v_pk_fma_f16 v62, v73, v64, v62
	v_pk_fma_f16 v63, v72, v64, v63
	v_mul_u32_u24_e32 v64, 0x10001, v132
	ds_load_b128 v[116:119], v206 offset:352
	ds_load_b128 v[104:107], v206 offset:368
	ds_load_2addr_b64 v[12:15], v226 offset0:64 offset1:96
	ds_load_2addr_b64 v[8:11], v226 offset0:128 offset1:160
	v_pk_fma_f16 v65, v75, v64, v60
	v_pk_fma_f16 v64, v74, v64, v61
	v_mul_u32_u24_e32 v60, 0x10001, v127
	ds_load_2addr_b64 v[4:7], v226 offset0:192 offset1:224
	ds_load_2addr_b64 v[96:99], v227 offset1:32
	v_pk_fma_f16 v65, v89, v68, v65
	v_pk_fma_f16 v64, v88, v68, v64
	;; [unrolled: 1-line block ×4, first 2 shown]
	v_mul_u32_u24_e32 v68, 0x10001, v133
	v_mul_u32_u24_e32 v133, 0x10001, v136
	ds_load_b128 v[112:115], v206 offset:384
	ds_load_2addr_b64 v[0:3], v227 offset0:64 offset1:96
	ds_load_2addr_b64 v[40:43], v227 offset0:128 offset1:160
	v_pk_fma_f16 v66, v89, v68, v66
	v_pk_fma_f16 v67, v88, v68, v67
	v_mul_u32_u24_e32 v68, 0x10001, v135
	ds_load_b128 v[141:144], v206 offset:400
	ds_load_2addr_b64 v[84:87], v227 offset0:192 offset1:224
	ds_load_b128 v[100:103], v206 offset:416
	ds_load_b128 v[108:111], v206 offset:432
	v_lshrrev_b32_e32 v145, 16, v138
	v_pk_fma_f16 v69, v91, v68, v65
	v_pk_fma_f16 v68, v90, v68, v64
	v_mul_u32_u24_e32 v64, 0x10001, v147
	v_and_b32_e32 v138, 0xffff, v138
	v_lshrrev_b32_e32 v234, 16, v139
	s_wait_dscnt 0x11
	v_pk_fma_f16 v69, v21, v133, v69
	v_pk_fma_f16 v68, v20, v133, v68
	v_pk_fma_f16 v70, v91, v64, v66
	v_pk_fma_f16 v71, v90, v64, v67
	v_and_b32_e32 v139, 0xffff, v139
	ds_load_b128 v[56:59], v206 offset:448
	ds_load_b128 v[60:63], v206 offset:464
	v_pk_fma_f16 v21, v21, v134, v70
	v_mul_u32_u24_e32 v70, 0x10001, v137
	v_pk_fma_f16 v20, v20, v134, v71
	v_mul_u32_u24_e32 v136, 0x10001, v138
	v_mul_u32_u24_e32 v137, 0x10001, v145
	v_lshrrev_b32_e32 v122, 16, v128
	v_pk_fma_f16 v69, v23, v70, v69
	v_pk_fma_f16 v68, v22, v70, v68
	v_mul_u32_u24_e32 v70, 0x10001, v120
	v_and_b32_e32 v121, 0xffff, v128
	v_and_b32_e32 v128, 0xffff, v129
	s_wait_dscnt 0x12
	v_pk_fma_f16 v69, v93, v136, v69
	v_pk_fma_f16 v68, v92, v136, v68
	;; [unrolled: 1-line block ×4, first 2 shown]
	s_wait_dscnt 0x2
	v_lshrrev_b32_e32 v136, 16, v108
	v_mul_u32_u24_e32 v121, 0x10001, v121
	v_mul_u32_u24_e32 v122, 0x10001, v122
	v_pk_fma_f16 v71, v93, v137, v71
	v_mul_u32_u24_e32 v93, 0x10001, v139
	v_pk_fma_f16 v70, v92, v137, v70
	v_and_b32_e32 v92, 0xffff, v108
	v_lshrrev_b32_e32 v123, 16, v129
	v_lshrrev_b32_e32 v129, 16, v130
	v_pk_fma_f16 v108, v95, v93, v69
	v_pk_fma_f16 v93, v94, v93, v68
	v_mul_u32_u24_e32 v68, 0x10001, v234
	v_and_b32_e32 v130, 0xffff, v130
	v_lshrrev_b32_e32 v146, 16, v131
	v_pk_fma_f16 v108, v77, v121, v108
	v_pk_fma_f16 v93, v76, v121, v93
	;; [unrolled: 1-line block ×4, first 2 shown]
	s_wait_dscnt 0x1
	v_lshrrev_b32_e32 v121, 16, v56
	v_and_b32_e32 v131, 0xffff, v131
	v_mul_u32_u24_e32 v130, 0x10001, v130
	v_pk_fma_f16 v76, v76, v122, v94
	v_and_b32_e32 v94, 0xffff, v56
	v_mul_u32_u24_e32 v56, 0x10001, v128
	v_pk_fma_f16 v77, v77, v122, v95
	v_mul_u32_u24_e32 v129, 0x10001, v129
	v_lshrrev_b32_e32 v235, 16, v116
	v_and_b32_e32 v116, 0xffff, v116
	v_pk_fma_f16 v95, v79, v56, v108
	v_pk_fma_f16 v93, v78, v56, v93
	v_mul_u32_u24_e32 v56, 0x10001, v123
	v_lshrrev_b32_e32 v231, 16, v117
	v_and_b32_e32 v117, 0xffff, v117
	v_pk_fma_f16 v95, v17, v130, v95
	v_pk_fma_f16 v93, v16, v130, v93
	;; [unrolled: 1-line block ×4, first 2 shown]
	s_wait_dscnt 0x0
	v_lshrrev_b32_e32 v130, 16, v60
	v_lshrrev_b32_e32 v126, 16, v112
	v_and_b32_e32 v72, 0xffff, v112
	v_pk_fma_f16 v16, v16, v129, v76
	v_and_b32_e32 v76, 0xffff, v60
	v_mul_u32_u24_e32 v60, 0x10001, v131
	v_pk_fma_f16 v17, v17, v129, v77
	v_and_b32_e32 v131, 0xffff, v61
	v_lshrrev_b32_e32 v73, 16, v113
	v_and_b32_e32 v74, 0xffff, v113
	v_pk_fma_f16 v77, v19, v60, v95
	v_pk_fma_f16 v60, v18, v60, v93
	v_lshrrev_b32_e32 v93, 16, v61
	v_mul_u32_u24_e32 v95, 0x10001, v146
	v_mul_u32_u24_e32 v61, 0x10001, v116
	v_lshrrev_b32_e32 v75, 16, v114
	v_and_b32_e32 v112, 0xffff, v114
	v_lshrrev_b32_e32 v113, 16, v115
	v_and_b32_e32 v114, 0xffff, v115
	;; [unrolled: 2-line block ×4, first 2 shown]
	v_pk_fma_f16 v129, v19, v95, v17
	v_pk_fma_f16 v95, v18, v95, v16
	v_lshrrev_b32_e32 v141, 16, v62
	v_and_b32_e32 v142, 0xffff, v62
	v_pk_fma_f16 v62, v81, v61, v77
	v_pk_fma_f16 v60, v80, v61, v60
	v_mul_u32_u24_e32 v61, 0x10001, v235
	v_lshrrev_b32_e32 v91, 16, v143
	v_and_b32_e32 v125, 0xffff, v143
	v_lshrrev_b32_e32 v127, 16, v144
	v_and_b32_e32 v132, 0xffff, v144
	v_lshrrev_b32_e32 v143, 16, v63
	v_and_b32_e32 v144, 0xffff, v63
	v_pk_fma_f16 v63, v81, v61, v129
	v_pk_fma_f16 v61, v80, v61, v95
	v_mul_u32_u24_e32 v80, 0x10001, v117
	v_lshrrev_b32_e32 v236, 16, v118
	v_and_b32_e32 v118, 0xffff, v118
	v_lshrrev_b32_e32 v237, 16, v119
	v_and_b32_e32 v119, 0xffff, v119
	v_pk_fma_f16 v81, v83, v80, v62
	v_pk_fma_f16 v80, v82, v80, v60
	v_mul_u32_u24_e32 v60, 0x10001, v231
	v_mul_u32_u24_e32 v118, 0x10001, v118
	v_mul_u32_u24_e32 v129, 0x10001, v236
	v_lshrrev_b32_e32 v238, 16, v104
	v_and_b32_e32 v104, 0xffff, v104
	v_pk_fma_f16 v83, v83, v60, v63
	v_pk_fma_f16 v82, v82, v60, v61
	;; [unrolled: 1-line block ×4, first 2 shown]
	v_lshrrev_b32_e32 v124, 16, v105
	v_pk_fma_f16 v13, v13, v129, v83
	v_pk_fma_f16 v12, v12, v129, v82
	v_mul_u32_u24_e32 v82, 0x10001, v119
	v_mul_u32_u24_e32 v83, 0x10001, v237
	v_and_b32_e32 v105, 0xffff, v105
	v_mul_u32_u24_e32 v104, 0x10001, v104
	v_mul_u32_u24_e32 v146, 0x10001, v238
	v_pk_fma_f16 v81, v15, v82, v81
	v_pk_fma_f16 v80, v14, v82, v80
	;; [unrolled: 1-line block ×4, first 2 shown]
	v_lshrrev_b32_e32 v239, 16, v106
	v_and_b32_e32 v106, 0xffff, v106
	v_mul_u32_u24_e32 v105, 0x10001, v105
	v_mul_u32_u24_e32 v124, 0x10001, v124
	v_pk_fma_f16 v81, v9, v104, v81
	v_pk_fma_f16 v9, v9, v146, v119
	;; [unrolled: 1-line block ×4, first 2 shown]
	v_lshrrev_b32_e32 v240, 16, v107
	v_and_b32_e32 v107, 0xffff, v107
	v_mul_u32_u24_e32 v106, 0x10001, v106
	v_mul_u32_u24_e32 v147, 0x10001, v239
	v_pk_fma_f16 v81, v11, v105, v81
	v_pk_fma_f16 v9, v11, v124, v9
	v_pk_fma_f16 v11, v10, v105, v80
	v_pk_fma_f16 v8, v10, v124, v8
	v_mul_u32_u24_e32 v107, 0x10001, v107
	v_mul_u32_u24_e32 v231, 0x10001, v240
	v_pk_fma_f16 v80, v5, v106, v81
	v_pk_fma_f16 v5, v5, v147, v9
	v_pk_fma_f16 v9, v4, v106, v11
	v_pk_fma_f16 v4, v4, v147, v8
	v_mul_u32_u24_e32 v72, 0x10001, v72
	v_mul_u32_u24_e32 v126, 0x10001, v126
	v_pk_fma_f16 v11, v7, v107, v80
	v_pk_fma_f16 v5, v7, v231, v5
	v_pk_fma_f16 v7, v6, v107, v9
	v_pk_fma_f16 v4, v6, v231, v4
	v_mul_u32_u24_e32 v74, 0x10001, v74
	v_mul_u32_u24_e32 v73, 0x10001, v73
	v_pk_fma_f16 v9, v97, v72, v11
	v_pk_fma_f16 v5, v97, v126, v5
	v_pk_fma_f16 v7, v96, v72, v7
	v_pk_fma_f16 v4, v96, v126, v4
	v_mul_u32_u24_e32 v112, 0x10001, v112
	v_mul_u32_u24_e32 v75, 0x10001, v75
	v_pk_fma_f16 v9, v99, v74, v9
	v_pk_fma_f16 v5, v99, v73, v5
	v_pk_fma_f16 v7, v98, v74, v7
	v_pk_fma_f16 v4, v98, v73, v4
	v_mul_u32_u24_e32 v114, 0x10001, v114
	v_mul_u32_u24_e32 v113, 0x10001, v113
	v_pk_fma_f16 v9, v1, v112, v9
	v_pk_fma_f16 v1, v1, v75, v5
	v_pk_fma_f16 v5, v0, v112, v7
	v_pk_fma_f16 v0, v0, v75, v4
	v_mul_u32_u24_e32 v88, 0x10001, v88
	v_mul_u32_u24_e32 v115, 0x10001, v115
	v_pk_fma_f16 v7, v3, v114, v9
	v_pk_fma_f16 v1, v3, v113, v1
	v_pk_fma_f16 v3, v2, v114, v5
	v_pk_fma_f16 v0, v2, v113, v0
	ds_load_2addr_b64 v[24:27], v228 offset1:32
	v_mul_u32_u24_e32 v90, 0x10001, v90
	v_mul_u32_u24_e32 v89, 0x10001, v89
	v_pk_fma_f16 v5, v41, v88, v7
	v_pk_fma_f16 v1, v41, v115, v1
	;; [unrolled: 1-line block ×4, first 2 shown]
	v_mul_u32_u24_e32 v125, 0x10001, v125
	v_mul_u32_u24_e32 v91, 0x10001, v91
	v_pk_fma_f16 v5, v43, v90, v5
	v_pk_fma_f16 v1, v43, v89, v1
	;; [unrolled: 1-line block ×4, first 2 shown]
	ds_load_2addr_b64 v[28:31], v228 offset0:64 offset1:96
	v_lshrrev_b32_e32 v133, 16, v100
	v_and_b32_e32 v100, 0xffff, v100
	v_mul_u32_u24_e32 v132, 0x10001, v132
	v_mul_u32_u24_e32 v127, 0x10001, v127
	v_pk_fma_f16 v5, v85, v125, v5
	v_pk_fma_f16 v1, v85, v91, v1
	;; [unrolled: 1-line block ×4, first 2 shown]
	v_lshrrev_b32_e32 v134, 16, v101
	v_and_b32_e32 v101, 0xffff, v101
	v_mul_u32_u24_e32 v100, 0x10001, v100
	v_mul_u32_u24_e32 v133, 0x10001, v133
	v_pk_fma_f16 v5, v87, v132, v5
	v_pk_fma_f16 v1, v87, v127, v1
	;; [unrolled: 1-line block ×4, first 2 shown]
	ds_load_2addr_b64 v[32:35], v228 offset0:128 offset1:160
	v_lshrrev_b32_e32 v120, 16, v102
	v_and_b32_e32 v102, 0xffff, v102
	v_mul_u32_u24_e32 v101, 0x10001, v101
	v_mul_u32_u24_e32 v134, 0x10001, v134
	s_wait_dscnt 0x2
	v_pk_fma_f16 v5, v25, v100, v5
	v_pk_fma_f16 v1, v25, v133, v1
	;; [unrolled: 1-line block ×4, first 2 shown]
	v_lshrrev_b32_e32 v135, 16, v103
	v_and_b32_e32 v103, 0xffff, v103
	v_mul_u32_u24_e32 v102, 0x10001, v102
	v_mul_u32_u24_e32 v120, 0x10001, v120
	v_pk_fma_f16 v5, v27, v101, v5
	v_pk_fma_f16 v1, v27, v134, v1
	;; [unrolled: 1-line block ×4, first 2 shown]
	ds_load_2addr_b64 v[44:47], v228 offset0:192 offset1:224
	v_mul_u32_u24_e32 v103, 0x10001, v103
	v_mul_u32_u24_e32 v135, 0x10001, v135
	s_wait_dscnt 0x2
	v_pk_fma_f16 v5, v29, v102, v5
	v_pk_fma_f16 v1, v29, v120, v1
	;; [unrolled: 1-line block ×4, first 2 shown]
	v_lshrrev_b32_e32 v137, 16, v109
	v_and_b32_e32 v109, 0xffff, v109
	v_mul_u32_u24_e32 v92, 0x10001, v92
	v_mul_u32_u24_e32 v136, 0x10001, v136
	v_pk_fma_f16 v5, v31, v103, v5
	v_pk_fma_f16 v1, v31, v135, v1
	;; [unrolled: 1-line block ×4, first 2 shown]
	ds_load_2addr_b64 v[36:39], v229 offset1:32
	v_lshrrev_b32_e32 v138, 16, v110
	v_and_b32_e32 v110, 0xffff, v110
	v_mul_u32_u24_e32 v109, 0x10001, v109
	v_mul_u32_u24_e32 v137, 0x10001, v137
	s_wait_dscnt 0x2
	v_pk_fma_f16 v5, v33, v92, v5
	v_pk_fma_f16 v1, v33, v136, v1
	;; [unrolled: 1-line block ×4, first 2 shown]
	v_lshrrev_b32_e32 v139, 16, v111
	v_and_b32_e32 v111, 0xffff, v111
	v_mul_u32_u24_e32 v110, 0x10001, v110
	v_mul_u32_u24_e32 v138, 0x10001, v138
	v_pk_fma_f16 v5, v35, v109, v5
	v_pk_fma_f16 v1, v35, v137, v1
	;; [unrolled: 1-line block ×4, first 2 shown]
	ds_load_2addr_b64 v[48:51], v229 offset0:64 offset1:96
	v_mul_u32_u24_e32 v83, 0x10001, v111
	v_mul_u32_u24_e32 v10, 0x10001, v139
	s_wait_dscnt 0x2
	v_pk_fma_f16 v5, v45, v110, v5
	v_pk_fma_f16 v1, v45, v138, v1
	;; [unrolled: 1-line block ×4, first 2 shown]
	v_lshrrev_b32_e32 v108, 16, v57
	v_and_b32_e32 v78, 0xffff, v57
	v_mul_u32_u24_e32 v8, 0x10001, v94
	v_mul_u32_u24_e32 v6, 0x10001, v121
	v_pk_fma_f16 v5, v47, v83, v5
	v_pk_fma_f16 v1, v47, v10, v1
	;; [unrolled: 1-line block ×4, first 2 shown]
	ds_load_2addr_b64 v[52:55], v229 offset0:128 offset1:160
	v_lshrrev_b32_e32 v79, 16, v58
	v_and_b32_e32 v122, 0xffff, v58
	v_mul_u32_u24_e32 v11, 0x10001, v78
	v_mul_u32_u24_e32 v72, 0x10001, v108
	s_wait_dscnt 0x2
	v_pk_fma_f16 v5, v37, v8, v5
	v_pk_fma_f16 v1, v37, v6, v1
	;; [unrolled: 1-line block ×4, first 2 shown]
	v_lshrrev_b32_e32 v123, 16, v59
	v_and_b32_e32 v128, 0xffff, v59
	v_mul_u32_u24_e32 v4, 0x10001, v122
	v_mul_u32_u24_e32 v2, 0x10001, v79
	v_pk_fma_f16 v5, v39, v11, v5
	v_pk_fma_f16 v1, v39, v72, v1
	;; [unrolled: 1-line block ×4, first 2 shown]
	ds_load_2addr_b64 v[64:67], v229 offset0:192 offset1:224
	ds_load_b128 v[68:71], v206 offset:480
	ds_load_b128 v[16:19], v206 offset:496
	v_mul_u32_u24_e32 v7, 0x10001, v128
	v_mul_u32_u24_e32 v9, 0x10001, v123
	s_wait_dscnt 0x4
	v_pk_fma_f16 v5, v49, v4, v5
	v_pk_fma_f16 v1, v49, v2, v1
	;; [unrolled: 1-line block ×4, first 2 shown]
	v_mul_u32_u24_e32 v40, 0x10001, v76
	v_mul_u32_u24_e32 v41, 0x10001, v130
	v_pk_fma_f16 v4, v51, v7, v5
	v_pk_fma_f16 v1, v51, v9, v1
	v_pk_fma_f16 v3, v50, v7, v3
	v_pk_fma_f16 v0, v50, v9, v0
	ds_load_2addr_b64 v[20:23], v230 offset1:32
	v_mul_u32_u24_e32 v24, 0x10001, v131
	v_mul_u32_u24_e32 v25, 0x10001, v93
	s_wait_dscnt 0x4
	v_pk_fma_f16 v4, v53, v40, v4
	v_pk_fma_f16 v1, v53, v41, v1
	;; [unrolled: 1-line block ×4, first 2 shown]
	v_mul_u32_u24_e32 v26, 0x10001, v142
	v_mul_u32_u24_e32 v27, 0x10001, v141
	v_pk_fma_f16 v4, v55, v24, v4
	v_pk_fma_f16 v1, v55, v25, v1
	;; [unrolled: 1-line block ×4, first 2 shown]
	ds_load_2addr_b64 v[56:59], v230 offset0:64 offset1:96
	s_wait_dscnt 0x3
	v_lshrrev_b32_e32 v77, 16, v68
	v_and_b32_e32 v68, 0xffff, v68
	v_mul_u32_u24_e32 v28, 0x10001, v144
	v_mul_u32_u24_e32 v29, 0x10001, v143
	v_pk_fma_f16 v4, v65, v26, v4
	v_pk_fma_f16 v1, v65, v27, v1
	;; [unrolled: 1-line block ×4, first 2 shown]
	v_lshrrev_b32_e32 v95, 16, v69
	v_and_b32_e32 v69, 0xffff, v69
	v_mul_u32_u24_e32 v30, 0x10001, v68
	v_mul_u32_u24_e32 v10, 0x10001, v77
	v_pk_fma_f16 v4, v67, v28, v4
	v_pk_fma_f16 v1, v67, v29, v1
	;; [unrolled: 1-line block ×4, first 2 shown]
	v_lshrrev_b32_e32 v116, 16, v70
	v_and_b32_e32 v70, 0xffff, v70
	ds_load_2addr_b64 v[60:63], v230 offset0:128 offset1:160
	v_mul_u32_u24_e32 v6, 0x10001, v69
	v_mul_u32_u24_e32 v8, 0x10001, v95
	s_wait_dscnt 0x2
	v_pk_fma_f16 v4, v21, v30, v4
	v_pk_fma_f16 v1, v21, v10, v1
	v_pk_fma_f16 v3, v20, v30, v3
	v_pk_fma_f16 v0, v20, v10, v0
	v_lshrrev_b32_e32 v117, 16, v71
	v_and_b32_e32 v71, 0xffff, v71
	v_mul_u32_u24_e32 v2, 0x10001, v70
	v_mul_u32_u24_e32 v5, 0x10001, v116
	v_pk_fma_f16 v4, v23, v6, v4
	v_pk_fma_f16 v1, v23, v8, v1
	v_pk_fma_f16 v3, v22, v6, v3
	v_pk_fma_f16 v0, v22, v8, v0
	v_lshrrev_b32_e32 v118, 16, v16
	v_and_b32_e32 v16, 0xffff, v16
	ds_load_2addr_b64 v[12:15], v230 offset0:192 offset1:224
	v_mul_u32_u24_e32 v7, 0x10001, v71
	v_mul_u32_u24_e32 v9, 0x10001, v117
	s_wait_dscnt 0x2
	v_pk_fma_f16 v4, v57, v2, v4
	v_pk_fma_f16 v1, v57, v5, v1
	;; [unrolled: 1-line block ×4, first 2 shown]
	s_wait_loadcnt_dscnt 0x0
	s_barrier_signal -1
	s_barrier_wait -1
	global_inv scope:SCOPE_SE
	s_load_b32 s2, s[50:51], 0x4
	v_lshrrev_b32_e32 v82, 16, v17
	v_and_b32_e32 v17, 0xffff, v17
	v_mul_u32_u24_e32 v11, 0x10001, v16
	v_mul_u32_u24_e32 v16, 0x10001, v118
	v_pk_fma_f16 v4, v59, v7, v4
	v_pk_fma_f16 v1, v59, v9, v1
	v_pk_fma_f16 v2, v58, v7, v2
	v_pk_fma_f16 v0, v58, v9, v0
	v_lshrrev_b32_e32 v129, 16, v18
	v_and_b32_e32 v18, 0xffff, v18
	v_mul_u32_u24_e32 v10, 0x10001, v17
	v_mul_u32_u24_e32 v6, 0x10001, v82
	v_pk_fma_f16 v4, v61, v11, v4
	v_pk_fma_f16 v1, v61, v16, v1
	v_pk_fma_f16 v2, v60, v11, v2
	v_pk_fma_f16 v0, v60, v16, v0
	;; [unrolled: 8-line block ×3, first 2 shown]
	v_mul_u32_u24_e32 v7, 0x10001, v19
	v_mul_u32_u24_e32 v6, 0x10001, v145
	v_pk_fma_f16 v4, v13, v3, v4
	v_pk_fma_f16 v1, v13, v5, v1
	v_pk_fma_f16 v2, v12, v3, v2
	v_pk_fma_f16 v0, v12, v5, v0
	s_wait_kmcnt 0x0
	s_lshl_b32 s2, s2, 7
	v_pk_fma_f16 v51, v15, v7, v4
	v_pk_fma_f16 v44, v15, v6, v1
	v_pk_fma_f16 v50, v14, v7, v2
	v_pk_fma_f16 v45, v14, v6, v0
	s_wait_alu 0xfffe
	s_add_co_i32 s26, s2, s26
	s_wait_alu 0xfffe
	s_cmp_ge_i32 s26, s40
	s_cbranch_scc0 .LBB9_9
; %bb.10:
	v_mov_b32_e32 v3, v188
.LBB9_11:
	v_cmp_lt_i32_e32 vcc_lo, v196, v189
	s_cmp_lg_u64 s[24:25], 0
	s_cselect_b32 s2, -1, 0
	s_cmp_eq_u32 s22, 0
	s_wait_alu 0xfffd
	v_cndmask_b32_e32 v0, v3, v196, vcc_lo
	v_cmp_lt_i32_e32 vcc_lo, v195, v189
	s_cselect_b32 s3, -1, 0
	s_wait_alu 0xfffe
	s_and_b32 s2, s3, s2
	s_wait_alu 0xfffd
	v_cndmask_b32_e32 v2, v3, v195, vcc_lo
	v_cmp_lt_i32_e32 vcc_lo, v193, v189
	s_wait_alu 0xfffd
	v_dual_cndmask_b32 v5, v3, v193 :: v_dual_lshlrev_b32 v0, 2, v0
	ds_bpermute_b32 v1, v0, v233
	ds_bpermute_b32 v0, v0, v140
	v_cmp_lt_i32_e32 vcc_lo, v192, v189
	v_lshlrev_b32_e32 v5, 2, v5
	s_wait_dscnt 0x1
	v_dual_add_f32 v1, v233, v1 :: v_dual_lshlrev_b32 v2, 2, v2
	s_wait_dscnt 0x0
	v_add_f32_e32 v0, v140, v0
	ds_bpermute_b32 v4, v2, v1
	s_wait_dscnt 0x0
	v_add_f32_e32 v1, v1, v4
	ds_bpermute_b32 v2, v2, v0
	;; [unrolled: 3-line block ×3, first 2 shown]
	ds_bpermute_b32 v4, v5, v0
	s_wait_alu 0xfffd
	v_cndmask_b32_e32 v5, v3, v192, vcc_lo
	v_cmp_lt_i32_e32 vcc_lo, v190, v189
	s_delay_alu instid0(VALU_DEP_2)
	v_lshlrev_b32_e32 v5, 2, v5
	s_wait_dscnt 0x0
	v_dual_add_f32 v1, v1, v2 :: v_dual_add_f32 v0, v0, v4
	ds_bpermute_b32 v2, v5, v1
	ds_bpermute_b32 v4, v5, v0
	s_wait_alu 0xfffd
	v_cndmask_b32_e32 v3, v3, v190, vcc_lo
	s_wait_alu 0xfffe
	s_and_b32 vcc_lo, exec_lo, s2
	s_wait_dscnt 0x0
	v_dual_add_f32 v1, v1, v2 :: v_dual_add_f32 v2, v0, v4
	v_lshlrev_b32_e32 v3, 2, v3
	ds_bpermute_b32 v0, v3, v1
	s_wait_dscnt 0x0
	v_add_f32_e32 v0, v1, v0
	ds_bpermute_b32 v3, v3, v2
	s_wait_dscnt 0x0
	v_add_f32_e32 v1, v2, v3
	s_wait_alu 0xfffe
	s_cbranch_vccz .LBB9_14
; %bb.12:
	v_add_nc_u32_e32 v2, s33, v185
	s_delay_alu instid0(VALU_DEP_1) | instskip(NEXT) | instid1(VALU_DEP_1)
	v_ashrrev_i32_e32 v3, 31, v2
	v_lshlrev_b64_e32 v[2:3], 2, v[2:3]
	s_delay_alu instid0(VALU_DEP_1) | instskip(SKIP_1) | instid1(VALU_DEP_2)
	v_add_co_u32 v2, vcc_lo, s24, v2
	s_wait_alu 0xfffd
	v_add_co_ci_u32_e64 v3, null, s25, v3, vcc_lo
	global_load_b64 v[2:3], v[2:3], off
	v_max_num_f32_e32 v4, v183, v183
	s_wait_loadcnt 0x0
	v_dual_max_num_f32 v6, v184, v184 :: v_dual_max_num_f32 v5, v2, v2
	s_delay_alu instid0(VALU_DEP_1) | instskip(NEXT) | instid1(VALU_DEP_1)
	v_dual_max_num_f32 v7, v3, v3 :: v_dual_max_num_f32 v4, v4, v5
	v_dual_max_num_f32 v5, v6, v7 :: v_dual_sub_f32 v6, v183, v4
	s_delay_alu instid0(VALU_DEP_1) | instskip(SKIP_2) | instid1(VALU_DEP_4)
	v_sub_f32_e32 v7, v184, v5
	v_dual_sub_f32 v3, v3, v5 :: v_dual_sub_f32 v2, v2, v4
	v_mov_b32_e32 v184, v5
	v_cmp_ngt_f32_e32 vcc_lo, 0xc2ce8ed0, v6
	s_delay_alu instid0(VALU_DEP_4) | instskip(NEXT) | instid1(VALU_DEP_4)
	v_mul_f32_e32 v10, 0x3fb8aa3b, v7
	v_mul_f32_e32 v11, 0x3fb8aa3b, v3
	;; [unrolled: 1-line block ×3, first 2 shown]
	v_mov_b32_e32 v183, v4
	s_delay_alu instid0(VALU_DEP_4) | instskip(SKIP_1) | instid1(VALU_DEP_4)
	v_fma_f32 v15, 0x3fb8aa3b, v7, -v10
	v_rndne_f32_e32 v16, v10
	v_rndne_f32_e32 v17, v9
	v_mul_f32_e32 v8, 0x3fb8aa3b, v6
	v_fma_f32 v14, 0x3fb8aa3b, v2, -v9
	v_fma_f32 v18, 0x3fb8aa3b, v3, -v11
	v_rndne_f32_e32 v19, v11
	v_sub_f32_e32 v9, v9, v17
	v_fma_f32 v12, 0x3fb8aa3b, v6, -v8
	v_rndne_f32_e32 v13, v8
	v_dual_fmac_f32 v15, 0x32a5705f, v7 :: v_dual_fmac_f32 v14, 0x32a5705f, v2
	v_sub_f32_e32 v10, v10, v16
	s_delay_alu instid0(VALU_DEP_4) | instskip(NEXT) | instid1(VALU_DEP_4)
	v_fmac_f32_e32 v12, 0x32a5705f, v6
	v_dual_sub_f32 v8, v8, v13 :: v_dual_sub_f32 v11, v11, v19
	s_delay_alu instid0(VALU_DEP_4) | instskip(NEXT) | instid1(VALU_DEP_4)
	v_dual_fmac_f32 v18, 0x32a5705f, v3 :: v_dual_add_f32 v9, v9, v14
	v_add_f32_e32 v10, v10, v15
	s_delay_alu instid0(VALU_DEP_3) | instskip(SKIP_1) | instid1(VALU_DEP_4)
	v_add_f32_e32 v8, v8, v12
	v_cvt_i32_f32_e32 v12, v13
	v_add_f32_e32 v11, v11, v18
	v_cvt_i32_f32_e32 v13, v16
	v_exp_f32_e32 v10, v10
	v_exp_f32_e32 v8, v8
	;; [unrolled: 1-line block ×3, first 2 shown]
	v_cvt_i32_f32_e32 v14, v17
	v_exp_f32_e32 v11, v11
	v_ldexp_f32 v10, v10, v13
	s_delay_alu instid0(TRANS32_DEP_3) | instskip(SKIP_1) | instid1(TRANS32_DEP_2)
	v_ldexp_f32 v8, v8, v12
	v_cvt_i32_f32_e32 v12, v19
	v_ldexp_f32 v9, v9, v14
	s_wait_alu 0xfffd
	s_delay_alu instid0(VALU_DEP_3)
	v_cndmask_b32_e32 v8, 0, v8, vcc_lo
	v_cmp_ngt_f32_e32 vcc_lo, 0xc2ce8ed0, v7
	s_wait_alu 0xfffd
	v_cndmask_b32_e32 v10, 0, v10, vcc_lo
	v_cmp_nlt_f32_e32 vcc_lo, 0x42b17218, v6
	s_wait_alu 0xfffd
	v_cndmask_b32_e32 v6, 0x7f800000, v8, vcc_lo
	v_cmp_nlt_f32_e32 vcc_lo, 0x42b17218, v7
	v_ldexp_f32 v8, v11, v12
	s_wait_alu 0xfffd
	v_cndmask_b32_e32 v7, 0x7f800000, v10, vcc_lo
	v_cmp_ngt_f32_e32 vcc_lo, 0xc2ce8ed0, v2
	s_wait_alu 0xfffd
	v_cndmask_b32_e32 v9, 0, v9, vcc_lo
	v_cmp_ngt_f32_e32 vcc_lo, 0xc2ce8ed0, v3
	s_wait_alu 0xfffd
	v_cndmask_b32_e32 v8, 0, v8, vcc_lo
	v_cmp_nlt_f32_e32 vcc_lo, 0x42b17218, v2
	s_wait_alu 0xfffd
	v_cndmask_b32_e32 v2, 0x7f800000, v9, vcc_lo
	v_cmp_nlt_f32_e32 vcc_lo, 0x42b17218, v3
	s_wait_alu 0xfffd
	v_cndmask_b32_e32 v3, 0x7f800000, v8, vcc_lo
	s_delay_alu instid0(VALU_DEP_1) | instskip(NEXT) | instid1(VALU_DEP_1)
	v_fmac_f32_e32 v3, v1, v7
	v_dual_mov_b32 v1, v3 :: v_dual_fmac_f32 v2, v0, v6
	v_cvt_f16_f32_e32 v10, v6
	s_delay_alu instid0(VALU_DEP_2) | instskip(SKIP_1) | instid1(VALU_DEP_3)
	v_mov_b32_e32 v0, v2
	v_cvt_f16_f32_e32 v11, v7
	v_and_b32_e32 v9, 0xffff, v10
	s_delay_alu instid0(VALU_DEP_2) | instskip(NEXT) | instid1(VALU_DEP_2)
	v_and_b32_e32 v10, 0xffff, v11
	v_mul_u32_u24_e32 v6, 0x10001, v9
	s_delay_alu instid0(VALU_DEP_2) | instskip(NEXT) | instid1(VALU_DEP_2)
	v_mul_u32_u24_e32 v4, 0x10001, v10
	v_pk_mul_f16 v50, v50, v6
	v_pk_mul_f16 v51, v51, v6
	s_delay_alu instid0(VALU_DEP_3)
	v_pk_mul_f16 v45, v45, v4
	v_pk_mul_f16 v44, v44, v4
	s_mov_b32 s2, exec_lo
	v_cmpx_gt_i32_e64 s38, v148
	s_cbranch_execnz .LBB9_15
.LBB9_13:
	s_nop 0
	s_sendmsg sendmsg(MSG_DEALLOC_VGPRS)
	s_endpgm
.LBB9_14:
	s_delay_alu instid0(VALU_DEP_1)
	v_dual_mov_b32 v3, v1 :: v_dual_mov_b32 v2, v0
	s_mov_b32 s2, exec_lo
	v_cmpx_gt_i32_e64 s38, v148
	s_cbranch_execz .LBB9_13
.LBB9_15:
	s_load_b32 s1, s[0:1], 0xd4
	v_mov_b32_e32 v6, 1.0
	s_wait_kmcnt 0x0
	s_cmp_lg_u32 s1, 1
	s_cselect_b32 s3, -1, 0
	s_cmp_eq_u32 s1, 1
	s_cselect_b32 s2, -1, 0
	s_wait_alu 0xfffe
	s_and_b32 vcc_lo, exec_lo, s3
	s_wait_alu 0xfffe
	s_cbranch_vccnz .LBB9_17
; %bb.16:
	v_div_scale_f32 v4, null, v0, v0, 1.0
	s_delay_alu instid0(VALU_DEP_1) | instskip(NEXT) | instid1(TRANS32_DEP_1)
	v_rcp_f32_e32 v5, v4
	v_fma_f32 v6, -v4, v5, 1.0
	s_delay_alu instid0(VALU_DEP_1) | instskip(SKIP_1) | instid1(VALU_DEP_1)
	v_fmac_f32_e32 v5, v6, v5
	v_div_scale_f32 v6, vcc_lo, 1.0, v0, 1.0
	v_mul_f32_e32 v7, v6, v5
	s_delay_alu instid0(VALU_DEP_1) | instskip(NEXT) | instid1(VALU_DEP_1)
	v_fma_f32 v8, -v4, v7, v6
	v_fmac_f32_e32 v7, v8, v5
	s_delay_alu instid0(VALU_DEP_1) | instskip(SKIP_1) | instid1(VALU_DEP_1)
	v_fma_f32 v4, -v4, v7, v6
	s_wait_alu 0xfffd
	v_div_fmas_f32 v4, v4, v5, v7
	s_delay_alu instid0(VALU_DEP_1)
	v_div_fixup_f32 v6, v4, v0, 1.0
.LBB9_17:
	v_mad_co_u64_u32 v[4:5], null, s34, s38, v[148:149]
	v_cvt_f32_f16_e32 v9, v50
	v_mov_b32_e32 v8, 0
	v_cvt_f32_f16_e32 v10, v51
	v_cmp_eq_u32_e32 vcc_lo, 0, v149
	v_mul_lo_u32 v0, v4, s39
	s_delay_alu instid0(VALU_DEP_1) | instskip(NEXT) | instid1(VALU_DEP_1)
	v_add3_u32 v0, s33, v185, v0
	v_mad_co_u64_u32 v[4:5], null, s1, v0, s[22:23]
	v_lshrrev_b32_e32 v5, 16, v51
	v_lshrrev_b32_e32 v0, 16, v50
	s_delay_alu instid0(VALU_DEP_2) | instskip(NEXT) | instid1(VALU_DEP_4)
	v_cvt_f32_f16_e32 v5, v5
	v_lshl_add_u32 v7, v4, 7, v186
	s_delay_alu instid0(VALU_DEP_3) | instskip(NEXT) | instid1(VALU_DEP_2)
	v_cvt_f32_f16_e32 v0, v0
	v_lshlrev_b64_e32 v[11:12], 2, v[7:8]
	v_mul_f32_e32 v7, v6, v9
	v_mul_f32_e32 v9, v6, v10
	;; [unrolled: 1-line block ×4, first 2 shown]
	v_add_co_u32 v5, s0, s28, v11
	s_wait_alu 0xf1ff
	v_add_co_ci_u32_e64 v6, null, s29, v12, s0
	s_and_b32 s0, vcc_lo, s3
	global_store_b128 v[5:6], v[7:10], off
	s_wait_alu 0xfffe
	s_and_saveexec_b32 s3, s0
	s_cbranch_execz .LBB9_19
; %bb.18:
	v_ashrrev_i32_e32 v5, 31, v4
	v_dual_mov_b32 v7, v183 :: v_dual_mov_b32 v8, v2
	s_delay_alu instid0(VALU_DEP_2) | instskip(NEXT) | instid1(VALU_DEP_1)
	v_lshlrev_b64_e32 v[5:6], 3, v[4:5]
	v_add_co_u32 v5, vcc_lo, s30, v5
	s_wait_alu 0xfffd
	s_delay_alu instid0(VALU_DEP_2)
	v_add_co_ci_u32_e64 v6, null, s31, v6, vcc_lo
	global_store_b64 v[5:6], v[7:8], off
.LBB9_19:
	s_wait_alu 0xfffe
	s_or_b32 exec_lo, exec_lo, s3
	v_mov_b32_e32 v2, 1.0
	s_and_not1_b32 vcc_lo, exec_lo, s2
	s_wait_alu 0xfffe
	s_cbranch_vccnz .LBB9_21
; %bb.20:
	v_div_scale_f32 v0, null, v1, v1, 1.0
	s_delay_alu instid0(VALU_DEP_1) | instskip(NEXT) | instid1(TRANS32_DEP_1)
	v_rcp_f32_e32 v2, v0
	v_fma_f32 v5, -v0, v2, 1.0
	s_delay_alu instid0(VALU_DEP_1) | instskip(SKIP_1) | instid1(VALU_DEP_1)
	v_fmac_f32_e32 v2, v5, v2
	v_div_scale_f32 v5, vcc_lo, 1.0, v1, 1.0
	v_mul_f32_e32 v6, v5, v2
	s_delay_alu instid0(VALU_DEP_1) | instskip(NEXT) | instid1(VALU_DEP_1)
	v_fma_f32 v7, -v0, v6, v5
	v_fmac_f32_e32 v6, v7, v2
	s_delay_alu instid0(VALU_DEP_1) | instskip(SKIP_1) | instid1(VALU_DEP_1)
	v_fma_f32 v0, -v0, v6, v5
	s_wait_alu 0xfffd
	v_div_fmas_f32 v0, v0, v2, v6
	s_delay_alu instid0(VALU_DEP_1)
	v_div_fixup_f32 v2, v0, v1, 1.0
.LBB9_21:
	v_dual_mov_b32 v5, 0 :: v_dual_add_nc_u32 v0, s1, v4
	v_lshrrev_b32_e32 v1, 16, v45
	v_lshrrev_b32_e32 v6, 16, v44
	v_cvt_f32_f16_e32 v7, v45
	s_delay_alu instid0(VALU_DEP_4) | instskip(SKIP_3) | instid1(VALU_DEP_4)
	v_lshl_add_u32 v4, v0, 7, v186
	v_cvt_f32_f16_e32 v10, v44
	v_cvt_f32_f16_e32 v1, v1
	;; [unrolled: 1-line block ×3, first 2 shown]
	v_lshlrev_b64_e32 v[8:9], 2, v[4:5]
	v_mul_f32_e32 v4, v2, v7
	s_delay_alu instid0(VALU_DEP_4)
	v_mul_f32_e32 v5, v2, v1
	v_mul_f32_e32 v6, v2, v10
	;; [unrolled: 1-line block ×3, first 2 shown]
	v_add_co_u32 v1, vcc_lo, s28, v8
	s_wait_alu 0xfffd
	v_add_co_ci_u32_e64 v2, null, s29, v9, vcc_lo
	global_store_b128 v[1:2], v[4:7], off
	s_and_b32 exec_lo, exec_lo, s0
	s_cbranch_execz .LBB9_13
; %bb.22:
	v_ashrrev_i32_e32 v1, 31, v0
	v_mov_b32_e32 v2, v184
	s_delay_alu instid0(VALU_DEP_2) | instskip(NEXT) | instid1(VALU_DEP_1)
	v_lshlrev_b64_e32 v[0:1], 3, v[0:1]
	v_add_co_u32 v0, vcc_lo, s30, v0
	s_wait_alu 0xfffd
	s_delay_alu instid0(VALU_DEP_2)
	v_add_co_ci_u32_e64 v1, null, s31, v1, vcc_lo
	global_store_b64 v[0:1], v[2:3], off
	s_nop 0
	s_sendmsg sendmsg(MSG_DEALLOC_VGPRS)
	s_endpgm
	.section	.rodata,"a",@progbits
	.p2align	6, 0x0
	.amdhsa_kernel _ZL15flash_attn_tileILi128ELi128ELi2ELi8ELb0EEvPKcS1_S1_S1_S1_PKiPfP15HIP_vector_typeIfLj2EEffffjfiS5_IjLj3EEiiiiiiiiiiiliiliiiiil
		.amdhsa_group_segment_fixed_size 43008
		.amdhsa_private_segment_fixed_size 0
		.amdhsa_kernarg_size 464
		.amdhsa_user_sgpr_count 2
		.amdhsa_user_sgpr_dispatch_ptr 0
		.amdhsa_user_sgpr_queue_ptr 0
		.amdhsa_user_sgpr_kernarg_segment_ptr 1
		.amdhsa_user_sgpr_dispatch_id 0
		.amdhsa_user_sgpr_private_segment_size 0
		.amdhsa_wavefront_size32 1
		.amdhsa_uses_dynamic_stack 0
		.amdhsa_enable_private_segment 0
		.amdhsa_system_sgpr_workgroup_id_x 1
		.amdhsa_system_sgpr_workgroup_id_y 1
		.amdhsa_system_sgpr_workgroup_id_z 1
		.amdhsa_system_sgpr_workgroup_info 0
		.amdhsa_system_vgpr_workitem_id 1
		.amdhsa_next_free_vgpr 245
		.amdhsa_next_free_sgpr 52
		.amdhsa_reserve_vcc 1
		.amdhsa_float_round_mode_32 0
		.amdhsa_float_round_mode_16_64 0
		.amdhsa_float_denorm_mode_32 3
		.amdhsa_float_denorm_mode_16_64 3
		.amdhsa_fp16_overflow 0
		.amdhsa_workgroup_processor_mode 1
		.amdhsa_memory_ordered 1
		.amdhsa_forward_progress 1
		.amdhsa_inst_pref_size 130
		.amdhsa_round_robin_scheduling 0
		.amdhsa_exception_fp_ieee_invalid_op 0
		.amdhsa_exception_fp_denorm_src 0
		.amdhsa_exception_fp_ieee_div_zero 0
		.amdhsa_exception_fp_ieee_overflow 0
		.amdhsa_exception_fp_ieee_underflow 0
		.amdhsa_exception_fp_ieee_inexact 0
		.amdhsa_exception_int_div_zero 0
	.end_amdhsa_kernel
	.section	.text._ZL15flash_attn_tileILi128ELi128ELi2ELi8ELb0EEvPKcS1_S1_S1_S1_PKiPfP15HIP_vector_typeIfLj2EEffffjfiS5_IjLj3EEiiiiiiiiiiiliiliiiiil,"axG",@progbits,_ZL15flash_attn_tileILi128ELi128ELi2ELi8ELb0EEvPKcS1_S1_S1_S1_PKiPfP15HIP_vector_typeIfLj2EEffffjfiS5_IjLj3EEiiiiiiiiiiiliiliiiiil,comdat
.Lfunc_end9:
	.size	_ZL15flash_attn_tileILi128ELi128ELi2ELi8ELb0EEvPKcS1_S1_S1_S1_PKiPfP15HIP_vector_typeIfLj2EEffffjfiS5_IjLj3EEiiiiiiiiiiiliiliiiiil, .Lfunc_end9-_ZL15flash_attn_tileILi128ELi128ELi2ELi8ELb0EEvPKcS1_S1_S1_S1_PKiPfP15HIP_vector_typeIfLj2EEffffjfiS5_IjLj3EEiiiiiiiiiiiliiliiiiil
                                        ; -- End function
	.set _ZL15flash_attn_tileILi128ELi128ELi2ELi8ELb0EEvPKcS1_S1_S1_S1_PKiPfP15HIP_vector_typeIfLj2EEffffjfiS5_IjLj3EEiiiiiiiiiiiliiliiiiil.num_vgpr, 245
	.set _ZL15flash_attn_tileILi128ELi128ELi2ELi8ELb0EEvPKcS1_S1_S1_S1_PKiPfP15HIP_vector_typeIfLj2EEffffjfiS5_IjLj3EEiiiiiiiiiiiliiliiiiil.num_agpr, 0
	.set _ZL15flash_attn_tileILi128ELi128ELi2ELi8ELb0EEvPKcS1_S1_S1_S1_PKiPfP15HIP_vector_typeIfLj2EEffffjfiS5_IjLj3EEiiiiiiiiiiiliiliiiiil.numbered_sgpr, 52
	.set _ZL15flash_attn_tileILi128ELi128ELi2ELi8ELb0EEvPKcS1_S1_S1_S1_PKiPfP15HIP_vector_typeIfLj2EEffffjfiS5_IjLj3EEiiiiiiiiiiiliiliiiiil.num_named_barrier, 0
	.set _ZL15flash_attn_tileILi128ELi128ELi2ELi8ELb0EEvPKcS1_S1_S1_S1_PKiPfP15HIP_vector_typeIfLj2EEffffjfiS5_IjLj3EEiiiiiiiiiiiliiliiiiil.private_seg_size, 0
	.set _ZL15flash_attn_tileILi128ELi128ELi2ELi8ELb0EEvPKcS1_S1_S1_S1_PKiPfP15HIP_vector_typeIfLj2EEffffjfiS5_IjLj3EEiiiiiiiiiiiliiliiiiil.uses_vcc, 1
	.set _ZL15flash_attn_tileILi128ELi128ELi2ELi8ELb0EEvPKcS1_S1_S1_S1_PKiPfP15HIP_vector_typeIfLj2EEffffjfiS5_IjLj3EEiiiiiiiiiiiliiliiiiil.uses_flat_scratch, 0
	.set _ZL15flash_attn_tileILi128ELi128ELi2ELi8ELb0EEvPKcS1_S1_S1_S1_PKiPfP15HIP_vector_typeIfLj2EEffffjfiS5_IjLj3EEiiiiiiiiiiiliiliiiiil.has_dyn_sized_stack, 0
	.set _ZL15flash_attn_tileILi128ELi128ELi2ELi8ELb0EEvPKcS1_S1_S1_S1_PKiPfP15HIP_vector_typeIfLj2EEffffjfiS5_IjLj3EEiiiiiiiiiiiliiliiiiil.has_recursion, 0
	.set _ZL15flash_attn_tileILi128ELi128ELi2ELi8ELb0EEvPKcS1_S1_S1_S1_PKiPfP15HIP_vector_typeIfLj2EEffffjfiS5_IjLj3EEiiiiiiiiiiiliiliiiiil.has_indirect_call, 0
	.section	.AMDGPU.csdata,"",@progbits
; Kernel info:
; codeLenInByte = 16520
; TotalNumSgprs: 54
; NumVgprs: 245
; ScratchSize: 0
; MemoryBound: 0
; FloatMode: 240
; IeeeMode: 1
; LDSByteSize: 43008 bytes/workgroup (compile time only)
; SGPRBlocks: 0
; VGPRBlocks: 30
; NumSGPRsForWavesPerEU: 54
; NumVGPRsForWavesPerEU: 245
; Occupancy: 5
; WaveLimiterHint : 1
; COMPUTE_PGM_RSRC2:SCRATCH_EN: 0
; COMPUTE_PGM_RSRC2:USER_SGPR: 2
; COMPUTE_PGM_RSRC2:TRAP_HANDLER: 0
; COMPUTE_PGM_RSRC2:TGID_X_EN: 1
; COMPUTE_PGM_RSRC2:TGID_Y_EN: 1
; COMPUTE_PGM_RSRC2:TGID_Z_EN: 1
; COMPUTE_PGM_RSRC2:TIDIG_COMP_CNT: 1
	.section	.text._ZL25flash_attn_mask_to_KV_maxILi2EEvPK7__half2Piiii,"axG",@progbits,_ZL25flash_attn_mask_to_KV_maxILi2EEvPK7__half2Piiii,comdat
	.globl	_ZL25flash_attn_mask_to_KV_maxILi2EEvPK7__half2Piiii ; -- Begin function _ZL25flash_attn_mask_to_KV_maxILi2EEvPK7__half2Piiii
	.p2align	8
	.type	_ZL25flash_attn_mask_to_KV_maxILi2EEvPK7__half2Piiii,@function
_ZL25flash_attn_mask_to_KV_maxILi2EEvPK7__half2Piiii: ; @_ZL25flash_attn_mask_to_KV_maxILi2EEvPK7__half2Piiii
; %bb.0:
	s_load_b64 s[8:9], s[0:1], 0x0
	s_mov_b32 s2, exec_lo
	v_cmpx_gt_u32_e32 32, v0
; %bb.1:
	v_dual_mov_b32 v2, 1 :: v_dual_lshlrev_b32 v1, 2, v0
	ds_store_b32 v1, v2
; %bb.2:
	s_or_b32 exec_lo, exec_lo, s2
	s_clause 0x2
	s_load_b96 s[4:6], s[0:1], 0x10
	s_load_b64 s[2:3], s[0:1], 0x8
	s_load_b32 s1, s[0:1], 0x20
	v_dual_mov_b32 v2, 0 :: v_dual_and_b32 v1, 31, v0
	v_lshrrev_b32_e32 v3, 3, v0
	s_wait_dscnt 0x0
	s_barrier_signal -1
	s_delay_alu instid0(VALU_DEP_2)
	v_lshlrev_b32_e32 v4, 2, v1
	s_barrier_wait -1
	global_inv scope:SCOPE_SE
	s_wait_kmcnt 0x0
	s_mul_i32 s0, ttmp9, s5
	s_mul_i32 s6, s6, ttmp7
	s_lshl_b32 s0, s0, 1
	s_delay_alu instid0(SALU_CYCLE_1) | instskip(SKIP_2) | instid1(SALU_CYCLE_1)
	s_add_co_i32 s6, s6, s0
	v_cmp_eq_u32_e64 s0, 0, v1
	s_ashr_i32 s7, s6, 31
	s_lshl_b64 s[6:7], s[6:7], 2
	s_delay_alu instid0(SALU_CYCLE_1)
	s_add_nc_u64 s[6:7], s[8:9], s[6:7]
	s_lshl_b32 s8, s4, 8
	s_branch .LBB10_4
.LBB10_3:                               ;   in Loop: Header=BB10_4 Depth=1
	s_wait_alu 0xfffe
	s_or_b32 exec_lo, exec_lo, s9
	s_wait_dscnt 0x0
	s_barrier_signal -1
	s_barrier_wait -1
	global_inv scope:SCOPE_SE
	ds_load_b32 v1, v4
	s_wait_loadcnt_dscnt 0x0
	s_barrier_signal -1
	s_barrier_wait -1
	global_inv scope:SCOPE_SE
	v_cmp_ne_u32_e32 vcc_lo, 0, v1
	s_cmp_lg_u32 vcc_lo, exec_lo
	s_cselect_b32 s9, -1, 0
	s_wait_alu 0xfffe
	s_and_b32 vcc_lo, exec_lo, s9
	s_wait_alu 0xfffe
	s_cbranch_vccnz .LBB10_12
.LBB10_4:                               ; =>This Inner Loop Header: Depth=1
	s_mov_b32 s4, s8
	s_addk_co_i32 s8, 0xff00
	s_wait_alu 0xfffe
	s_cmp_lt_i32 s8, 0
	s_cbranch_scc1 .LBB10_11
; %bb.5:                                ;   in Loop: Header=BB10_4 Depth=1
	s_lshr_b32 s9, s8, 1
	s_wait_alu 0xfffe
	v_add_nc_u32_e32 v1, s9, v0
	s_delay_alu instid0(VALU_DEP_1) | instskip(NEXT) | instid1(VALU_DEP_1)
	v_lshlrev_b64_e32 v[5:6], 2, v[1:2]
	v_add_co_u32 v5, vcc_lo, s6, v5
	s_wait_alu 0xfffd
	s_delay_alu instid0(VALU_DEP_2) | instskip(SKIP_4) | instid1(VALU_DEP_2)
	v_add_co_ci_u32_e64 v6, null, s7, v6, vcc_lo
	global_load_b32 v5, v[5:6], off
	s_wait_loadcnt 0x0
	v_lshrrev_b32_e32 v6, 16, v5
	v_cmp_class_f16_e64 s9, v5, 0x204
	v_cmp_class_f16_e64 s10, v6, 0x204
	s_and_b32 s11, s9, s10
	s_mov_b32 s10, 0
	s_wait_alu 0xfffe
	s_and_saveexec_b32 s9, s11
	s_cbranch_execz .LBB10_9
; %bb.6:                                ;   in Loop: Header=BB10_4 Depth=1
	v_add_nc_u32_e32 v5, s5, v1
	s_delay_alu instid0(VALU_DEP_1) | instskip(NEXT) | instid1(VALU_DEP_1)
	v_ashrrev_i32_e32 v6, 31, v5
	v_lshlrev_b64_e32 v[5:6], 2, v[5:6]
	s_delay_alu instid0(VALU_DEP_1) | instskip(SKIP_1) | instid1(VALU_DEP_2)
	v_add_co_u32 v5, vcc_lo, s6, v5
	s_wait_alu 0xfffd
	v_add_co_ci_u32_e64 v6, null, s7, v6, vcc_lo
	global_load_b32 v1, v[5:6], off
	s_wait_loadcnt 0x0
	v_cmp_class_f16_e64 s12, v1, 0x204
	s_and_saveexec_b32 s11, s12
; %bb.7:                                ;   in Loop: Header=BB10_4 Depth=1
	v_lshrrev_b32_e32 v1, 16, v1
	s_delay_alu instid0(VALU_DEP_1)
	v_cmp_class_f16_e64 s10, v1, 0x204
	s_and_b32 s10, s10, exec_lo
; %bb.8:                                ;   in Loop: Header=BB10_4 Depth=1
	s_wait_alu 0xfffe
	s_or_b32 exec_lo, exec_lo, s11
	s_delay_alu instid0(SALU_CYCLE_1)
	s_and_b32 s10, s10, exec_lo
.LBB10_9:                               ;   in Loop: Header=BB10_4 Depth=1
	s_wait_alu 0xfffe
	s_or_b32 exec_lo, exec_lo, s9
	v_cndmask_b32_e64 v1, 0, 1, s10
	s_mov_b32 s11, exec_lo
	s_delay_alu instid0(VALU_DEP_1)
	v_cmp_ne_u32_e32 vcc_lo, 0, v1
	s_and_saveexec_b32 s9, s0
	s_cbranch_execz .LBB10_3
; %bb.10:                               ;   in Loop: Header=BB10_4 Depth=1
	s_wait_alu 0xfffe
	s_cmp_eq_u32 vcc_lo, s11
	s_cselect_b32 s10, -1, 0
	s_wait_alu 0xfffe
	v_cndmask_b32_e64 v1, 0, 1, s10
	ds_store_b32 v3, v1
	s_branch .LBB10_3
.LBB10_11:                              ;   in Loop: Header=BB10_4 Depth=1
	s_cbranch_execz .LBB10_4
.LBB10_12:
	s_mov_b32 s0, exec_lo
	v_cmpx_eq_u32_e32 0, v0
	s_cbranch_execz .LBB10_14
; %bb.13:
	s_mul_i32 s0, s1, ttmp7
	v_dual_mov_b32 v0, 0 :: v_dual_mov_b32 v1, s4
	s_add_co_i32 s0, s0, ttmp9
	s_delay_alu instid0(SALU_CYCLE_1) | instskip(NEXT) | instid1(SALU_CYCLE_1)
	s_ashr_i32 s1, s0, 31
	s_lshl_b64 s[0:1], s[0:1], 2
	s_delay_alu instid0(SALU_CYCLE_1)
	s_add_nc_u64 s[0:1], s[2:3], s[0:1]
	global_store_b32 v0, v1, s[0:1]
.LBB10_14:
	s_endpgm
	.section	.rodata,"a",@progbits
	.p2align	6, 0x0
	.amdhsa_kernel _ZL25flash_attn_mask_to_KV_maxILi2EEvPK7__half2Piiii
		.amdhsa_group_segment_fixed_size 128
		.amdhsa_private_segment_fixed_size 0
		.amdhsa_kernarg_size 288
		.amdhsa_user_sgpr_count 2
		.amdhsa_user_sgpr_dispatch_ptr 0
		.amdhsa_user_sgpr_queue_ptr 0
		.amdhsa_user_sgpr_kernarg_segment_ptr 1
		.amdhsa_user_sgpr_dispatch_id 0
		.amdhsa_user_sgpr_private_segment_size 0
		.amdhsa_wavefront_size32 1
		.amdhsa_uses_dynamic_stack 0
		.amdhsa_enable_private_segment 0
		.amdhsa_system_sgpr_workgroup_id_x 1
		.amdhsa_system_sgpr_workgroup_id_y 1
		.amdhsa_system_sgpr_workgroup_id_z 0
		.amdhsa_system_sgpr_workgroup_info 0
		.amdhsa_system_vgpr_workitem_id 0
		.amdhsa_next_free_vgpr 7
		.amdhsa_next_free_sgpr 13
		.amdhsa_reserve_vcc 1
		.amdhsa_float_round_mode_32 0
		.amdhsa_float_round_mode_16_64 0
		.amdhsa_float_denorm_mode_32 3
		.amdhsa_float_denorm_mode_16_64 3
		.amdhsa_fp16_overflow 0
		.amdhsa_workgroup_processor_mode 1
		.amdhsa_memory_ordered 1
		.amdhsa_forward_progress 1
		.amdhsa_inst_pref_size 5
		.amdhsa_round_robin_scheduling 0
		.amdhsa_exception_fp_ieee_invalid_op 0
		.amdhsa_exception_fp_denorm_src 0
		.amdhsa_exception_fp_ieee_div_zero 0
		.amdhsa_exception_fp_ieee_overflow 0
		.amdhsa_exception_fp_ieee_underflow 0
		.amdhsa_exception_fp_ieee_inexact 0
		.amdhsa_exception_int_div_zero 0
	.end_amdhsa_kernel
	.section	.text._ZL25flash_attn_mask_to_KV_maxILi2EEvPK7__half2Piiii,"axG",@progbits,_ZL25flash_attn_mask_to_KV_maxILi2EEvPK7__half2Piiii,comdat
.Lfunc_end10:
	.size	_ZL25flash_attn_mask_to_KV_maxILi2EEvPK7__half2Piiii, .Lfunc_end10-_ZL25flash_attn_mask_to_KV_maxILi2EEvPK7__half2Piiii
                                        ; -- End function
	.set _ZL25flash_attn_mask_to_KV_maxILi2EEvPK7__half2Piiii.num_vgpr, 7
	.set _ZL25flash_attn_mask_to_KV_maxILi2EEvPK7__half2Piiii.num_agpr, 0
	.set _ZL25flash_attn_mask_to_KV_maxILi2EEvPK7__half2Piiii.numbered_sgpr, 13
	.set _ZL25flash_attn_mask_to_KV_maxILi2EEvPK7__half2Piiii.num_named_barrier, 0
	.set _ZL25flash_attn_mask_to_KV_maxILi2EEvPK7__half2Piiii.private_seg_size, 0
	.set _ZL25flash_attn_mask_to_KV_maxILi2EEvPK7__half2Piiii.uses_vcc, 1
	.set _ZL25flash_attn_mask_to_KV_maxILi2EEvPK7__half2Piiii.uses_flat_scratch, 0
	.set _ZL25flash_attn_mask_to_KV_maxILi2EEvPK7__half2Piiii.has_dyn_sized_stack, 0
	.set _ZL25flash_attn_mask_to_KV_maxILi2EEvPK7__half2Piiii.has_recursion, 0
	.set _ZL25flash_attn_mask_to_KV_maxILi2EEvPK7__half2Piiii.has_indirect_call, 0
	.section	.AMDGPU.csdata,"",@progbits
; Kernel info:
; codeLenInByte = 636
; TotalNumSgprs: 15
; NumVgprs: 7
; ScratchSize: 0
; MemoryBound: 0
; FloatMode: 240
; IeeeMode: 1
; LDSByteSize: 128 bytes/workgroup (compile time only)
; SGPRBlocks: 0
; VGPRBlocks: 0
; NumSGPRsForWavesPerEU: 15
; NumVGPRsForWavesPerEU: 7
; Occupancy: 16
; WaveLimiterHint : 0
; COMPUTE_PGM_RSRC2:SCRATCH_EN: 0
; COMPUTE_PGM_RSRC2:USER_SGPR: 2
; COMPUTE_PGM_RSRC2:TRAP_HANDLER: 0
; COMPUTE_PGM_RSRC2:TGID_X_EN: 1
; COMPUTE_PGM_RSRC2:TGID_Y_EN: 1
; COMPUTE_PGM_RSRC2:TGID_Z_EN: 0
; COMPUTE_PGM_RSRC2:TIDIG_COMP_CNT: 0
	.section	.text._ZL33flash_attn_stream_k_fixup_uniformILi128ELi2ELi8EEvPfPK15HIP_vector_typeIfLj2EEiiiiiiS1_IjLj3EES5_S5_,"axG",@progbits,_ZL33flash_attn_stream_k_fixup_uniformILi128ELi2ELi8EEvPfPK15HIP_vector_typeIfLj2EEiiiiiiS1_IjLj3EES5_S5_,comdat
	.globl	_ZL33flash_attn_stream_k_fixup_uniformILi128ELi2ELi8EEvPfPK15HIP_vector_typeIfLj2EEiiiiiiS1_IjLj3EES5_S5_ ; -- Begin function _ZL33flash_attn_stream_k_fixup_uniformILi128ELi2ELi8EEvPfPK15HIP_vector_typeIfLj2EEiiiiiiS1_IjLj3EES5_S5_
	.p2align	8
	.type	_ZL33flash_attn_stream_k_fixup_uniformILi128ELi2ELi8EEvPfPK15HIP_vector_typeIfLj2EEiiiiiiS1_IjLj3EES5_S5_,@function
_ZL33flash_attn_stream_k_fixup_uniformILi128ELi2ELi8EEvPfPK15HIP_vector_typeIfLj2EEiiiiiiS1_IjLj3EES5_S5_: ; @_ZL33flash_attn_stream_k_fixup_uniformILi128ELi2ELi8EEvPfPK15HIP_vector_typeIfLj2EEiiiiiiS1_IjLj3EES5_S5_
; %bb.0:
	s_clause 0x1
	s_load_b256 s[4:11], s[0:1], 0x1c
	s_load_b128 s[12:15], s[0:1], 0x3c
	s_wait_kmcnt 0x0
	s_mul_hi_u32 s2, s7, ttmp9
	s_delay_alu instid0(SALU_CYCLE_1) | instskip(NEXT) | instid1(SALU_CYCLE_1)
	s_add_co_i32 s2, ttmp9, s2
	s_lshr_b32 s2, s2, s8
	s_delay_alu instid0(SALU_CYCLE_1) | instskip(SKIP_2) | instid1(SALU_CYCLE_1)
	s_mul_i32 s3, s2, s9
	s_load_b64 s[8:9], s[0:1], 0x10
	s_sub_co_i32 s7, ttmp9, s3
	s_mul_hi_u32 s3, s7, s10
	s_delay_alu instid0(SALU_CYCLE_1) | instskip(NEXT) | instid1(SALU_CYCLE_1)
	s_add_co_i32 s3, s7, s3
	s_lshr_b32 s3, s3, s11
	s_delay_alu instid0(SALU_CYCLE_1) | instskip(NEXT) | instid1(SALU_CYCLE_1)
	s_mul_i32 s10, s3, s12
	s_sub_co_i32 s7, s7, s10
	s_delay_alu instid0(SALU_CYCLE_1) | instskip(NEXT) | instid1(SALU_CYCLE_1)
	s_mul_hi_u32 s10, s7, s13
	s_add_co_i32 s10, s7, s10
	s_delay_alu instid0(SALU_CYCLE_1) | instskip(NEXT) | instid1(SALU_CYCLE_1)
	s_lshr_b32 s12, s10, s14
	s_mul_i32 s10, s12, s15
	s_lshl_b32 s12, s12, 3
	s_sub_co_i32 s11, s7, s10
	s_and_b32 s7, ttmp7, 0xffff
	s_lshl_b32 s13, s11, 1
	s_lshr_b32 s10, ttmp7, 16
	s_add_co_i32 s13, s13, s7
	s_wait_kmcnt 0x0
	s_cmp_lt_i32 s13, s8
	s_cselect_b32 s13, -1, 0
	s_add_co_i32 s14, s12, s10
	s_delay_alu instid0(SALU_CYCLE_1) | instskip(SKIP_1) | instid1(SALU_CYCLE_1)
	s_cmp_lt_i32 s14, s5
	s_cselect_b32 s14, -1, 0
	s_and_b32 s13, s13, s14
	s_delay_alu instid0(SALU_CYCLE_1)
	s_and_not1_b32 vcc_lo, exec_lo, s13
	s_cbranch_vccnz .LBB11_6
; %bb.1:
	s_mul_i32 s2, s2, s8
	s_mul_i32 s5, s3, s5
	s_add_co_i32 s2, s2, s7
	s_delay_alu instid0(SALU_CYCLE_1) | instskip(NEXT) | instid1(SALU_CYCLE_1)
	s_mul_i32 s2, s2, s9
	s_add_co_i32 s8, s2, s10
	s_load_b128 s[0:3], s[0:1], 0x0
	s_add_co_i32 s5, s8, s5
	s_mul_i32 s8, s9, s11
	s_add_co_i32 s5, s5, s12
	s_lshl_b32 s8, s8, 8
	s_lshl_b32 s5, s5, 7
	s_delay_alu instid0(SALU_CYCLE_1)
	s_add_co_i32 s8, s8, s5
	s_lshl_b32 s5, s7, 3
	v_or_b32_e32 v1, s8, v0
	s_mul_i32 s8, s6, ttmp9
	s_wait_alu 0xfffe
	s_add_co_i32 s9, s8, s6
	s_wait_alu 0xfffe
	s_add_co_i32 s12, s9, -2
	v_ashrrev_i32_e32 v2, 31, v1
	s_delay_alu instid0(VALU_DEP_1) | instskip(SKIP_1) | instid1(VALU_DEP_1)
	v_lshlrev_b64_e32 v[1:2], 2, v[1:2]
	s_wait_kmcnt 0x0
	v_add_co_u32 v1, vcc_lo, s0, v1
	s_delay_alu instid0(VALU_DEP_1)
	v_add_co_ci_u32_e64 v2, null, s1, v2, vcc_lo
	s_add_co_i32 s0, s5, s10
	s_lshl_b32 s1, s9, 4
	global_load_b32 v5, v[1:2], off
	s_wait_alu 0xfffe
	s_add_co_i32 s0, s0, s1
	s_wait_alu 0xfffe
	s_add_co_i32 s0, s0, -16
	s_wait_alu 0xfffe
	s_ashr_i32 s1, s0, 31
	s_wait_alu 0xfffe
	s_lshl_b64 s[0:1], s[0:1], 3
	s_cmp_lt_i32 s12, s8
	s_wait_alu 0xfffe
	s_add_nc_u64 s[0:1], s[2:3], s[0:1]
	s_load_b32 s11, s[0:1], 0x4
	s_cbranch_scc1 .LBB11_4
; %bb.2:
	s_load_b32 s0, s[0:1], 0x0
	s_add_co_i32 s13, ttmp9, 1
	s_lshl_b32 s12, s4, 6
	s_mul_i32 s1, s6, s13
	s_lshl_b32 s6, s7, 10
	s_lshl_b32 s7, s10, 7
	s_wait_alu 0xfffe
	s_lshl_b32 s14, s1, 11
	s_add_co_i32 s6, s7, s6
	s_lshl_b32 s1, s1, 4
	s_add_co_i32 s14, s6, s14
	s_wait_alu 0xfffe
	s_add_co_i32 s1, s10, s1
	v_or_b32_e32 v0, s14, v0
	s_lshl_b32 s4, s4, 4
	s_ashr_i32 s13, s12, 31
	s_wait_alu 0xfffe
	s_add_co_i32 s1, s1, s4
	s_wait_kmcnt 0x0
	v_dual_mov_b32 v6, s11 :: v_dual_add_nc_u32 v3, 0xfffff000, v0
	s_lshl_b64 s[6:7], s[12:13], 2
	s_wait_alu 0xfffe
	s_add_co_i32 s4, s1, s5
	s_add_nc_u64 s[6:7], s[2:3], s[6:7]
	s_add_co_i32 s1, s9, -1
	s_sub_co_i32 s4, s4, 32
.LBB11_3:                               ; =>This Inner Loop Header: Depth=1
	v_ashrrev_i32_e32 v4, 31, v3
	s_ashr_i32 s5, s4, 31
	v_mov_b32_e32 v10, v6
	s_lshl_b64 s[10:11], s[4:5], 3
	s_wait_loadcnt 0x0
	v_mov_b32_e32 v9, v5
	v_lshlrev_b64_e32 v[7:8], 2, v[3:4]
	s_wait_alu 0xfffe
	s_add_nc_u64 s[10:11], s[2:3], s[10:11]
	v_max_num_f32_e64 v4, s0, s0
	s_load_b64 s[10:11], s[10:11], 0x0
	v_add_nc_u32_e32 v3, 0xfffff800, v3
	v_add_co_u32 v7, vcc_lo, s6, v7
	s_wait_alu 0xfffd
	v_add_co_ci_u32_e64 v8, null, s7, v8, vcc_lo
	v_readfirstlane_b32 s5, v4
	global_load_b32 v0, v[7:8], off
	s_wait_kmcnt 0x0
	v_max_num_f32_e64 v4, s10, s10
	s_delay_alu instid0(VALU_DEP_1) | instskip(SKIP_1) | instid1(SALU_CYCLE_3)
	v_readfirstlane_b32 s9, v4
	s_max_num_f32 s5, s5, s9
	s_sub_f32 s0, s0, s5
	s_sub_f32 s9, s10, s5
	s_wait_alu 0xfffe
	s_delay_alu instid0(SALU_CYCLE_1) | instskip(NEXT) | instid1(SALU_CYCLE_1)
	s_mul_f32 s10, s0, 0x3fb8aa3b
	s_mul_f32 s12, s9, 0x3fb8aa3b
	s_wait_alu 0xfffe
	s_delay_alu instid0(SALU_CYCLE_1)
	s_xor_b32 s13, s10, 0x80000000
	s_rndne_f32 s14, s10
	s_fmamk_f32 s13, s0, 0x3fb8aa3b, s13
	s_cmp_nlt_f32 s0, 0xc2ce8ed0
	s_rndne_f32 s15, s12
	s_wait_alu 0xfffe
	s_sub_f32 s10, s10, s14
	s_fmamk_f32 s13, s0, 0x32a5705f, s13
	s_cvt_i32_f32 s14, s14
	s_cselect_b32 vcc_lo, -1, 0
	s_cmp_ngt_f32 s0, 0x42b17218
	s_wait_alu 0xfffe
	s_add_f32 s10, s10, s13
	s_sub_f32 s13, s12, s15
	s_wait_alu 0xfffe
	s_delay_alu instid0(SALU_CYCLE_1) | instskip(SKIP_1) | instid1(TRANS32_DEP_1)
	v_s_exp_f32 s10, s10
	s_wait_alu 0xf1ff
	v_ldexp_f32 v4, s10, s14
	s_cvt_i32_f32 s10, s15
	s_delay_alu instid0(VALU_DEP_1) | instskip(SKIP_3) | instid1(VALU_DEP_1)
	v_cndmask_b32_e32 v4, 0, v4, vcc_lo
	s_cselect_b32 vcc_lo, -1, 0
	s_cmp_ge_f32 s0, 0xc1a00000
	s_wait_alu 0xfffe
	v_cndmask_b32_e32 v4, 0x7f800000, v4, vcc_lo
	s_cselect_b32 vcc_lo, -1, 0
	s_xor_b32 s0, s12, 0x80000000
	s_cmp_nlt_f32 s9, 0xc2ce8ed0
	s_wait_alu 0xfffe
	s_fmamk_f32 s0, s9, 0x3fb8aa3b, s0
	s_wait_alu 0xfffe
	s_delay_alu instid0(SALU_CYCLE_2) | instskip(SKIP_1) | instid1(SALU_CYCLE_2)
	s_fmamk_f32 s0, s9, 0x32a5705f, s0
	s_wait_alu 0xfffe
	s_add_f32 s0, s13, s0
	s_wait_alu 0xfffe
	s_delay_alu instid0(SALU_CYCLE_2) | instskip(SKIP_1) | instid1(TRANS32_DEP_1)
	v_s_exp_f32 s0, s0
	s_wait_alu 0xf1ff
	v_ldexp_f32 v7, s0, s10
	s_cselect_b32 s0, -1, 0
	s_cmp_ngt_f32 s9, 0x42b17218
	s_wait_alu 0xfffe
	s_delay_alu instid0(VALU_DEP_1) | instskip(SKIP_3) | instid1(VALU_DEP_1)
	v_cndmask_b32_e64 v7, 0, v7, s0
	s_cselect_b32 s0, -1, 0
	s_cmp_ge_f32 s9, 0xc1a00000
	s_wait_alu 0xfffe
	v_cndmask_b32_e64 v7, 0x7f800000, v7, s0
	s_cselect_b32 s0, -1, 0
	s_add_co_i32 s1, s1, -1
	s_add_co_i32 s4, s4, -16
	s_wait_alu 0xfffe
	s_cmp_le_i32 s1, s8
	v_cndmask_b32_e64 v7, 0, v7, s0
	s_mov_b32 s0, s5
	s_wait_loadcnt 0x0
	s_delay_alu instid0(VALU_DEP_1) | instskip(NEXT) | instid1(VALU_DEP_1)
	v_dual_mul_f32 v5, v0, v7 :: v_dual_cndmask_b32 v4, 0, v4
	v_dual_mul_f32 v8, s11, v7 :: v_dual_fmac_f32 v5, v9, v4
	s_delay_alu instid0(VALU_DEP_1) | instskip(NEXT) | instid1(VALU_DEP_1)
	v_mov_b32_e32 v6, v8
	v_fmac_f32_e32 v6, v10, v4
	s_cbranch_scc0 .LBB11_3
	s_branch .LBB11_5
.LBB11_4:
	s_wait_kmcnt 0x0
	v_mov_b32_e32 v6, s11
.LBB11_5:
	s_wait_loadcnt 0x0
	s_delay_alu instid0(VALU_DEP_1) | instskip(NEXT) | instid1(VALU_DEP_1)
	v_div_scale_f32 v0, null, v6, v6, v5
	v_rcp_f32_e32 v3, v0
	s_delay_alu instid0(TRANS32_DEP_1) | instskip(NEXT) | instid1(VALU_DEP_1)
	v_fma_f32 v4, -v0, v3, 1.0
	v_fmac_f32_e32 v3, v4, v3
	v_div_scale_f32 v4, vcc_lo, v5, v6, v5
	s_delay_alu instid0(VALU_DEP_1) | instskip(NEXT) | instid1(VALU_DEP_1)
	v_mul_f32_e32 v7, v4, v3
	v_fma_f32 v8, -v0, v7, v4
	s_delay_alu instid0(VALU_DEP_1) | instskip(NEXT) | instid1(VALU_DEP_1)
	v_fmac_f32_e32 v7, v8, v3
	v_fma_f32 v0, -v0, v7, v4
	s_wait_alu 0xfffd
	s_delay_alu instid0(VALU_DEP_1) | instskip(NEXT) | instid1(VALU_DEP_1)
	v_div_fmas_f32 v0, v0, v3, v7
	v_div_fixup_f32 v0, v0, v6, v5
	global_store_b32 v[1:2], v0, off
.LBB11_6:
	s_endpgm
	.section	.rodata,"a",@progbits
	.p2align	6, 0x0
	.amdhsa_kernel _ZL33flash_attn_stream_k_fixup_uniformILi128ELi2ELi8EEvPfPK15HIP_vector_typeIfLj2EEiiiiiiS1_IjLj3EES5_S5_
		.amdhsa_group_segment_fixed_size 0
		.amdhsa_private_segment_fixed_size 0
		.amdhsa_kernarg_size 76
		.amdhsa_user_sgpr_count 2
		.amdhsa_user_sgpr_dispatch_ptr 0
		.amdhsa_user_sgpr_queue_ptr 0
		.amdhsa_user_sgpr_kernarg_segment_ptr 1
		.amdhsa_user_sgpr_dispatch_id 0
		.amdhsa_user_sgpr_private_segment_size 0
		.amdhsa_wavefront_size32 1
		.amdhsa_uses_dynamic_stack 0
		.amdhsa_enable_private_segment 0
		.amdhsa_system_sgpr_workgroup_id_x 1
		.amdhsa_system_sgpr_workgroup_id_y 1
		.amdhsa_system_sgpr_workgroup_id_z 1
		.amdhsa_system_sgpr_workgroup_info 0
		.amdhsa_system_vgpr_workitem_id 0
		.amdhsa_next_free_vgpr 11
		.amdhsa_next_free_sgpr 16
		.amdhsa_reserve_vcc 1
		.amdhsa_float_round_mode_32 0
		.amdhsa_float_round_mode_16_64 0
		.amdhsa_float_denorm_mode_32 3
		.amdhsa_float_denorm_mode_16_64 3
		.amdhsa_fp16_overflow 0
		.amdhsa_workgroup_processor_mode 1
		.amdhsa_memory_ordered 1
		.amdhsa_forward_progress 1
		.amdhsa_inst_pref_size 9
		.amdhsa_round_robin_scheduling 0
		.amdhsa_exception_fp_ieee_invalid_op 0
		.amdhsa_exception_fp_denorm_src 0
		.amdhsa_exception_fp_ieee_div_zero 0
		.amdhsa_exception_fp_ieee_overflow 0
		.amdhsa_exception_fp_ieee_underflow 0
		.amdhsa_exception_fp_ieee_inexact 0
		.amdhsa_exception_int_div_zero 0
	.end_amdhsa_kernel
	.section	.text._ZL33flash_attn_stream_k_fixup_uniformILi128ELi2ELi8EEvPfPK15HIP_vector_typeIfLj2EEiiiiiiS1_IjLj3EES5_S5_,"axG",@progbits,_ZL33flash_attn_stream_k_fixup_uniformILi128ELi2ELi8EEvPfPK15HIP_vector_typeIfLj2EEiiiiiiS1_IjLj3EES5_S5_,comdat
.Lfunc_end11:
	.size	_ZL33flash_attn_stream_k_fixup_uniformILi128ELi2ELi8EEvPfPK15HIP_vector_typeIfLj2EEiiiiiiS1_IjLj3EES5_S5_, .Lfunc_end11-_ZL33flash_attn_stream_k_fixup_uniformILi128ELi2ELi8EEvPfPK15HIP_vector_typeIfLj2EEiiiiiiS1_IjLj3EES5_S5_
                                        ; -- End function
	.set _ZL33flash_attn_stream_k_fixup_uniformILi128ELi2ELi8EEvPfPK15HIP_vector_typeIfLj2EEiiiiiiS1_IjLj3EES5_S5_.num_vgpr, 11
	.set _ZL33flash_attn_stream_k_fixup_uniformILi128ELi2ELi8EEvPfPK15HIP_vector_typeIfLj2EEiiiiiiS1_IjLj3EES5_S5_.num_agpr, 0
	.set _ZL33flash_attn_stream_k_fixup_uniformILi128ELi2ELi8EEvPfPK15HIP_vector_typeIfLj2EEiiiiiiS1_IjLj3EES5_S5_.numbered_sgpr, 16
	.set _ZL33flash_attn_stream_k_fixup_uniformILi128ELi2ELi8EEvPfPK15HIP_vector_typeIfLj2EEiiiiiiS1_IjLj3EES5_S5_.num_named_barrier, 0
	.set _ZL33flash_attn_stream_k_fixup_uniformILi128ELi2ELi8EEvPfPK15HIP_vector_typeIfLj2EEiiiiiiS1_IjLj3EES5_S5_.private_seg_size, 0
	.set _ZL33flash_attn_stream_k_fixup_uniformILi128ELi2ELi8EEvPfPK15HIP_vector_typeIfLj2EEiiiiiiS1_IjLj3EES5_S5_.uses_vcc, 1
	.set _ZL33flash_attn_stream_k_fixup_uniformILi128ELi2ELi8EEvPfPK15HIP_vector_typeIfLj2EEiiiiiiS1_IjLj3EES5_S5_.uses_flat_scratch, 0
	.set _ZL33flash_attn_stream_k_fixup_uniformILi128ELi2ELi8EEvPfPK15HIP_vector_typeIfLj2EEiiiiiiS1_IjLj3EES5_S5_.has_dyn_sized_stack, 0
	.set _ZL33flash_attn_stream_k_fixup_uniformILi128ELi2ELi8EEvPfPK15HIP_vector_typeIfLj2EEiiiiiiS1_IjLj3EES5_S5_.has_recursion, 0
	.set _ZL33flash_attn_stream_k_fixup_uniformILi128ELi2ELi8EEvPfPK15HIP_vector_typeIfLj2EEiiiiiiS1_IjLj3EES5_S5_.has_indirect_call, 0
	.section	.AMDGPU.csdata,"",@progbits
; Kernel info:
; codeLenInByte = 1140
; TotalNumSgprs: 18
; NumVgprs: 11
; ScratchSize: 0
; MemoryBound: 0
; FloatMode: 240
; IeeeMode: 1
; LDSByteSize: 0 bytes/workgroup (compile time only)
; SGPRBlocks: 0
; VGPRBlocks: 1
; NumSGPRsForWavesPerEU: 18
; NumVGPRsForWavesPerEU: 11
; Occupancy: 16
; WaveLimiterHint : 0
; COMPUTE_PGM_RSRC2:SCRATCH_EN: 0
; COMPUTE_PGM_RSRC2:USER_SGPR: 2
; COMPUTE_PGM_RSRC2:TRAP_HANDLER: 0
; COMPUTE_PGM_RSRC2:TGID_X_EN: 1
; COMPUTE_PGM_RSRC2:TGID_Y_EN: 1
; COMPUTE_PGM_RSRC2:TGID_Z_EN: 1
; COMPUTE_PGM_RSRC2:TIDIG_COMP_CNT: 0
	.section	.text._ZL33flash_attn_stream_k_fixup_generalILi128ELi2ELi8EEvPfPK15HIP_vector_typeIfLj2EEiiiiS1_IjLj3EES5_S5_S5_,"axG",@progbits,_ZL33flash_attn_stream_k_fixup_generalILi128ELi2ELi8EEvPfPK15HIP_vector_typeIfLj2EEiiiiS1_IjLj3EES5_S5_S5_,comdat
	.globl	_ZL33flash_attn_stream_k_fixup_generalILi128ELi2ELi8EEvPfPK15HIP_vector_typeIfLj2EEiiiiS1_IjLj3EES5_S5_S5_ ; -- Begin function _ZL33flash_attn_stream_k_fixup_generalILi128ELi2ELi8EEvPfPK15HIP_vector_typeIfLj2EEiiiiS1_IjLj3EES5_S5_S5_
	.p2align	8
	.type	_ZL33flash_attn_stream_k_fixup_generalILi128ELi2ELi8EEvPfPK15HIP_vector_typeIfLj2EEiiiiS1_IjLj3EES5_S5_S5_,@function
_ZL33flash_attn_stream_k_fixup_generalILi128ELi2ELi8EEvPfPK15HIP_vector_typeIfLj2EEiiiiS1_IjLj3EES5_S5_S5_: ; @_ZL33flash_attn_stream_k_fixup_generalILi128ELi2ELi8EEvPfPK15HIP_vector_typeIfLj2EEiiiiS1_IjLj3EES5_S5_S5_
; %bb.0:
	s_clause 0x1
	s_load_b128 s[4:7], s[0:1], 0x10
	s_load_b32 s16, s[0:1], 0x50
	s_mov_b32 s2, ttmp9
	s_ashr_i32 s3, ttmp9, 31
	s_mov_b32 s17, 0
	s_delay_alu instid0(SALU_CYCLE_1) | instskip(SKIP_3) | instid1(SALU_CYCLE_1)
	s_mov_b32 s8, s17
	s_wait_kmcnt 0x0
	s_ashr_i32 s19, s7, 31
	s_mov_b32 s18, s7
	s_mul_u64 s[2:3], s[18:19], s[2:3]
	s_delay_alu instid0(SALU_CYCLE_1) | instskip(NEXT) | instid1(SALU_CYCLE_1)
	s_mov_b32 s9, s3
	s_cmp_lg_u64 s[8:9], 0
	s_cbranch_scc0 .LBB12_21
; %bb.1:
	s_add_nc_u64 s[8:9], s[16:17], 0
	s_mov_b32 s15, s17
	s_xor_b64 s[8:9], s[8:9], 0
	s_mov_b32 s23, s17
	s_cvt_f32_u32 s7, s8
	s_cvt_f32_u32 s10, s9
	s_sub_nc_u64 s[12:13], 0, s[8:9]
	s_delay_alu instid0(SALU_CYCLE_2) | instskip(NEXT) | instid1(SALU_CYCLE_3)
	s_fmamk_f32 s7, s10, 0x4f800000, s7
	v_s_rcp_f32 s7, s7
	s_delay_alu instid0(TRANS32_DEP_1) | instskip(SKIP_1) | instid1(SALU_CYCLE_2)
	s_mul_f32 s7, s7, 0x5f7ffffc
	s_wait_alu 0xfffe
	s_mul_f32 s10, s7, 0x2f800000
	s_delay_alu instid0(SALU_CYCLE_3) | instskip(NEXT) | instid1(SALU_CYCLE_3)
	s_trunc_f32 s10, s10
	s_fmamk_f32 s7, s10, 0xcf800000, s7
	s_cvt_u32_f32 s11, s10
	s_wait_alu 0xfffe
	s_delay_alu instid0(SALU_CYCLE_1) | instskip(NEXT) | instid1(SALU_CYCLE_3)
	s_cvt_u32_f32 s10, s7
	s_mul_u64 s[20:21], s[12:13], s[10:11]
	s_delay_alu instid0(SALU_CYCLE_1)
	s_mul_hi_u32 s25, s10, s21
	s_mul_i32 s24, s10, s21
	s_mul_hi_u32 s14, s10, s20
	s_mul_i32 s22, s11, s20
	s_add_nc_u64 s[14:15], s[14:15], s[24:25]
	s_mul_hi_u32 s7, s11, s20
	s_mul_hi_u32 s26, s11, s21
	s_add_co_u32 s14, s14, s22
	s_wait_alu 0xfffe
	s_add_co_ci_u32 s22, s15, s7
	s_mul_i32 s20, s11, s21
	s_add_co_ci_u32 s21, s26, 0
	s_delay_alu instid0(SALU_CYCLE_1)
	s_add_nc_u64 s[14:15], s[22:23], s[20:21]
	s_mov_b32 s21, s17
	s_add_co_u32 s10, s10, s14
	s_cselect_b32 s7, -1, 0
	s_wait_alu 0xfffe
	s_cmp_lg_u32 s7, 0
	s_add_co_ci_u32 s11, s11, s15
	s_mov_b32 s15, s17
	s_mul_u64 s[12:13], s[12:13], s[10:11]
	s_delay_alu instid0(SALU_CYCLE_1)
	s_mul_hi_u32 s23, s10, s13
	s_mul_i32 s22, s10, s13
	s_mul_hi_u32 s14, s10, s12
	s_mul_i32 s20, s11, s12
	s_add_nc_u64 s[14:15], s[14:15], s[22:23]
	s_mul_hi_u32 s7, s11, s12
	s_mul_hi_u32 s24, s11, s13
	s_mul_i32 s12, s11, s13
	s_add_co_u32 s13, s14, s20
	s_wait_alu 0xfffe
	s_add_co_ci_u32 s20, s15, s7
	s_add_co_ci_u32 s13, s24, 0
	s_mov_b32 s15, s17
	s_add_nc_u64 s[12:13], s[20:21], s[12:13]
	s_delay_alu instid0(SALU_CYCLE_1) | instskip(SKIP_1) | instid1(SALU_CYCLE_1)
	s_add_co_u32 s7, s10, s12
	s_cselect_b32 s10, -1, 0
	s_cmp_lg_u32 s10, 0
	s_add_co_ci_u32 s20, s11, s13
	s_ashr_i32 s10, s3, 31
	s_delay_alu instid0(SALU_CYCLE_1) | instskip(NEXT) | instid1(SALU_CYCLE_1)
	s_mov_b32 s11, s10
	s_add_nc_u64 s[12:13], s[2:3], s[10:11]
	s_delay_alu instid0(SALU_CYCLE_1) | instskip(NEXT) | instid1(SALU_CYCLE_1)
	s_xor_b64 s[12:13], s[12:13], s[10:11]
	s_mul_hi_u32 s23, s12, s20
	s_mul_i32 s22, s12, s20
	s_wait_alu 0xfffe
	s_mul_hi_u32 s14, s12, s7
	s_mul_hi_u32 s24, s13, s7
	s_mul_i32 s7, s13, s7
	s_add_nc_u64 s[14:15], s[14:15], s[22:23]
	s_mul_hi_u32 s3, s13, s20
	s_wait_alu 0xfffe
	s_add_co_u32 s7, s14, s7
	s_mul_i32 s22, s13, s20
	s_add_co_ci_u32 s20, s15, s24
	s_add_co_ci_u32 s23, s3, 0
	s_delay_alu instid0(SALU_CYCLE_1) | instskip(NEXT) | instid1(SALU_CYCLE_1)
	s_add_nc_u64 s[14:15], s[20:21], s[22:23]
	s_mul_u64 s[20:21], s[8:9], s[14:15]
	s_delay_alu instid0(SALU_CYCLE_1)
	s_sub_co_u32 s3, s12, s20
	s_cselect_b32 s7, -1, 0
	s_sub_co_i32 s12, s13, s21
	s_wait_alu 0xfffe
	s_cmp_lg_u32 s7, 0
	s_sub_co_ci_u32 s12, s12, s9
	s_sub_co_u32 s20, s3, s8
	s_cselect_b32 s22, -1, 0
	s_delay_alu instid0(SALU_CYCLE_1) | instskip(SKIP_2) | instid1(SALU_CYCLE_1)
	s_cmp_lg_u32 s22, 0
	s_add_nc_u64 s[22:23], s[14:15], 1
	s_sub_co_ci_u32 s12, s12, 0
	s_cmp_ge_u32 s12, s9
	s_cselect_b32 s24, -1, 0
	s_cmp_ge_u32 s20, s8
	s_cselect_b32 s20, -1, 0
	s_cmp_eq_u32 s12, s9
	s_cselect_b32 s12, s20, s24
	s_add_nc_u64 s[24:25], s[14:15], 2
	s_cmp_lg_u32 s12, 0
	s_cselect_b32 s12, s24, s22
	s_cselect_b32 s20, s25, s23
	s_cmp_lg_u32 s7, 0
	s_sub_co_ci_u32 s7, s13, s21
	s_wait_alu 0xfffe
	s_cmp_ge_u32 s7, s9
	s_cselect_b32 s13, -1, 0
	s_cmp_ge_u32 s3, s8
	s_cselect_b32 s3, -1, 0
	s_cmp_eq_u32 s7, s9
	s_cselect_b32 s3, s3, s13
	s_delay_alu instid0(SALU_CYCLE_1) | instskip(SKIP_4) | instid1(SALU_CYCLE_1)
	s_cmp_lg_u32 s3, 0
	s_mov_b32 s3, s17
	s_cselect_b32 s9, s20, s15
	s_cselect_b32 s8, s12, s14
	s_xor_b64 s[10:11], s[10:11], 0
	s_xor_b64 s[8:9], s[8:9], s[10:11]
	s_delay_alu instid0(SALU_CYCLE_1)
	s_sub_nc_u64 s[20:21], s[8:9], s[10:11]
	s_and_not1_b32 vcc_lo, exec_lo, s3
	s_cbranch_vccnz .LBB12_3
.LBB12_2:
	v_cvt_f32_u32_e32 v1, s16
	s_sub_co_i32 s7, 0, s16
	s_delay_alu instid0(VALU_DEP_1) | instskip(NEXT) | instid1(TRANS32_DEP_1)
	v_rcp_iflag_f32_e32 v1, v1
	v_mul_f32_e32 v1, 0x4f7ffffe, v1
	s_delay_alu instid0(VALU_DEP_1) | instskip(NEXT) | instid1(VALU_DEP_1)
	v_cvt_u32_f32_e32 v1, v1
	v_readfirstlane_b32 s3, v1
	s_wait_alu 0xfffe
	s_mul_i32 s7, s7, s3
	s_wait_alu 0xfffe
	s_mul_hi_u32 s7, s3, s7
	s_wait_alu 0xfffe
	s_add_co_i32 s3, s3, s7
	s_delay_alu instid0(SALU_CYCLE_1) | instskip(NEXT) | instid1(SALU_CYCLE_1)
	s_mul_hi_u32 s3, s2, s3
	s_mul_i32 s7, s3, s16
	s_wait_alu 0xfffe
	s_sub_co_i32 s2, s2, s7
	s_add_co_i32 s7, s3, 1
	s_sub_co_i32 s8, s2, s16
	s_cmp_ge_u32 s2, s16
	s_wait_alu 0xfffe
	s_cselect_b32 s3, s7, s3
	s_cselect_b32 s2, s8, s2
	s_add_co_i32 s7, s3, 1
	s_cmp_ge_u32 s2, s16
	s_wait_alu 0xfffe
	s_cselect_b32 s20, s7, s3
.LBB12_3:
	s_add_co_i32 s2, ttmp9, 1
	s_mov_b32 s8, 0
	s_ashr_i32 s3, s2, 31
	s_delay_alu instid0(SALU_CYCLE_1) | instskip(NEXT) | instid1(SALU_CYCLE_1)
	s_mul_u64 s[2:3], s[18:19], s[2:3]
	s_mov_b32 s9, s3
	s_delay_alu instid0(SALU_CYCLE_1)
	s_cmp_lg_u64 s[8:9], 0
	s_cbranch_scc0 .LBB12_22
; %bb.4:
	s_add_nc_u64 s[10:11], s[16:17], 0
	s_mov_b32 s23, s8
	s_xor_b64 s[10:11], s[10:11], 0
	s_mov_b32 s27, s8
	s_cvt_f32_u32 s7, s10
	s_cvt_f32_u32 s9, s11
	s_sub_nc_u64 s[14:15], 0, s[10:11]
	s_wait_alu 0xfffe
	s_delay_alu instid0(SALU_CYCLE_1) | instskip(SKIP_1) | instid1(SALU_CYCLE_2)
	s_fmamk_f32 s7, s9, 0x4f800000, s7
	s_wait_alu 0xfffe
	v_s_rcp_f32 s7, s7
	s_delay_alu instid0(TRANS32_DEP_1) | instskip(SKIP_1) | instid1(SALU_CYCLE_2)
	s_mul_f32 s7, s7, 0x5f7ffffc
	s_wait_alu 0xfffe
	s_mul_f32 s9, s7, 0x2f800000
	s_delay_alu instid0(SALU_CYCLE_3) | instskip(NEXT) | instid1(SALU_CYCLE_3)
	s_trunc_f32 s9, s9
	s_fmamk_f32 s7, s9, 0xcf800000, s7
	s_cvt_u32_f32 s13, s9
	s_wait_alu 0xfffe
	s_delay_alu instid0(SALU_CYCLE_1) | instskip(NEXT) | instid1(SALU_CYCLE_3)
	s_cvt_u32_f32 s12, s7
	s_mul_u64 s[24:25], s[14:15], s[12:13]
	s_delay_alu instid0(SALU_CYCLE_1)
	s_mul_hi_u32 s29, s12, s25
	s_mul_i32 s28, s12, s25
	s_mul_hi_u32 s22, s12, s24
	s_mul_i32 s9, s13, s24
	s_add_nc_u64 s[22:23], s[22:23], s[28:29]
	s_mul_hi_u32 s7, s13, s24
	s_mul_hi_u32 s21, s13, s25
	s_add_co_u32 s9, s22, s9
	s_wait_alu 0xfffe
	s_add_co_ci_u32 s26, s23, s7
	s_mul_i32 s24, s13, s25
	s_add_co_ci_u32 s25, s21, 0
	s_delay_alu instid0(SALU_CYCLE_1)
	s_add_nc_u64 s[22:23], s[26:27], s[24:25]
	s_mov_b32 s25, s8
	s_add_co_u32 s12, s12, s22
	s_cselect_b32 s7, -1, 0
	s_wait_alu 0xfffe
	s_cmp_lg_u32 s7, 0
	s_add_co_ci_u32 s13, s13, s23
	s_mov_b32 s23, s8
	s_mul_u64 s[14:15], s[14:15], s[12:13]
	s_delay_alu instid0(SALU_CYCLE_1)
	s_mul_hi_u32 s27, s12, s15
	s_mul_i32 s26, s12, s15
	s_mul_hi_u32 s22, s12, s14
	s_mul_i32 s9, s13, s14
	s_add_nc_u64 s[22:23], s[22:23], s[26:27]
	s_mul_hi_u32 s7, s13, s14
	s_mul_hi_u32 s21, s13, s15
	s_add_co_u32 s9, s22, s9
	s_wait_alu 0xfffe
	s_add_co_ci_u32 s24, s23, s7
	s_mul_i32 s14, s13, s15
	s_add_co_ci_u32 s15, s21, 0
	s_mov_b32 s23, s8
	s_add_nc_u64 s[14:15], s[24:25], s[14:15]
	s_delay_alu instid0(SALU_CYCLE_1) | instskip(SKIP_1) | instid1(SALU_CYCLE_1)
	s_add_co_u32 s7, s12, s14
	s_cselect_b32 s9, -1, 0
	s_cmp_lg_u32 s9, 0
	s_add_co_ci_u32 s9, s13, s15
	s_ashr_i32 s12, s3, 31
	s_delay_alu instid0(SALU_CYCLE_1) | instskip(NEXT) | instid1(SALU_CYCLE_1)
	s_mov_b32 s13, s12
	s_add_nc_u64 s[14:15], s[2:3], s[12:13]
	s_delay_alu instid0(SALU_CYCLE_1) | instskip(NEXT) | instid1(SALU_CYCLE_1)
	s_xor_b64 s[14:15], s[14:15], s[12:13]
	s_mul_hi_u32 s27, s14, s9
	s_mul_i32 s26, s14, s9
	s_wait_alu 0xfffe
	s_mul_hi_u32 s22, s14, s7
	s_mul_hi_u32 s21, s15, s7
	s_mul_i32 s7, s15, s7
	s_add_nc_u64 s[22:23], s[22:23], s[26:27]
	s_mul_hi_u32 s3, s15, s9
	s_wait_alu 0xfffe
	s_add_co_u32 s7, s22, s7
	s_add_co_ci_u32 s24, s23, s21
	s_mul_i32 s26, s15, s9
	s_add_co_ci_u32 s27, s3, 0
	s_delay_alu instid0(SALU_CYCLE_1) | instskip(NEXT) | instid1(SALU_CYCLE_1)
	s_add_nc_u64 s[22:23], s[24:25], s[26:27]
	s_mul_u64 s[24:25], s[10:11], s[22:23]
	s_add_nc_u64 s[26:27], s[22:23], 1
	s_sub_co_u32 s3, s14, s24
	s_cselect_b32 s7, -1, 0
	s_sub_co_i32 s9, s15, s25
	s_wait_alu 0xfffe
	s_cmp_lg_u32 s7, 0
	s_add_nc_u64 s[28:29], s[22:23], 2
	s_sub_co_ci_u32 s9, s9, s11
	s_sub_co_u32 s14, s3, s10
	s_cselect_b32 s21, -1, 0
	s_delay_alu instid0(SALU_CYCLE_1) | instskip(SKIP_1) | instid1(SALU_CYCLE_1)
	s_cmp_lg_u32 s21, 0
	s_sub_co_ci_u32 s9, s9, 0
	s_cmp_ge_u32 s9, s11
	s_cselect_b32 s21, -1, 0
	s_cmp_ge_u32 s14, s10
	s_cselect_b32 s14, -1, 0
	s_cmp_eq_u32 s9, s11
	s_cselect_b32 s9, s14, s21
	s_delay_alu instid0(SALU_CYCLE_1)
	s_cmp_lg_u32 s9, 0
	s_cselect_b32 s9, s28, s26
	s_cselect_b32 s14, s29, s27
	s_cmp_lg_u32 s7, 0
	s_sub_co_ci_u32 s7, s15, s25
	s_wait_alu 0xfffe
	s_cmp_ge_u32 s7, s11
	s_cselect_b32 s15, -1, 0
	s_cmp_ge_u32 s3, s10
	s_cselect_b32 s3, -1, 0
	s_cmp_eq_u32 s7, s11
	s_cselect_b32 s3, s3, s15
	s_delay_alu instid0(SALU_CYCLE_1) | instskip(SKIP_3) | instid1(SALU_CYCLE_1)
	s_cmp_lg_u32 s3, 0
	s_cselect_b32 s11, s14, s23
	s_cselect_b32 s10, s9, s22
	s_xor_b64 s[12:13], s[12:13], 0
	s_xor_b64 s[10:11], s[10:11], s[12:13]
	s_delay_alu instid0(SALU_CYCLE_1)
	s_sub_nc_u64 s[10:11], s[10:11], s[12:13]
	s_load_b96 s[12:14], s[0:1], 0x44
	s_and_not1_b32 vcc_lo, exec_lo, s8
	s_cbranch_vccnz .LBB12_6
.LBB12_5:
	v_cvt_f32_u32_e32 v1, s16
	s_sub_co_i32 s7, 0, s16
	s_delay_alu instid0(VALU_DEP_1) | instskip(NEXT) | instid1(TRANS32_DEP_1)
	v_rcp_iflag_f32_e32 v1, v1
	v_mul_f32_e32 v1, 0x4f7ffffe, v1
	s_delay_alu instid0(VALU_DEP_1) | instskip(NEXT) | instid1(VALU_DEP_1)
	v_cvt_u32_f32_e32 v1, v1
	v_readfirstlane_b32 s3, v1
	s_wait_alu 0xfffe
	s_mul_i32 s7, s7, s3
	s_wait_alu 0xfffe
	s_mul_hi_u32 s7, s3, s7
	s_wait_alu 0xfffe
	s_add_co_i32 s3, s3, s7
	s_delay_alu instid0(SALU_CYCLE_1) | instskip(NEXT) | instid1(SALU_CYCLE_1)
	s_mul_hi_u32 s3, s2, s3
	s_mul_i32 s7, s3, s16
	s_wait_alu 0xfffe
	s_sub_co_i32 s2, s2, s7
	s_add_co_i32 s7, s3, 1
	s_sub_co_i32 s8, s2, s16
	s_cmp_ge_u32 s2, s16
	s_wait_alu 0xfffe
	s_cselect_b32 s3, s7, s3
	s_cselect_b32 s2, s8, s2
	s_add_co_i32 s7, s3, 1
	s_cmp_ge_u32 s2, s16
	s_wait_alu 0xfffe
	s_cselect_b32 s10, s7, s3
.LBB12_6:
	s_mov_b32 s21, 0
	s_wait_kmcnt 0x0
	s_mov_b32 s22, s12
	s_mov_b32 s23, s21
	s_cmp_eq_u32 s20, s10
	s_mul_u64 s[2:3], s[20:21], s[22:23]
	s_cselect_b32 s7, -1, 0
	s_add_co_i32 s2, s3, s20
	s_mov_b32 s11, s21
	s_lshr_b32 s12, s2, s13
	s_mul_u64 s[2:3], s[10:11], s[22:23]
	s_mul_i32 s2, s12, s14
	s_delay_alu instid0(SALU_CYCLE_1) | instskip(SKIP_2) | instid1(SALU_CYCLE_1)
	s_cmp_eq_u32 s2, s20
	s_cselect_b32 s2, -1, 0
	s_add_co_i32 s3, s3, s10
	s_lshr_b32 s3, s3, s13
	s_delay_alu instid0(SALU_CYCLE_1)
	s_cmp_eq_u32 s12, s3
	s_mul_i32 s3, s3, s14
	s_cselect_b32 s8, -1, 0
	s_cmp_lg_u32 s3, s10
	s_cselect_b32 s3, -1, 0
	s_wait_alu 0xfffe
	s_or_b32 s2, s7, s2
	s_and_b32 s3, s8, s3
	s_delay_alu instid0(SALU_CYCLE_1) | instskip(NEXT) | instid1(SALU_CYCLE_1)
	s_or_b32 s2, s2, s3
	s_and_b32 vcc_lo, exec_lo, s2
	s_cbranch_vccnz .LBB12_24
; %bb.7:
	s_load_b256 s[24:31], s[0:1], 0x20
	s_mov_b32 s3, s21
	s_wait_kmcnt 0x0
	s_mov_b32 s2, s24
	s_delay_alu instid0(SALU_CYCLE_1) | instskip(NEXT) | instid1(SALU_CYCLE_1)
	s_mul_u64 s[2:3], s[20:21], s[2:3]
	s_add_co_i32 s2, s3, s20
	s_delay_alu instid0(SALU_CYCLE_1) | instskip(SKIP_2) | instid1(SALU_CYCLE_1)
	s_lshr_b32 s7, s2, s25
	s_load_b32 s2, s[0:1], 0x40
	s_mul_i32 s3, s7, s26
	s_sub_co_i32 s3, s20, s3
	s_delay_alu instid0(SALU_CYCLE_1) | instskip(NEXT) | instid1(SALU_CYCLE_1)
	s_mul_hi_u32 s8, s3, s27
	s_add_co_i32 s8, s3, s8
	s_delay_alu instid0(SALU_CYCLE_1) | instskip(NEXT) | instid1(SALU_CYCLE_1)
	s_lshr_b32 s8, s8, s28
	s_mul_i32 s9, s8, s29
	s_delay_alu instid0(SALU_CYCLE_1) | instskip(NEXT) | instid1(SALU_CYCLE_1)
	s_sub_co_i32 s9, s3, s9
	s_mul_hi_u32 s3, s9, s30
	s_delay_alu instid0(SALU_CYCLE_1) | instskip(NEXT) | instid1(SALU_CYCLE_1)
	s_add_co_i32 s3, s9, s3
	s_lshr_b32 s24, s3, s31
	s_mov_b32 s3, s21
	s_wait_kmcnt 0x0
	s_mul_i32 s2, s24, s2
	s_lshl_b32 s21, s24, 3
	s_sub_co_i32 s2, s9, s2
	s_delay_alu instid0(SALU_CYCLE_1) | instskip(SKIP_2) | instid1(SALU_CYCLE_1)
	s_mul_u64 s[10:11], s[2:3], s[22:23]
	s_lshr_b32 s3, ttmp7, 16
	s_add_co_i32 s2, s2, s11
	s_lshr_b32 s15, s2, s13
	s_and_b32 s2, ttmp7, 0xffff
	s_lshl_b32 s9, s15, 1
	s_delay_alu instid0(SALU_CYCLE_1) | instskip(NEXT) | instid1(SALU_CYCLE_1)
	s_add_co_i32 s9, s9, s2
	s_cmp_lt_i32 s9, s4
	s_cselect_b32 s9, -1, 0
	s_add_co_i32 s10, s21, s3
	s_delay_alu instid0(SALU_CYCLE_1) | instskip(SKIP_1) | instid1(SALU_CYCLE_1)
	s_cmp_lt_i32 s10, s6
	s_cselect_b32 s10, -1, 0
	s_and_b32 s9, s9, s10
	s_delay_alu instid0(SALU_CYCLE_1)
	s_and_not1_b32 vcc_lo, exec_lo, s9
	s_cbranch_vccnz .LBB12_24
; %bb.8:
	s_mul_i32 s4, s7, s4
	s_mul_i32 s6, s8, s6
	s_add_co_i32 s4, s4, s2
	s_load_b128 s[8:11], s[0:1], 0x0
	s_mul_i32 s4, s4, s5
	s_mul_i32 s1, s5, s15
	s_add_co_i32 s4, s4, s3
	s_lshl_b32 s1, s1, 8
	s_add_co_i32 s0, s4, s6
	s_lshl_b32 s15, s2, 3
	s_add_co_i32 s0, s0, s21
	s_add_co_i32 s15, s15, s3
	s_lshl_b32 s0, s0, 7
	v_cvt_f32_u32_e32 v4, s16
	s_add_co_i32 s1, s1, s0
	s_add_co_i32 s34, ttmp9, -1
	v_or_b32_e32 v1, s1, v0
	s_add_nc_u64 s[0:1], s[16:17], 0
	v_rcp_iflag_f32_e32 v4, v4
	s_wait_alu 0xfffe
	s_xor_b64 s[6:7], s[0:1], 0
	s_lshl_b32 s0, ttmp9, 4
	v_ashrrev_i32_e32 v2, 31, v1
	s_wait_alu 0xfffe
	s_cvt_f32_u32 s1, s6
	s_cvt_f32_u32 s2, s7
	s_add_co_i32 s0, s15, s0
	v_lshl_or_b32 v0, s15, 7, v0
	v_lshlrev_b64_e32 v[1:2], 2, v[1:2]
	s_wait_alu 0xfffe
	s_fmamk_f32 s2, s2, 0x4f800000, s1
	s_ashr_i32 s1, s0, 31
	s_sub_nc_u64 s[30:31], 0, s[6:7]
	s_wait_alu 0xfffe
	s_lshl_b64 s[0:1], s[0:1], 3
	v_s_rcp_f32 s2, s2
	s_wait_kmcnt 0x0
	v_add_co_u32 v1, vcc_lo, s8, v1
	s_delay_alu instid0(VALU_DEP_1)
	v_add_co_ci_u32_e64 v2, null, s9, v2, vcc_lo
	s_wait_alu 0xfffe
	s_add_nc_u64 s[0:1], s[10:11], s[0:1]
	s_mov_b32 s8, 0
	s_load_b64 s[26:27], s[0:1], 0x0
	global_load_b32 v3, v[1:2], off
	s_mul_f32 s2, s2, 0x5f7ffffc
	v_mul_f32_e32 v4, 0x4f7ffffe, v4
	s_lshl_b32 s0, s16, 6
	s_wait_alu 0xfffe
	s_mul_f32 s1, s2, 0x2f800000
	s_wait_alu 0xfffe
	s_delay_alu instid0(SALU_CYCLE_2)
	s_trunc_f32 s3, s1
	s_mov_b32 s1, s8
	s_wait_alu 0xfffe
	s_lshl_b64 s[0:1], s[0:1], 2
	s_fmamk_f32 s2, s3, 0xcf800000, s2
	s_cvt_u32_f32 s29, s3
	s_wait_alu 0xfffe
	s_add_nc_u64 s[24:25], s[10:11], s[0:1]
	s_cvt_u32_f32 s28, s2
	s_wait_kmcnt 0x0
	v_mov_b32_e32 v5, s27
	v_cvt_u32_f32_e32 v4, v4
.LBB12_9:                               ; =>This Inner Loop Header: Depth=1
	s_wait_alu 0xfffe
	s_ashr_i32 s35, s34, 31
	s_mov_b32 s2, -1
	s_wait_alu 0xfffe
	s_mul_u64 s[0:1], s[34:35], s[18:19]
                                        ; implicit-def: $sgpr38_sgpr39
	s_wait_alu 0xfffe
	s_mov_b32 s9, s1
	s_wait_alu 0xfffe
	s_cmp_lg_u64 s[8:9], 0
	s_cbranch_scc0 .LBB12_11
; %bb.10:                               ;   in Loop: Header=BB12_9 Depth=1
	s_mul_u64 s[2:3], s[30:31], s[28:29]
	s_mov_b32 s37, s8
	s_wait_alu 0xfffe
	s_mul_hi_u32 s5, s28, s3
	s_mul_i32 s4, s28, s3
	s_mul_hi_u32 s36, s28, s2
	s_mul_hi_u32 s9, s29, s2
	s_wait_alu 0xfffe
	s_add_nc_u64 s[4:5], s[36:37], s[4:5]
	s_mul_i32 s2, s29, s2
	s_mul_hi_u32 s17, s29, s3
	s_wait_alu 0xfffe
	s_add_co_u32 s2, s4, s2
	s_add_co_ci_u32 s2, s5, s9
	s_add_co_ci_u32 s5, s17, 0
	s_mul_i32 s4, s29, s3
	s_mov_b32 s3, s8
	s_mov_b32 s39, s8
	s_wait_alu 0xfffe
	s_add_nc_u64 s[2:3], s[2:3], s[4:5]
	s_wait_alu 0xfffe
	s_add_co_u32 s2, s28, s2
	s_cselect_b32 s4, -1, 0
	s_wait_alu 0xfffe
	s_cmp_lg_u32 s4, 0
	s_add_co_ci_u32 s3, s29, s3
	s_wait_alu 0xfffe
	s_mul_u64 s[4:5], s[30:31], s[2:3]
	s_wait_alu 0xfffe
	s_mul_hi_u32 s37, s2, s5
	s_mul_i32 s36, s2, s5
	s_mul_hi_u32 s38, s2, s4
	s_mul_hi_u32 s9, s3, s4
	s_mul_i32 s4, s3, s4
	s_wait_alu 0xfffe
	s_add_nc_u64 s[36:37], s[38:39], s[36:37]
	s_mul_hi_u32 s17, s3, s5
	s_wait_alu 0xfffe
	s_add_co_u32 s4, s36, s4
	s_add_co_ci_u32 s4, s37, s9
	s_add_co_ci_u32 s37, s17, 0
	s_mul_i32 s36, s3, s5
	s_mov_b32 s5, s8
	s_wait_alu 0xfffe
	s_add_nc_u64 s[4:5], s[4:5], s[36:37]
	s_mov_b32 s37, s8
	s_wait_alu 0xfffe
	s_add_co_u32 s9, s2, s4
	s_cselect_b32 s2, -1, 0
	s_wait_alu 0xfffe
	s_cmp_lg_u32 s2, 0
	s_add_co_ci_u32 s17, s3, s5
	s_ashr_i32 s2, s1, 31
	s_wait_alu 0xfffe
	s_mov_b32 s3, s2
	s_wait_alu 0xfffe
	s_add_nc_u64 s[4:5], s[0:1], s[2:3]
	s_wait_alu 0xfffe
	s_xor_b64 s[4:5], s[4:5], s[2:3]
	s_wait_alu 0xfffe
	s_mul_hi_u32 s39, s4, s17
	s_mul_i32 s38, s4, s17
	s_mul_hi_u32 s36, s4, s9
	s_mul_i32 s21, s5, s9
	s_wait_alu 0xfffe
	s_add_nc_u64 s[36:37], s[36:37], s[38:39]
	s_mul_hi_u32 s9, s5, s9
	s_mul_hi_u32 s1, s5, s17
	s_wait_alu 0xfffe
	s_add_co_u32 s21, s36, s21
	s_add_co_ci_u32 s36, s37, s9
	s_add_co_ci_u32 s39, s1, 0
	s_mul_i32 s38, s5, s17
	s_mov_b32 s37, s8
	s_wait_alu 0xfffe
	s_add_nc_u64 s[36:37], s[36:37], s[38:39]
	s_wait_alu 0xfffe
	s_mul_u64 s[38:39], s[6:7], s[36:37]
	s_add_nc_u64 s[40:41], s[36:37], 1
	s_sub_co_u32 s1, s4, s38
	s_cselect_b32 s4, -1, 0
	s_sub_co_i32 s9, s5, s39
	s_wait_alu 0xfffe
	s_cmp_lg_u32 s4, 0
	s_add_nc_u64 s[42:43], s[36:37], 2
	s_sub_co_ci_u32 s9, s9, s7
	s_sub_co_u32 s17, s1, s6
	s_cselect_b32 s21, -1, 0
	s_delay_alu instid0(SALU_CYCLE_1)
	s_cmp_lg_u32 s21, 0
	s_wait_alu 0xfffe
	s_sub_co_ci_u32 s9, s9, 0
	s_wait_alu 0xfffe
	s_cmp_ge_u32 s9, s7
	s_cselect_b32 s21, -1, 0
	s_cmp_ge_u32 s17, s6
	s_cselect_b32 s17, -1, 0
	s_cmp_eq_u32 s9, s7
	s_wait_alu 0xfffe
	s_cselect_b32 s9, s17, s21
	s_wait_alu 0xfffe
	s_cmp_lg_u32 s9, 0
	s_cselect_b32 s9, s42, s40
	s_cselect_b32 s17, s43, s41
	s_cmp_lg_u32 s4, 0
	s_sub_co_ci_u32 s4, s5, s39
	s_wait_alu 0xfffe
	s_cmp_ge_u32 s4, s7
	s_cselect_b32 s5, -1, 0
	s_cmp_ge_u32 s1, s6
	s_cselect_b32 s1, -1, 0
	s_cmp_eq_u32 s4, s7
	s_wait_alu 0xfffe
	s_cselect_b32 s1, s1, s5
	s_wait_alu 0xfffe
	s_cmp_lg_u32 s1, 0
	s_cselect_b32 s5, s17, s37
	s_cselect_b32 s4, s9, s36
	s_xor_b64 s[2:3], s[2:3], 0
	s_wait_alu 0xfffe
	s_xor_b64 s[4:5], s[4:5], s[2:3]
	s_wait_alu 0xfffe
	s_sub_nc_u64 s[38:39], s[4:5], s[2:3]
	s_mov_b32 s2, 0
.LBB12_11:                              ;   in Loop: Header=BB12_9 Depth=1
	s_wait_alu 0xfffe
	s_and_not1_b32 vcc_lo, exec_lo, s2
	s_wait_alu 0xfffe
	s_cbranch_vccnz .LBB12_13
; %bb.12:                               ;   in Loop: Header=BB12_9 Depth=1
	v_readfirstlane_b32 s1, v4
	s_sub_co_i32 s2, 0, s16
	s_wait_alu 0xfffe
	s_mul_i32 s2, s2, s1
	s_wait_alu 0xfffe
	s_mul_hi_u32 s2, s1, s2
	s_wait_alu 0xfffe
	s_add_co_i32 s1, s1, s2
	s_wait_alu 0xfffe
	s_mul_hi_u32 s1, s0, s1
	s_wait_alu 0xfffe
	s_mul_i32 s2, s1, s16
	s_wait_alu 0xfffe
	s_sub_co_i32 s0, s0, s2
	s_add_co_i32 s2, s1, 1
	s_wait_alu 0xfffe
	s_sub_co_i32 s3, s0, s16
	s_cmp_ge_u32 s0, s16
	s_cselect_b32 s1, s2, s1
	s_wait_alu 0xfffe
	s_cselect_b32 s0, s3, s0
	s_add_co_i32 s2, s1, 1
	s_wait_alu 0xfffe
	s_cmp_ge_u32 s0, s16
	s_cselect_b32 s38, s2, s1
.LBB12_13:                              ;   in Loop: Header=BB12_9 Depth=1
	v_readfirstlane_b32 s9, v0
	s_cmp_lg_u32 s20, s38
	s_mov_b32 s0, -1
                                        ; implicit-def: $sgpr21
                                        ; implicit-def: $vgpr6
                                        ; implicit-def: $vgpr7
                                        ; implicit-def: $sgpr17
                                        ; implicit-def: $sgpr27
	s_cbranch_scc1 .LBB12_16
; %bb.14:                               ;   in Loop: Header=BB12_9 Depth=1
	s_wait_alu 0xfffe
	s_and_not1_b32 vcc_lo, exec_lo, s0
	s_wait_alu 0xfffe
	s_cbranch_vccz .LBB12_19
.LBB12_15:                              ;   in Loop: Header=BB12_9 Depth=1
	s_and_not1_b32 vcc_lo, exec_lo, s21
	s_wait_alu 0xfffe
	s_cbranch_vccnz .LBB12_20
	s_branch .LBB12_23
.LBB12_16:                              ;   in Loop: Header=BB12_9 Depth=1
	s_add_co_i32 s0, s34, s16
	s_mov_b32 s1, s8
	s_wait_alu 0xfffe
	s_lshl_b32 s0, s0, 4
	v_max_num_f32_e64 v6, s26, s26
	s_wait_alu 0xfffe
	s_add_co_i32 s0, s0, s15
	s_mov_b32 s39, s8
	s_wait_alu 0xfffe
	s_lshl_b64 s[0:1], s[0:1], 3
	s_mul_u64 s[40:41], s[38:39], s[22:23]
	s_wait_alu 0xfffe
	s_add_nc_u64 s[0:1], s[10:11], s[0:1]
	s_mov_b32 s27, s20
	s_load_b64 s[36:37], s[0:1], 0x0
	v_readfirstlane_b32 s0, v6
	s_wait_kmcnt 0x0
	v_max_num_f32_e64 v7, s36, s36
	s_delay_alu instid0(VALU_DEP_1) | instskip(SKIP_2) | instid1(SALU_CYCLE_2)
	v_readfirstlane_b32 s1, v7
	s_max_num_f32 s9, s0, s1
	s_wait_alu 0xfffe
	s_sub_f32 s33, s26, s9
	s_sub_f32 s35, s36, s9
	s_wait_alu 0xfffe
	s_delay_alu instid0(SALU_CYCLE_1)
	s_cmp_nlt_f32 s33, 0xc2ce8ed0
	s_cselect_b32 s0, -1, 0
	s_cmp_ngt_f32 s33, 0x42b17218
	s_cselect_b32 s1, -1, 0
	s_cmp_ge_f32 s33, 0xc1a00000
	s_cselect_b32 s2, -1, 0
	s_cmp_nlt_f32 s35, 0xc2ce8ed0
	s_cselect_b32 s3, -1, 0
	s_cmp_ngt_f32 s35, 0x42b17218
	s_cselect_b32 s4, -1, 0
	s_cmp_ge_f32 s35, 0xc1a00000
	s_cselect_b32 s5, -1, 0
	s_add_co_i32 s17, s41, s38
	s_wait_alu 0xfffe
	s_lshr_b32 s17, s17, s13
	s_wait_alu 0xfffe
	s_mul_i32 s21, s17, s14
	s_delay_alu instid0(SALU_CYCLE_1)
	s_cmp_eq_u32 s21, s38
	s_cselect_b32 s21, -1, 0
	s_cmp_lt_u32 s17, s12
	s_cselect_b32 s17, -1, 0
	s_wait_alu 0xfffe
	s_or_b32 s17, s17, s21
	s_mov_b32 s21, -1
	s_wait_alu 0xfffe
	s_and_b32 vcc_lo, exec_lo, s17
	s_mov_b32 s17, s34
	s_wait_alu 0xfffe
	s_cbranch_vccnz .LBB12_18
; %bb.17:                               ;   in Loop: Header=BB12_9 Depth=1
	s_add_co_i32 s17, s34, -1
	s_mov_b32 s21, 0
	s_mov_b32 s27, s38
.LBB12_18:                              ;   in Loop: Header=BB12_9 Depth=1
	v_lshl_add_u32 v6, s34, 11, v0
	s_mul_f32 s36, s35, 0x3fb8aa3b
	s_mul_f32 s38, s33, 0x3fb8aa3b
	s_wait_alu 0xfffe
	s_delay_alu instid0(SALU_CYCLE_1)
	s_xor_b32 s39, s36, 0x80000000
	v_ashrrev_i32_e32 v7, 31, v6
	s_rndne_f32 s40, s36
	s_fmamk_f32 s39, s35, 0x3fb8aa3b, s39
	s_xor_b32 s41, s38, 0x80000000
	s_rndne_f32 s42, s38
	v_lshlrev_b64_e32 v[6:7], 2, v[6:7]
	s_sub_f32 s36, s36, s40
	s_fmamk_f32 s35, s35, 0x32a5705f, s39
	s_fmamk_f32 s39, s33, 0x3fb8aa3b, s41
	s_sub_f32 s38, s38, s42
	s_delay_alu instid0(VALU_DEP_1)
	v_add_co_u32 v6, vcc_lo, s24, v6
	s_wait_alu 0xfffd
	v_add_co_ci_u32_e64 v7, null, s25, v7, vcc_lo
	s_wait_alu 0xfffe
	s_add_f32 s35, s36, s35
	s_fmamk_f32 s33, s33, 0x32a5705f, s39
	s_cvt_i32_f32 s36, s40
	global_load_b32 v6, v[6:7], off
	s_wait_alu 0xfffe
	v_s_exp_f32 s35, s35
	s_add_f32 s33, s38, s33
	s_wait_alu 0xfffe
	s_delay_alu instid0(SALU_CYCLE_2) | instskip(NEXT) | instid1(TRANS32_DEP_2)
	v_s_exp_f32 s33, s33
	v_ldexp_f32 v7, s35, s36
	s_cvt_i32_f32 s35, s42
	s_wait_alu 0xf1fe
	s_delay_alu instid0(TRANS32_DEP_1) | instid1(SALU_CYCLE_2)
	v_ldexp_f32 v8, s33, s35
	s_delay_alu instid0(VALU_DEP_2) | instskip(NEXT) | instid1(VALU_DEP_2)
	v_cndmask_b32_e64 v7, 0, v7, s3
	v_cndmask_b32_e64 v8, 0, v8, s0
	s_delay_alu instid0(VALU_DEP_2) | instskip(NEXT) | instid1(VALU_DEP_2)
	v_cndmask_b32_e64 v7, 0x7f800000, v7, s4
	v_cndmask_b32_e64 v8, 0x7f800000, v8, s1
	s_delay_alu instid0(VALU_DEP_2) | instskip(NEXT) | instid1(VALU_DEP_2)
	v_cndmask_b32_e64 v7, 0, v7, s5
	v_cndmask_b32_e64 v8, 0, v8, s2
	s_wait_loadcnt 0x0
	s_delay_alu instid0(VALU_DEP_2) | instskip(SKIP_1) | instid1(VALU_DEP_1)
	v_mul_f32_e32 v6, v6, v7
	v_mul_f32_e32 v7, s37, v7
	v_fmac_f32_e32 v7, v5, v8
	s_delay_alu instid0(VALU_DEP_3)
	v_fmac_f32_e32 v6, v3, v8
	s_cbranch_execnz .LBB12_15
.LBB12_19:                              ;   in Loop: Header=BB12_9 Depth=1
	s_wait_loadcnt 0x0
	v_dual_mov_b32 v7, v5 :: v_dual_mov_b32 v6, v3
	s_add_co_i32 s17, s34, -1
	s_mov_b32 s27, s20
	s_mov_b32 s9, s26
	s_cbranch_execz .LBB12_23
.LBB12_20:                              ;   in Loop: Header=BB12_9 Depth=1
	v_mov_b32_e32 v5, v7
	s_wait_loadcnt 0x0
	v_mov_b32_e32 v3, v6
	s_wait_alu 0xfffe
	s_mov_b32 s20, s27
	s_mov_b32 s34, s17
	;; [unrolled: 1-line block ×3, first 2 shown]
	s_branch .LBB12_9
.LBB12_21:
                                        ; implicit-def: $sgpr20_sgpr21
	s_branch .LBB12_2
.LBB12_22:
                                        ; implicit-def: $sgpr10_sgpr11
	s_load_b96 s[12:14], s[0:1], 0x44
	s_branch .LBB12_5
.LBB12_23:
	v_div_scale_f32 v0, null, v7, v7, v6
	s_wait_loadcnt 0x0
	s_delay_alu instid0(VALU_DEP_1) | instskip(NEXT) | instid1(TRANS32_DEP_1)
	v_rcp_f32_e32 v3, v0
	v_fma_f32 v4, -v0, v3, 1.0
	s_delay_alu instid0(VALU_DEP_1) | instskip(SKIP_1) | instid1(VALU_DEP_1)
	v_fmac_f32_e32 v3, v4, v3
	v_div_scale_f32 v4, vcc_lo, v6, v7, v6
	v_mul_f32_e32 v5, v4, v3
	s_delay_alu instid0(VALU_DEP_1) | instskip(NEXT) | instid1(VALU_DEP_1)
	v_fma_f32 v8, -v0, v5, v4
	v_fmac_f32_e32 v5, v8, v3
	s_delay_alu instid0(VALU_DEP_1) | instskip(SKIP_1) | instid1(VALU_DEP_1)
	v_fma_f32 v0, -v0, v5, v4
	s_wait_alu 0xfffd
	v_div_fmas_f32 v0, v0, v3, v5
	s_delay_alu instid0(VALU_DEP_1)
	v_div_fixup_f32 v0, v0, v7, v6
	global_store_b32 v[1:2], v0, off
.LBB12_24:
	s_endpgm
	.section	.rodata,"a",@progbits
	.p2align	6, 0x0
	.amdhsa_kernel _ZL33flash_attn_stream_k_fixup_generalILi128ELi2ELi8EEvPfPK15HIP_vector_typeIfLj2EEiiiiS1_IjLj3EES5_S5_S5_
		.amdhsa_group_segment_fixed_size 0
		.amdhsa_private_segment_fixed_size 0
		.amdhsa_kernarg_size 336
		.amdhsa_user_sgpr_count 2
		.amdhsa_user_sgpr_dispatch_ptr 0
		.amdhsa_user_sgpr_queue_ptr 0
		.amdhsa_user_sgpr_kernarg_segment_ptr 1
		.amdhsa_user_sgpr_dispatch_id 0
		.amdhsa_user_sgpr_private_segment_size 0
		.amdhsa_wavefront_size32 1
		.amdhsa_uses_dynamic_stack 0
		.amdhsa_enable_private_segment 0
		.amdhsa_system_sgpr_workgroup_id_x 1
		.amdhsa_system_sgpr_workgroup_id_y 1
		.amdhsa_system_sgpr_workgroup_id_z 1
		.amdhsa_system_sgpr_workgroup_info 0
		.amdhsa_system_vgpr_workitem_id 0
		.amdhsa_next_free_vgpr 9
		.amdhsa_next_free_sgpr 44
		.amdhsa_reserve_vcc 1
		.amdhsa_float_round_mode_32 0
		.amdhsa_float_round_mode_16_64 0
		.amdhsa_float_denorm_mode_32 3
		.amdhsa_float_denorm_mode_16_64 3
		.amdhsa_fp16_overflow 0
		.amdhsa_workgroup_processor_mode 1
		.amdhsa_memory_ordered 1
		.amdhsa_forward_progress 1
		.amdhsa_inst_pref_size 28
		.amdhsa_round_robin_scheduling 0
		.amdhsa_exception_fp_ieee_invalid_op 0
		.amdhsa_exception_fp_denorm_src 0
		.amdhsa_exception_fp_ieee_div_zero 0
		.amdhsa_exception_fp_ieee_overflow 0
		.amdhsa_exception_fp_ieee_underflow 0
		.amdhsa_exception_fp_ieee_inexact 0
		.amdhsa_exception_int_div_zero 0
	.end_amdhsa_kernel
	.section	.text._ZL33flash_attn_stream_k_fixup_generalILi128ELi2ELi8EEvPfPK15HIP_vector_typeIfLj2EEiiiiS1_IjLj3EES5_S5_S5_,"axG",@progbits,_ZL33flash_attn_stream_k_fixup_generalILi128ELi2ELi8EEvPfPK15HIP_vector_typeIfLj2EEiiiiS1_IjLj3EES5_S5_S5_,comdat
.Lfunc_end12:
	.size	_ZL33flash_attn_stream_k_fixup_generalILi128ELi2ELi8EEvPfPK15HIP_vector_typeIfLj2EEiiiiS1_IjLj3EES5_S5_S5_, .Lfunc_end12-_ZL33flash_attn_stream_k_fixup_generalILi128ELi2ELi8EEvPfPK15HIP_vector_typeIfLj2EEiiiiS1_IjLj3EES5_S5_S5_
                                        ; -- End function
	.set _ZL33flash_attn_stream_k_fixup_generalILi128ELi2ELi8EEvPfPK15HIP_vector_typeIfLj2EEiiiiS1_IjLj3EES5_S5_S5_.num_vgpr, 9
	.set _ZL33flash_attn_stream_k_fixup_generalILi128ELi2ELi8EEvPfPK15HIP_vector_typeIfLj2EEiiiiS1_IjLj3EES5_S5_S5_.num_agpr, 0
	.set _ZL33flash_attn_stream_k_fixup_generalILi128ELi2ELi8EEvPfPK15HIP_vector_typeIfLj2EEiiiiS1_IjLj3EES5_S5_S5_.numbered_sgpr, 44
	.set _ZL33flash_attn_stream_k_fixup_generalILi128ELi2ELi8EEvPfPK15HIP_vector_typeIfLj2EEiiiiS1_IjLj3EES5_S5_S5_.num_named_barrier, 0
	.set _ZL33flash_attn_stream_k_fixup_generalILi128ELi2ELi8EEvPfPK15HIP_vector_typeIfLj2EEiiiiS1_IjLj3EES5_S5_S5_.private_seg_size, 0
	.set _ZL33flash_attn_stream_k_fixup_generalILi128ELi2ELi8EEvPfPK15HIP_vector_typeIfLj2EEiiiiS1_IjLj3EES5_S5_S5_.uses_vcc, 1
	.set _ZL33flash_attn_stream_k_fixup_generalILi128ELi2ELi8EEvPfPK15HIP_vector_typeIfLj2EEiiiiS1_IjLj3EES5_S5_S5_.uses_flat_scratch, 0
	.set _ZL33flash_attn_stream_k_fixup_generalILi128ELi2ELi8EEvPfPK15HIP_vector_typeIfLj2EEiiiiS1_IjLj3EES5_S5_S5_.has_dyn_sized_stack, 0
	.set _ZL33flash_attn_stream_k_fixup_generalILi128ELi2ELi8EEvPfPK15HIP_vector_typeIfLj2EEiiiiS1_IjLj3EES5_S5_S5_.has_recursion, 0
	.set _ZL33flash_attn_stream_k_fixup_generalILi128ELi2ELi8EEvPfPK15HIP_vector_typeIfLj2EEiiiiS1_IjLj3EES5_S5_S5_.has_indirect_call, 0
	.section	.AMDGPU.csdata,"",@progbits
; Kernel info:
; codeLenInByte = 3548
; TotalNumSgprs: 46
; NumVgprs: 9
; ScratchSize: 0
; MemoryBound: 0
; FloatMode: 240
; IeeeMode: 1
; LDSByteSize: 0 bytes/workgroup (compile time only)
; SGPRBlocks: 0
; VGPRBlocks: 1
; NumSGPRsForWavesPerEU: 46
; NumVGPRsForWavesPerEU: 9
; Occupancy: 16
; WaveLimiterHint : 0
; COMPUTE_PGM_RSRC2:SCRATCH_EN: 0
; COMPUTE_PGM_RSRC2:USER_SGPR: 2
; COMPUTE_PGM_RSRC2:TRAP_HANDLER: 0
; COMPUTE_PGM_RSRC2:TGID_X_EN: 1
; COMPUTE_PGM_RSRC2:TGID_Y_EN: 1
; COMPUTE_PGM_RSRC2:TGID_Z_EN: 1
; COMPUTE_PGM_RSRC2:TIDIG_COMP_CNT: 0
	.section	.text._ZL15flash_attn_tileILi128ELi128ELi1ELi8ELb0EEvPKcS1_S1_S1_S1_PKiPfP15HIP_vector_typeIfLj2EEffffjfiS5_IjLj3EEiiiiiiiiiiiliiliiiiil,"axG",@progbits,_ZL15flash_attn_tileILi128ELi128ELi1ELi8ELb0EEvPKcS1_S1_S1_S1_PKiPfP15HIP_vector_typeIfLj2EEffffjfiS5_IjLj3EEiiiiiiiiiiiliiliiiiil,comdat
	.globl	_ZL15flash_attn_tileILi128ELi128ELi1ELi8ELb0EEvPKcS1_S1_S1_S1_PKiPfP15HIP_vector_typeIfLj2EEffffjfiS5_IjLj3EEiiiiiiiiiiiliiliiiiil ; -- Begin function _ZL15flash_attn_tileILi128ELi128ELi1ELi8ELb0EEvPKcS1_S1_S1_S1_PKiPfP15HIP_vector_typeIfLj2EEffffjfiS5_IjLj3EEiiiiiiiiiiiliiliiiiil
	.p2align	8
	.type	_ZL15flash_attn_tileILi128ELi128ELi1ELi8ELb0EEvPKcS1_S1_S1_S1_PKiPfP15HIP_vector_typeIfLj2EEffffjfiS5_IjLj3EEiiiiiiiiiiiliiliiiiil,@function
_ZL15flash_attn_tileILi128ELi128ELi1ELi8ELb0EEvPKcS1_S1_S1_S1_PKiPfP15HIP_vector_typeIfLj2EEffffjfiS5_IjLj3EEiiiiiiiiiiiliiliiiiil: ; @_ZL15flash_attn_tileILi128ELi128ELi1ELi8ELb0EEvPKcS1_S1_S1_S1_PKiPfP15HIP_vector_typeIfLj2EEffffjfiS5_IjLj3EEiiiiiiiiiiiliiliiiiil
; %bb.0:
	s_clause 0x1
	s_load_b128 s[24:27], s[0:1], 0x5c
	s_load_b64 s[30:31], s[0:1], 0x80
	s_lshr_b32 s5, ttmp7, 16
	s_clause 0x1
	s_load_b512 s[8:23], s[0:1], 0x0
	s_load_b64 s[36:37], s[0:1], 0xb8
	s_mov_b64 s[34:35], 0
	s_wait_kmcnt 0x0
	s_ashr_i32 s2, s27, 31
	s_delay_alu instid0(SALU_CYCLE_1) | instskip(NEXT) | instid1(SALU_CYCLE_1)
	s_lshr_b32 s2, s2, 29
	s_add_co_i32 s2, s27, s2
	s_delay_alu instid0(SALU_CYCLE_1) | instskip(NEXT) | instid1(SALU_CYCLE_1)
	s_ashr_i32 s2, s2, 3
	s_cvt_f32_u32 s3, s2
	s_sub_co_i32 s4, 0, s2
	s_delay_alu instid0(SALU_CYCLE_2) | instskip(NEXT) | instid1(TRANS32_DEP_1)
	v_rcp_iflag_f32_e32 v1, s3
	v_readfirstlane_b32 s3, v1
	s_mul_f32 s3, s3, 0x4f7ffffe
	s_wait_alu 0xfffe
	s_delay_alu instid0(SALU_CYCLE_2) | instskip(SKIP_1) | instid1(SALU_CYCLE_2)
	s_cvt_u32_f32 s3, s3
	s_wait_alu 0xfffe
	s_mul_i32 s4, s4, s3
	s_delay_alu instid0(SALU_CYCLE_1) | instskip(NEXT) | instid1(SALU_CYCLE_1)
	s_mul_hi_u32 s4, s3, s4
	s_add_co_i32 s3, s3, s4
	s_wait_alu 0xfffe
	s_mul_hi_u32 s3, s5, s3
	s_wait_alu 0xfffe
	s_mul_i32 s4, s3, s2
	s_add_co_i32 s6, s3, 1
	s_sub_co_i32 s4, s5, s4
	s_delay_alu instid0(SALU_CYCLE_1)
	s_sub_co_i32 s7, s4, s2
	s_cmp_ge_u32 s4, s2
	s_cselect_b32 s3, s6, s3
	s_cselect_b32 s4, s7, s4
	s_wait_alu 0xfffe
	s_add_co_i32 s6, s3, 1
	s_cmp_ge_u32 s4, s2
	s_cselect_b32 s28, s6, s3
	s_abs_i32 s2, s31
	s_abs_i32 s7, s27
	s_wait_alu 0xfffe
	s_cvt_f32_u32 s3, s2
	s_sub_co_i32 s4, 0, s2
	s_lshl_b32 s5, s5, 3
	s_mul_i32 s6, s28, s27
	s_wait_alu 0xfffe
	v_rcp_iflag_f32_e32 v1, s3
	s_sub_co_i32 s33, s5, s6
	s_delay_alu instid0(TRANS32_DEP_1) | instskip(SKIP_2) | instid1(SALU_CYCLE_2)
	v_readfirstlane_b32 s3, v1
	s_mul_f32 s3, s3, 0x4f7ffffe
	s_wait_alu 0xfffe
	s_cvt_u32_f32 s3, s3
	s_wait_alu 0xfffe
	s_delay_alu instid0(SALU_CYCLE_2) | instskip(NEXT) | instid1(SALU_CYCLE_1)
	s_mul_i32 s4, s4, s3
	s_mul_hi_u32 s4, s3, s4
	s_delay_alu instid0(SALU_CYCLE_1)
	s_add_co_i32 s3, s3, s4
	s_xor_b32 s4, s27, s31
	s_wait_alu 0xfffe
	s_mul_hi_u32 s3, s7, s3
	s_ashr_i32 s4, s4, 31
	s_wait_alu 0xfffe
	s_mul_i32 s5, s3, s2
	s_add_co_i32 s6, s3, 1
	s_sub_co_i32 s5, s7, s5
	s_delay_alu instid0(SALU_CYCLE_1)
	s_sub_co_i32 s7, s5, s2
	s_cmp_ge_u32 s5, s2
	s_cselect_b32 s3, s6, s3
	s_cselect_b32 s5, s7, s5
	s_wait_alu 0xfffe
	s_add_co_i32 s6, s3, 1
	s_cmp_ge_u32 s5, s2
	s_cselect_b32 s2, s6, s3
	s_mov_b32 s3, 0
	s_wait_alu 0xfffe
	s_xor_b32 s2, s2, s4
	s_wait_alu 0xfffe
	s_sub_co_i32 s38, s2, s4
	s_delay_alu instid0(SALU_CYCLE_1) | instskip(SKIP_3) | instid1(SALU_CYCLE_2)
	s_abs_i32 s31, s38
	s_cmp_eq_u64 s[14:15], 0
	s_cvt_f32_u32 s2, s31
	s_wait_alu 0xfffe
	v_rcp_iflag_f32_e32 v1, s2
	s_delay_alu instid0(TRANS32_DEP_1)
	v_readfirstlane_b32 s2, v1
	s_cbranch_scc1 .LBB13_2
; %bb.1:
	s_abs_i32 s6, s36
	s_delay_alu instid0(SALU_CYCLE_1) | instskip(NEXT) | instid1(SALU_CYCLE_3)
	s_cvt_f32_u32 s4, s6
	v_rcp_iflag_f32_e32 v1, s4
	s_delay_alu instid0(TRANS32_DEP_1) | instskip(SKIP_2) | instid1(SALU_CYCLE_2)
	v_readfirstlane_b32 s4, v1
	s_mul_f32 s4, s4, 0x4f7ffffe
	s_wait_alu 0xfffe
	s_cvt_u32_f32 s7, s4
	s_sub_co_i32 s4, 0, s6
	s_wait_alu 0xfffe
	s_delay_alu instid0(SALU_CYCLE_1) | instskip(SKIP_4) | instid1(SALU_CYCLE_1)
	s_mul_i32 s4, s4, s7
	s_wait_alu 0xfffe
	s_mul_hi_u32 s29, s7, s4
	s_load_b64 s[4:5], s[0:1], 0xc8
	s_add_co_i32 s7, s7, s29
	s_mul_hi_u32 s7, s28, s7
	s_delay_alu instid0(SALU_CYCLE_1) | instskip(NEXT) | instid1(SALU_CYCLE_1)
	s_mul_i32 s7, s7, s6
	s_sub_co_i32 s7, s28, s7
	s_delay_alu instid0(SALU_CYCLE_1) | instskip(SKIP_2) | instid1(SALU_CYCLE_1)
	s_sub_co_i32 s29, s7, s6
	s_cmp_ge_u32 s7, s6
	s_cselect_b32 s7, s29, s7
	s_sub_co_i32 s29, s7, s6
	s_cmp_ge_u32 s7, s6
	s_cselect_b32 s6, s29, s7
	s_delay_alu instid0(SALU_CYCLE_1)
	s_ashr_i32 s7, s6, 31
	s_wait_kmcnt 0x0
	s_mul_u64 s[4:5], s[4:5], s[6:7]
	s_wait_alu 0xfffe
	s_add_nc_u64 s[34:35], s[14:15], s[4:5]
.LBB13_2:
	v_lshrrev_b32_e32 v1, 10, v0
	s_load_b96 s[4:6], s[0:1], 0x70
	v_and_b32_e32 v37, 0x3ff, v0
	s_delay_alu instid0(VALU_DEP_2) | instskip(NEXT) | instid1(VALU_DEP_2)
	v_bfe_u32 v1, v1, 2, 8
	v_lshlrev_b32_e32 v59, 3, v37
	s_delay_alu instid0(VALU_DEP_2) | instskip(NEXT) | instid1(VALU_DEP_1)
	v_add_nc_u32_e32 v36, ttmp9, v1
	v_mul_hi_u32 v1, s24, v36
	s_wait_kmcnt 0x0
	s_mul_i32 s14, s33, s5
	s_mov_b32 s24, s5
	s_delay_alu instid0(VALU_DEP_1) | instskip(SKIP_1) | instid1(VALU_DEP_1)
	v_add_nc_u32_e32 v1, v36, v1
	s_ashr_i32 s15, s14, 31
	v_lshrrev_b32_e32 v2, s25, v1
	v_bfe_u32 v1, v0, 10, 10
	s_ashr_i32 s25, s5, 31
	s_ashr_i32 s5, s4, 31
	s_wait_alu 0xfffe
	s_lshr_b64 s[40:41], s[4:5], 2
	v_mul_lo_u32 v2, v2, s26
	v_lshlrev_b32_e32 v3, 1, v1
	s_lshr_b32 s4, s5, 2
	s_lshr_b32 s5, s25, 2
	s_delay_alu instid0(VALU_DEP_1) | instskip(SKIP_1) | instid1(VALU_DEP_4)
	v_and_b32_e32 v58, 6, v3
	v_or_b32_e32 v13, 1, v3
	v_sub_nc_u32_e32 v2, v36, v2
	s_delay_alu instid0(VALU_DEP_1) | instskip(SKIP_3) | instid1(VALU_DEP_1)
	v_mad_co_u64_u32 v[4:5], null, s40, v2, 0
	s_lshr_b64 s[40:41], s[24:25], 2
	s_wait_alu 0xfffe
	v_mad_co_u64_u32 v[6:7], null, s40, v58, 0
	v_mad_co_u64_u32 v[10:11], null, s4, v2, v[5:6]
	s_delay_alu instid0(VALU_DEP_2) | instskip(SKIP_1) | instid1(VALU_DEP_2)
	v_mov_b32_e32 v0, v7
	s_mul_i32 s4, s28, s6
	v_mov_b32_e32 v5, v10
	s_delay_alu instid0(VALU_DEP_2) | instskip(SKIP_2) | instid1(VALU_DEP_4)
	v_mad_co_u64_u32 v[11:12], null, s5, v58, v[0:1]
	v_and_b32_e32 v14, 7, v13
	v_lshlrev_b32_e32 v0, 4, v37
	v_lshlrev_b64_e32 v[4:5], 2, v[4:5]
	v_add_nc_u32_e32 v12, 0x2400, v59
	s_delay_alu instid0(VALU_DEP_4) | instskip(NEXT) | instid1(VALU_DEP_1)
	v_mad_co_u64_u32 v[8:9], null, s40, v14, 0
	v_mov_b32_e32 v7, v9
	s_delay_alu instid0(VALU_DEP_1)
	v_mad_co_u64_u32 v[9:10], null, s5, v14, v[7:8]
	s_wait_alu 0xfffe
	s_ashr_i32 s5, s4, 31
	v_mov_b32_e32 v7, v11
	s_wait_alu 0xfffe
	s_add_nc_u64 s[4:5], s[8:9], s[4:5]
	s_cmp_eq_u64 s[18:19], 0
	s_wait_alu 0xfffe
	s_add_nc_u64 s[4:5], s[4:5], s[14:15]
	s_wait_alu 0xfffe
	v_add_co_u32 v10, vcc_lo, s4, v4
	s_delay_alu instid0(VALU_DEP_1) | instskip(SKIP_1) | instid1(VALU_DEP_3)
	v_add_co_ci_u32_e64 v11, null, s5, v5, vcc_lo
	v_lshlrev_b64_e32 v[4:5], 2, v[6:7]
	v_add_co_u32 v0, vcc_lo, v10, v0
	v_lshlrev_b64_e32 v[6:7], 2, v[8:9]
	s_wait_alu 0xfffd
	v_add_co_ci_u32_e64 v10, null, 0, v11, vcc_lo
	s_delay_alu instid0(VALU_DEP_3)
	v_add_co_u32 v4, vcc_lo, v0, v4
	s_load_b32 s4, s[0:1], 0x40
	v_add_co_ci_u32_e64 v5, null, v10, v5, vcc_lo
	v_add_co_u32 v8, vcc_lo, v0, v6
	s_wait_alu 0xfffd
	v_add_co_ci_u32_e64 v9, null, v10, v7, vcc_lo
	s_clause 0x1
	global_load_b128 v[4:7], v[4:5], off
	global_load_b128 v[8:11], v[8:9], off
	v_lshlrev_b32_e32 v0, 9, v1
	s_delay_alu instid0(VALU_DEP_1)
	v_add_nc_u32_e32 v14, v12, v0
	s_wait_loadcnt 0x1
	s_wait_kmcnt 0x0
	v_fma_mixlo_f16 v4, s4, v4, 0
	v_fma_mixlo_f16 v5, s4, v5, 0
	s_wait_loadcnt 0x0
	v_fma_mixlo_f16 v8, s4, v8, 0
	v_fma_mixlo_f16 v9, s4, v9, 0
	;; [unrolled: 1-line block ×4, first 2 shown]
	v_lshlrev_b32_e32 v5, 16, v5
	v_and_b32_e32 v4, 0xffff, v4
	v_fma_mixlo_f16 v10, s4, v10, 0
	v_fma_mixlo_f16 v11, s4, v11, 0
	v_lshlrev_b32_e32 v9, 16, v9
	v_and_b32_e32 v8, 0xffff, v8
	v_lshlrev_b32_e32 v7, 16, v7
	v_and_b32_e32 v6, 0xffff, v6
	v_or_b32_e32 v4, v5, v4
	v_lshlrev_b32_e32 v11, 16, v11
	v_and_b32_e32 v10, 0xffff, v10
	v_or_b32_e32 v8, v9, v8
	v_or3_b32 v5, v7, v6, 0
	v_or3_b32 v4, 0, 0, v4
	v_lshl_add_u32 v9, v13, 8, v12
	v_or3_b32 v7, v11, v10, 0
	v_or3_b32 v6, 0, 0, v8
	ds_store_b64 v14, v[4:5]
	ds_store_b64 v9, v[6:7]
	s_wait_dscnt 0x0
	s_barrier_signal -1
	s_barrier_wait -1
	global_inv scope:SCOPE_SE
	s_cbranch_scc1 .LBB13_4
; %bb.3:
	s_load_b32 s4, s[0:1], 0xd0
	s_mov_b32 s5, 0
	s_wait_kmcnt 0x0
	s_mul_i32 s4, s4, s28
	s_wait_alu 0xfffe
	s_add_co_i32 s4, s4, ttmp9
	s_wait_alu 0xfffe
	s_lshl_b64 s[4:5], s[4:5], 2
	s_wait_alu 0xfffe
	s_add_nc_u64 s[4:5], s[18:19], s[4:5]
	s_load_b32 s30, s[4:5], 0x0
.LBB13_4:
	s_and_b32 s14, ttmp7, 0xffff
	v_mbcnt_lo_u32_b32 v60, -1, 0
	s_lshl_b32 s18, s14, 6
	s_wait_kmcnt 0x0
	s_cmp_lt_i32 s18, s30
	s_cbranch_scc1 .LBB13_7
; %bb.5:
	v_mbcnt_lo_u32_b32 v5, -1, 0
	v_mov_b32_e32 v4, 32
	s_delay_alu instid0(VALU_DEP_2)
	v_xor_b32_e32 v65, 16, v5
	v_xor_b32_e32 v64, 8, v5
	;; [unrolled: 1-line block ×5, first 2 shown]
	v_lshlrev_b32_e32 v57, 2, v37
	s_mov_b32 s29, 0
	s_cbranch_execz .LBB13_8
; %bb.6:
	v_dual_mov_b32 v10, 0 :: v_dual_mov_b32 v83, 0
	v_dual_mov_b32 v56, 0xfeffffff :: v_dual_mov_b32 v55, 0xfeffffff
	;; [unrolled: 1-line block ×4, first 2 shown]
	s_branch .LBB13_11
.LBB13_7:
                                        ; implicit-def: $vgpr5
                                        ; implicit-def: $vgpr4
                                        ; implicit-def: $vgpr65
                                        ; implicit-def: $vgpr64
                                        ; implicit-def: $vgpr63
                                        ; implicit-def: $vgpr62
                                        ; implicit-def: $vgpr61
	v_lshlrev_b32_e32 v57, 2, v37
	s_mov_b32 s29, 0
.LBB13_8:
	s_mul_f32 s2, s2, 0x4f7ffffe
	s_clause 0x1
	s_load_b128 s[4:7], s[0:1], 0x98
	s_load_b64 s[8:9], s[0:1], 0x8c
	s_sub_co_i32 s19, 0, s31
	s_mov_b32 s25, s3
	s_cvt_u32_f32 s15, s2
	s_abs_i32 s2, s33
	s_ashr_i32 s36, s33, 31
	s_ashr_i32 s40, s38, 31
	s_mul_i32 s19, s19, s15
	s_load_b64 s[38:39], s[0:1], 0xa8
	s_mul_hi_u32 s19, s15, s19
	v_lshrrev_b32_e32 v4, 3, v37
	s_add_co_i32 s24, s15, s19
	s_ashr_i32 s15, s37, 1
	s_wait_alu 0xfffe
	s_mul_u64 s[24:25], s[2:3], s[24:25]
	s_xor_b32 s19, s36, s40
	s_wait_alu 0xfffe
	s_mul_i32 s3, s25, s31
	s_add_co_i32 s37, s25, 1
	s_wait_alu 0xfffe
	s_sub_co_i32 s2, s2, s3
	v_lshl_add_u32 v5, v1, 2, v4
	s_wait_kmcnt 0x0
	s_ashr_i32 s24, s6, 2
	s_ashr_i32 s36, s8, 2
	s_wait_alu 0xfffe
	s_sub_co_i32 s3, s2, s31
	s_cmp_ge_u32 s2, s31
	v_dual_mov_b32 v8, 0 :: v_dual_and_b32 v17, 28, v57
	s_cselect_b32 s6, s37, s25
	s_wait_alu 0xfffe
	s_cselect_b32 s2, s3, s2
	s_add_co_i32 s8, s6, 1
	s_wait_alu 0xfffe
	s_cmp_ge_u32 s2, s31
	v_mul_lo_u32 v4, s36, v5
	s_cselect_b32 s6, s8, s6
	s_mul_u64 s[2:3], s[4:5], s[28:29]
	s_xor_b32 s6, s6, s19
	v_dual_mov_b32 v55, 0xfeffffff :: v_dual_lshlrev_b32 v6, 2, v17
	s_sub_co_i32 s8, s6, s19
	s_wait_alu 0xfffe
	s_add_nc_u64 s[2:3], s[10:11], s[2:3]
	s_mul_i32 s6, s8, s9
	s_mul_i32 s8, s8, s7
	s_ashr_i32 s7, s6, 31
	s_mul_u64 s[4:5], s[38:39], s[28:29]
	s_wait_alu 0xfffe
	s_add_nc_u64 s[38:39], s[2:3], s[6:7]
	s_lshl_b32 s2, s36, 4
	v_mad_u32_u24 v66, 0x90, v5, v6
	s_wait_alu 0xfffe
	v_add_nc_u32_e32 v6, s2, v4
	v_lshrrev_b32_e32 v7, 4, v37
	v_mov_b32_e32 v56, 0xfeffffff
	v_dual_mov_b32 v83, 0 :: v_dual_and_b32 v18, 60, v57
	s_delay_alu instid0(VALU_DEP_4) | instskip(NEXT) | instid1(VALU_DEP_4)
	v_add_nc_u32_e32 v9, s2, v6
	v_add_nc_u32_e32 v3, v7, v3
	v_add_nc_u32_e32 v70, 0x2400, v0
	s_delay_alu instid0(VALU_DEP_4)
	v_lshlrev_b32_e32 v12, 2, v18
	v_mad_co_u64_u32 v[38:39], null, v2, s15, v[37:38]
	v_ashrrev_i32_e32 v10, 31, v9
	v_add_nc_u32_e32 v13, s2, v9
	s_lshl_b32 s2, s24, 3
	v_ashrrev_i32_e32 v5, 31, v4
	v_lshl_add_u32 v73, v1, 8, 0x2c00
	v_lshlrev_b64_e32 v[43:44], 2, v[9:10]
	v_mov_b32_e32 v10, 0
	v_mul_lo_u32 v11, s24, v3
	v_ashrrev_i32_e32 v14, 31, v13
	v_lshl_or_b32 v72, v3, 8, v12
	v_mov_b32_e32 v9, 0
	v_ashrrev_i32_e32 v7, 31, v6
	v_lshlrev_b64_e32 v[39:40], 2, v[4:5]
	v_lshlrev_b64_e32 v[45:46], 2, v[13:14]
	v_dual_mov_b32 v84, 0 :: v_dual_add_nc_u32 v67, 0x900, v66
	s_wait_alu 0xfffe
	v_add_nc_u32_e32 v15, s2, v11
	v_ashrrev_i32_e32 v12, 31, v11
	v_lshlrev_b64_e32 v[41:42], 2, v[6:7]
	v_add_nc_u32_e32 v68, 0x1200, v66
	v_add_nc_u32_e32 v69, 0x1b00, v66
	;; [unrolled: 1-line block ×3, first 2 shown]
	v_ashrrev_i32_e32 v16, 31, v15
	v_lshlrev_b64_e32 v[47:48], 2, v[11:12]
	v_mul_u32_u24_e32 v71, 0x90, v37
	v_add_nc_u32_e32 v74, 0x800, v72
	v_add_nc_u32_e32 v2, s2, v0
	v_ashrrev_i32_e32 v1, 31, v0
	v_lshlrev_b64_e32 v[49:50], 2, v[15:16]
	v_add_nc_u32_e32 v75, 0x1000, v72
	v_add_nc_u32_e32 v76, 0x1800, v72
	v_ashrrev_i32_e32 v3, 31, v2
	v_lshlrev_b64_e32 v[51:52], 2, v[0:1]
	v_lshlrev_b32_e32 v77, 2, v17
	v_xor_b32_e32 v65, 16, v60
	v_xor_b32_e32 v64, 8, v60
	v_lshlrev_b64_e32 v[53:54], 2, v[2:3]
	v_xor_b32_e32 v63, 4, v60
	v_xor_b32_e32 v62, 2, v60
	;; [unrolled: 1-line block ×3, first 2 shown]
	v_add_nc_u32_e32 v78, v73, v57
	v_lshlrev_b32_e32 v79, 2, v18
	v_add_nc_u32_e32 v80, 0x800, v59
	v_add_nc_u32_e32 v81, 0x1000, v59
	v_dual_mov_b32 v11, 0 :: v_dual_add_nc_u32 v82, 0x1800, v59
	s_add_nc_u64 s[4:5], s[12:13], s[4:5]
	s_ashr_i32 s9, s8, 31
	s_ashr_i32 s37, s36, 31
	s_wait_alu 0xfffe
	s_add_nc_u64 s[40:41], s[4:5], s[8:9]
	s_ashr_i32 s25, s24, 31
	s_add_nc_u64 s[42:43], s[0:1], 0xd0
.LBB13_9:                               ; =>This Inner Loop Header: Depth=1
	v_cmp_gt_i32_e32 vcc_lo, 32, v65
	v_cmp_gt_i32_e64 s2, 32, v64
	v_cmp_gt_i32_e64 s3, 32, v63
	s_ashr_i32 s19, s18, 31
	v_cmp_gt_i32_e64 s4, 32, v62
	s_or_b32 s6, s18, 32
	s_wait_alu 0xfffe
	s_mul_u64 s[8:9], s[18:19], s[36:37]
	v_cmp_gt_i32_e64 s5, 32, v61
	s_ashr_i32 s7, s6, 31
	v_cndmask_b32_e64 v3, v60, v64, s2
	s_wait_alu 0xfffd
	v_cndmask_b32_e32 v2, v60, v65, vcc_lo
	v_add_nc_u32_e32 v0, s18, v38
	v_cndmask_b32_e64 v4, v60, v63, s3
	s_wait_alu 0xfffe
	s_lshl_b64 s[2:3], s[8:9], 2
	s_mul_u64 s[6:7], s[6:7], s[24:25]
	v_cndmask_b32_e64 v5, v60, v62, s4
	s_wait_alu 0xfffe
	s_add_nc_u64 s[8:9], s[38:39], s[2:3]
	s_mul_u64 s[10:11], s[18:19], s[24:25]
	s_lshl_b64 s[12:13], s[6:7], 2
	v_cndmask_b32_e64 v6, v60, v61, s5
	v_lshlrev_b32_e32 v23, 2, v3
	v_lshlrev_b32_e32 v24, 2, v2
	s_wait_alu 0xfffe
	v_add_co_u32 v2, vcc_lo, s8, v39
	v_ashrrev_i32_e32 v1, 31, v0
	s_lshl_b64 s[4:5], s[10:11], 2
	v_add_co_u32 v3, s2, s8, v41
	s_add_nc_u64 s[12:13], s[40:41], s[12:13]
	v_lshlrev_b32_e32 v22, 2, v4
	v_add_co_u32 v4, s3, s8, v43
	s_wait_alu 0xfffd
	v_add_co_ci_u32_e64 v27, null, s9, v40, vcc_lo
	v_dual_mov_b32 v12, v84 :: v_dual_mov_b32 v13, v56
	s_wait_alu 0xfffe
	s_add_nc_u64 s[10:11], s[40:41], s[4:5]
	v_lshlrev_b32_e32 v21, 2, v5
	v_add_co_u32 v5, s4, s8, v45
	v_add_co_ci_u32_e64 v28, null, s9, v42, s2
	v_add_co_u32 v84, vcc_lo, s12, v47
	v_add_co_ci_u32_e64 v29, null, s9, v44, s3
	v_add_co_u32 v85, s2, s12, v49
	v_lshlrev_b32_e32 v20, 2, v6
	s_wait_alu 0xfffe
	v_add_co_u32 v6, s5, s10, v47
	v_add_co_u32 v7, s6, s10, v49
	;; [unrolled: 1-line block ×3, first 2 shown]
	s_wait_alu 0xf1ff
	v_add_co_ci_u32_e64 v30, null, s9, v46, s4
	v_add_co_u32 v86, s3, s12, v51
	s_wait_alu 0xfffd
	v_add_co_ci_u32_e64 v88, null, s13, v48, vcc_lo
	v_add_co_u32 v33, vcc_lo, v2, v77
	v_dual_mov_b32 v14, v55 :: v_dual_mov_b32 v15, 0
	v_lshlrev_b64_e32 v[0:1], 1, v[0:1]
	v_add_co_u32 v87, s4, s12, v53
	v_add_co_ci_u32_e64 v89, null, s13, v50, s2
	v_add_co_u32 v55, s2, v3, v77
	v_dual_mov_b32 v18, 0 :: v_dual_mov_b32 v19, v83
	v_add_co_u32 v25, s7, s10, v51
	v_add_co_ci_u32_e64 v31, null, s11, v48, s5
	v_add_co_ci_u32_e64 v32, null, s11, v50, s6
	;; [unrolled: 1-line block ×3, first 2 shown]
	s_wait_alu 0xf1ff
	v_add_co_ci_u32_e64 v90, null, s13, v52, s3
	v_add_co_u32 v91, s3, v4, v77
	s_wait_alu 0xfffd
	v_add_co_ci_u32_e64 v34, null, 0, v27, vcc_lo
	v_add_co_ci_u32_e64 v105, null, s13, v54, s4
	v_add_co_u32 v93, s4, v5, v77
	v_add_co_ci_u32_e64 v56, null, 0, v28, s2
	s_wait_alu 0xf1ff
	v_add_co_ci_u32_e64 v92, null, 0, v29, s3
	v_add_co_ci_u32_e64 v35, null, s11, v52, s7
	v_add_co_u32 v97, s6, v6, v79
	v_add_co_u32 v99, s7, v7, v79
	;; [unrolled: 1-line block ×3, first 2 shown]
	v_add_co_ci_u32_e64 v94, null, 0, v30, s4
	v_add_co_u32 v6, vcc_lo, v84, v79
	v_add_co_u32 v4, s2, v85, v79
	v_add_co_u32 v2, s3, v86, v79
	;; [unrolled: 1-line block ×4, first 2 shown]
	s_wait_alu 0xf1ff
	v_add_co_ci_u32_e64 v98, null, 0, v31, s6
	v_add_co_ci_u32_e64 v100, null, 0, v32, s7
	;; [unrolled: 1-line block ×3, first 2 shown]
	v_add_co_u32 v0, s4, v87, v79
	s_wait_alu 0xfffd
	v_add_co_ci_u32_e64 v7, null, 0, v88, vcc_lo
	v_add_co_ci_u32_e64 v5, null, 0, v89, s2
	v_add_co_ci_u32_e64 v3, null, 0, v90, s3
	s_clause 0x3
	global_load_b128 v[25:28], v[33:34], off
	global_load_b128 v[29:32], v[55:56], off
	;; [unrolled: 1-line block ×4, first 2 shown]
	v_dual_mov_b32 v16, 0 :: v_dual_mov_b32 v17, 0
	v_add_co_ci_u32_e64 v96, null, s35, v1, s5
	v_add_co_ci_u32_e64 v102, null, 0, v35, s8
	s_wait_alu 0xf1ff
	v_add_co_ci_u32_e64 v1, null, 0, v105, s4
	s_wait_loadcnt 0x3
	ds_store_b128 v66, v[25:28]
	s_wait_loadcnt 0x2
	ds_store_b128 v67, v[29:32]
	;; [unrolled: 2-line block ×4, first 2 shown]
	s_wait_dscnt 0x0
	s_barrier_signal -1
	s_barrier_wait -1
	global_inv scope:SCOPE_SE
	ds_load_b128 v[25:28], v71
	ds_load_b128 v[29:32], v70
	ds_load_b128 v[83:86], v70 offset:256
	ds_load_b128 v[87:90], v71 offset:4608
	s_wait_dscnt 0x2
	;;#ASMSTART
	v_dot2_f32_f16 v15, v25, v29, v15
	;;#ASMEND
	;;#ASMSTART
	v_dot2_f32_f16 v15, v26, v30, v15
	;;#ASMEND
	;;#ASMSTART
	v_dot2_f32_f16 v15, v27, v31, v15
	;;#ASMEND
	;;#ASMSTART
	v_dot2_f32_f16 v15, v28, v32, v15
	;;#ASMEND
	s_wait_dscnt 0x1
	;;#ASMSTART
	v_dot2_f32_f16 v16, v25, v83, v16
	;;#ASMEND
	;;#ASMSTART
	v_dot2_f32_f16 v16, v26, v84, v16
	;;#ASMEND
	;;#ASMSTART
	v_dot2_f32_f16 v16, v27, v85, v16
	;;#ASMEND
	;;#ASMSTART
	v_dot2_f32_f16 v16, v28, v86, v16
	;;#ASMEND
	s_wait_dscnt 0x0
	;;#ASMSTART
	v_dot2_f32_f16 v17, v87, v29, v17
	;;#ASMEND
	;;#ASMSTART
	v_dot2_f32_f16 v17, v88, v30, v17
	;;#ASMEND
	;;#ASMSTART
	v_dot2_f32_f16 v17, v89, v31, v17
	;;#ASMEND
	;;#ASMSTART
	v_dot2_f32_f16 v17, v90, v32, v17
	;;#ASMEND
	;;#ASMSTART
	v_dot2_f32_f16 v18, v87, v83, v18
	;;#ASMEND
	;;#ASMSTART
	v_dot2_f32_f16 v18, v88, v84, v18
	;;#ASMEND
	;;#ASMSTART
	v_dot2_f32_f16 v18, v89, v85, v18
	;;#ASMEND
	;;#ASMSTART
	v_dot2_f32_f16 v18, v90, v86, v18
	;;#ASMEND
	ds_load_b128 v[25:28], v71 offset:16
	ds_load_b128 v[29:32], v70 offset:16
	ds_load_b128 v[83:86], v70 offset:272
	ds_load_b128 v[87:90], v71 offset:4624
	s_wait_dscnt 0x2
	;;#ASMSTART
	v_dot2_f32_f16 v15, v25, v29, v15
	;;#ASMEND
	;;#ASMSTART
	v_dot2_f32_f16 v15, v26, v30, v15
	;;#ASMEND
	;;#ASMSTART
	v_dot2_f32_f16 v15, v27, v31, v15
	;;#ASMEND
	;;#ASMSTART
	v_dot2_f32_f16 v15, v28, v32, v15
	;;#ASMEND
	s_wait_dscnt 0x1
	;;#ASMSTART
	v_dot2_f32_f16 v16, v25, v83, v16
	;;#ASMEND
	;;#ASMSTART
	v_dot2_f32_f16 v16, v26, v84, v16
	;;#ASMEND
	;;#ASMSTART
	v_dot2_f32_f16 v16, v27, v85, v16
	;;#ASMEND
	;;#ASMSTART
	v_dot2_f32_f16 v16, v28, v86, v16
	;;#ASMEND
	s_wait_dscnt 0x0
	;;#ASMSTART
	v_dot2_f32_f16 v17, v87, v29, v17
	;;#ASMEND
	;;#ASMSTART
	v_dot2_f32_f16 v17, v88, v30, v17
	;;#ASMEND
	;;#ASMSTART
	v_dot2_f32_f16 v17, v89, v31, v17
	;;#ASMEND
	;;#ASMSTART
	v_dot2_f32_f16 v17, v90, v32, v17
	;;#ASMEND
	;;#ASMSTART
	v_dot2_f32_f16 v18, v87, v83, v18
	;;#ASMEND
	;;#ASMSTART
	v_dot2_f32_f16 v18, v88, v84, v18
	;;#ASMEND
	;;#ASMSTART
	v_dot2_f32_f16 v18, v89, v85, v18
	;;#ASMEND
	;;#ASMSTART
	v_dot2_f32_f16 v18, v90, v86, v18
	;;#ASMEND
	ds_load_b128 v[25:28], v71 offset:32
	ds_load_b128 v[29:32], v70 offset:32
	;; [unrolled: 55-line block ×7, first 2 shown]
	ds_load_b128 v[83:86], v70 offset:368
	ds_load_b128 v[87:90], v71 offset:4720
	s_wait_dscnt 0x2
	;;#ASMSTART
	v_dot2_f32_f16 v15, v25, v29, v15
	;;#ASMEND
	;;#ASMSTART
	v_dot2_f32_f16 v15, v26, v30, v15
	;;#ASMEND
	;;#ASMSTART
	v_dot2_f32_f16 v15, v27, v31, v15
	;;#ASMEND
	;;#ASMSTART
	v_dot2_f32_f16 v15, v28, v32, v15
	;;#ASMEND
	s_wait_dscnt 0x1
	;;#ASMSTART
	v_dot2_f32_f16 v16, v25, v83, v16
	;;#ASMEND
	;;#ASMSTART
	v_dot2_f32_f16 v16, v26, v84, v16
	;;#ASMEND
	;;#ASMSTART
	v_dot2_f32_f16 v16, v27, v85, v16
	;;#ASMEND
	;;#ASMSTART
	v_dot2_f32_f16 v16, v28, v86, v16
	;;#ASMEND
	;; [unrolled: 13-line block ×3, first 2 shown]
	;;#ASMSTART
	v_dot2_f32_f16 v18, v87, v83, v18
	;;#ASMEND
	;;#ASMSTART
	v_dot2_f32_f16 v18, v88, v84, v18
	;;#ASMEND
	;; [unrolled: 3-line block ×4, first 2 shown]
	s_wait_loadcnt 0x0
	s_barrier_signal -1
	s_barrier_wait -1
	global_inv scope:SCOPE_SE
	s_clause 0x3
	global_load_b128 v[25:28], v[33:34], off offset:128
	global_load_b128 v[29:32], v[55:56], off offset:128
	;; [unrolled: 1-line block ×4, first 2 shown]
	s_wait_loadcnt 0x3
	ds_store_b128 v66, v[25:28]
	s_wait_loadcnt 0x2
	ds_store_b128 v67, v[29:32]
	;; [unrolled: 2-line block ×4, first 2 shown]
	s_wait_dscnt 0x0
	s_barrier_signal -1
	s_barrier_wait -1
	global_inv scope:SCOPE_SE
	ds_load_b128 v[25:28], v71
	ds_load_b128 v[29:32], v70 offset:128
	ds_load_b128 v[83:86], v70 offset:384
	ds_load_b128 v[87:90], v71 offset:4608
	s_wait_dscnt 0x2
	;;#ASMSTART
	v_dot2_f32_f16 v15, v25, v29, v15
	;;#ASMEND
	;;#ASMSTART
	v_dot2_f32_f16 v15, v26, v30, v15
	;;#ASMEND
	;;#ASMSTART
	v_dot2_f32_f16 v15, v27, v31, v15
	;;#ASMEND
	;;#ASMSTART
	v_dot2_f32_f16 v15, v28, v32, v15
	;;#ASMEND
	s_wait_dscnt 0x1
	;;#ASMSTART
	v_dot2_f32_f16 v16, v25, v83, v16
	;;#ASMEND
	;;#ASMSTART
	v_dot2_f32_f16 v16, v26, v84, v16
	;;#ASMEND
	;;#ASMSTART
	v_dot2_f32_f16 v16, v27, v85, v16
	;;#ASMEND
	;;#ASMSTART
	v_dot2_f32_f16 v16, v28, v86, v16
	;;#ASMEND
	s_wait_dscnt 0x0
	;;#ASMSTART
	v_dot2_f32_f16 v17, v87, v29, v17
	;;#ASMEND
	;;#ASMSTART
	v_dot2_f32_f16 v17, v88, v30, v17
	;;#ASMEND
	;;#ASMSTART
	v_dot2_f32_f16 v17, v89, v31, v17
	;;#ASMEND
	;;#ASMSTART
	v_dot2_f32_f16 v17, v90, v32, v17
	;;#ASMEND
	;;#ASMSTART
	v_dot2_f32_f16 v18, v87, v83, v18
	;;#ASMEND
	;;#ASMSTART
	v_dot2_f32_f16 v18, v88, v84, v18
	;;#ASMEND
	;;#ASMSTART
	v_dot2_f32_f16 v18, v89, v85, v18
	;;#ASMEND
	;;#ASMSTART
	v_dot2_f32_f16 v18, v90, v86, v18
	;;#ASMEND
	ds_load_b128 v[25:28], v71 offset:16
	ds_load_b128 v[29:32], v70 offset:144
	ds_load_b128 v[83:86], v70 offset:400
	ds_load_b128 v[87:90], v71 offset:4624
	s_wait_dscnt 0x2
	;;#ASMSTART
	v_dot2_f32_f16 v15, v25, v29, v15
	;;#ASMEND
	;;#ASMSTART
	v_dot2_f32_f16 v15, v26, v30, v15
	;;#ASMEND
	;;#ASMSTART
	v_dot2_f32_f16 v15, v27, v31, v15
	;;#ASMEND
	;;#ASMSTART
	v_dot2_f32_f16 v15, v28, v32, v15
	;;#ASMEND
	s_wait_dscnt 0x1
	;;#ASMSTART
	v_dot2_f32_f16 v16, v25, v83, v16
	;;#ASMEND
	;;#ASMSTART
	v_dot2_f32_f16 v16, v26, v84, v16
	;;#ASMEND
	;;#ASMSTART
	v_dot2_f32_f16 v16, v27, v85, v16
	;;#ASMEND
	;;#ASMSTART
	v_dot2_f32_f16 v16, v28, v86, v16
	;;#ASMEND
	s_wait_dscnt 0x0
	;;#ASMSTART
	v_dot2_f32_f16 v17, v87, v29, v17
	;;#ASMEND
	;;#ASMSTART
	v_dot2_f32_f16 v17, v88, v30, v17
	;;#ASMEND
	;;#ASMSTART
	v_dot2_f32_f16 v17, v89, v31, v17
	;;#ASMEND
	;;#ASMSTART
	v_dot2_f32_f16 v17, v90, v32, v17
	;;#ASMEND
	;;#ASMSTART
	v_dot2_f32_f16 v18, v87, v83, v18
	;;#ASMEND
	;;#ASMSTART
	v_dot2_f32_f16 v18, v88, v84, v18
	;;#ASMEND
	;;#ASMSTART
	v_dot2_f32_f16 v18, v89, v85, v18
	;;#ASMEND
	;;#ASMSTART
	v_dot2_f32_f16 v18, v90, v86, v18
	;;#ASMEND
	ds_load_b128 v[25:28], v71 offset:32
	;; [unrolled: 55-line block ×7, first 2 shown]
	ds_load_b128 v[29:32], v70 offset:240
	ds_load_b128 v[83:86], v70 offset:496
	;; [unrolled: 1-line block ×3, first 2 shown]
	s_wait_dscnt 0x2
	;;#ASMSTART
	v_dot2_f32_f16 v15, v25, v29, v15
	;;#ASMEND
	;;#ASMSTART
	v_dot2_f32_f16 v15, v26, v30, v15
	;;#ASMEND
	;;#ASMSTART
	v_dot2_f32_f16 v15, v27, v31, v15
	;;#ASMEND
	;;#ASMSTART
	v_dot2_f32_f16 v15, v28, v32, v15
	;;#ASMEND
	s_wait_dscnt 0x1
	;;#ASMSTART
	v_dot2_f32_f16 v16, v25, v83, v16
	;;#ASMEND
	;;#ASMSTART
	v_dot2_f32_f16 v16, v26, v84, v16
	;;#ASMEND
	;;#ASMSTART
	v_dot2_f32_f16 v16, v27, v85, v16
	;;#ASMEND
	;;#ASMSTART
	v_dot2_f32_f16 v16, v28, v86, v16
	;;#ASMEND
	;; [unrolled: 13-line block ×3, first 2 shown]
	;;#ASMSTART
	v_dot2_f32_f16 v18, v87, v83, v18
	;;#ASMEND
	;;#ASMSTART
	v_dot2_f32_f16 v18, v88, v84, v18
	;;#ASMEND
	;; [unrolled: 3-line block ×4, first 2 shown]
	s_clause 0x1
	global_load_u16 v33, v[95:96], off
	global_load_u16 v34, v[95:96], off offset:64
	s_wait_loadcnt 0x0
	s_barrier_signal -1
	s_barrier_wait -1
	global_inv scope:SCOPE_SE
	s_clause 0x3
	global_load_b128 v[25:28], v[97:98], off
	global_load_b128 v[29:32], v[99:100], off
	;; [unrolled: 1-line block ×4, first 2 shown]
	v_cvt_f32_f16_e32 v33, v33
	v_cvt_f32_f16_e32 v34, v34
	s_delay_alu instid0(VALU_DEP_2) | instskip(NEXT) | instid1(VALU_DEP_2)
	v_add_f32_e32 v15, v15, v33
	v_add_f32_e32 v17, v17, v34
	;; [unrolled: 1-line block ×3, first 2 shown]
	s_delay_alu instid0(VALU_DEP_3) | instskip(NEXT) | instid1(VALU_DEP_2)
	v_dual_add_f32 v16, v16, v33 :: v_dual_add_f32 v33, 0x40051340, v15
	v_dual_add_f32 v34, 0x40051340, v17 :: v_dual_add_f32 v55, 0x40051340, v18
	s_delay_alu instid0(VALU_DEP_2) | instskip(NEXT) | instid1(VALU_DEP_2)
	v_add_f32_e32 v35, 0x40051340, v16
	v_max3_num_f32 v33, v14, v33, v34
	s_delay_alu instid0(VALU_DEP_2) | instskip(SKIP_4) | instid1(VALU_DEP_1)
	v_max3_num_f32 v34, v13, v35, v55
	ds_bpermute_b32 v35, v24, v33
	ds_bpermute_b32 v24, v24, v34
	s_wait_dscnt 0x0
	v_dual_max_num_f32 v35, v35, v35 :: v_dual_max_num_f32 v24, v24, v24
	v_dual_max_num_f32 v33, v33, v35 :: v_dual_max_num_f32 v24, v34, v24
	ds_bpermute_b32 v34, v23, v33
	ds_bpermute_b32 v23, v23, v24
	s_wait_dscnt 0x0
	v_dual_max_num_f32 v23, v23, v23 :: v_dual_max_num_f32 v34, v34, v34
	s_delay_alu instid0(VALU_DEP_1) | instskip(NEXT) | instid1(VALU_DEP_2)
	v_max_num_f32_e32 v23, v24, v23
	v_max_num_f32_e32 v33, v33, v34
	ds_bpermute_b32 v24, v22, v33
	ds_bpermute_b32 v22, v22, v23
	s_wait_dscnt 0x1
	v_max_num_f32_e32 v24, v24, v24
	s_wait_dscnt 0x0
	v_max_num_f32_e32 v22, v22, v22
	s_delay_alu instid0(VALU_DEP_1) | instskip(NEXT) | instid1(VALU_DEP_3)
	v_max_num_f32_e32 v22, v23, v22
	v_max_num_f32_e32 v24, v33, v24
	ds_bpermute_b32 v23, v21, v24
	ds_bpermute_b32 v21, v21, v22
	s_wait_dscnt 0x1
	v_max_num_f32_e32 v23, v23, v23
	s_wait_dscnt 0x0
	v_max_num_f32_e32 v21, v21, v21
	s_delay_alu instid0(VALU_DEP_1) | instskip(NEXT) | instid1(VALU_DEP_3)
	v_max_num_f32_e32 v21, v22, v21
	v_max_num_f32_e32 v23, v24, v23
	ds_bpermute_b32 v22, v20, v23
	ds_bpermute_b32 v20, v20, v21
	s_wait_dscnt 0x1
	v_max_num_f32_e32 v22, v22, v22
	s_wait_dscnt 0x0
	s_delay_alu instid0(VALU_DEP_1) | instskip(NEXT) | instid1(VALU_DEP_1)
	v_dual_max_num_f32 v20, v20, v20 :: v_dual_max_num_f32 v55, v23, v22
	v_dual_max_num_f32 v56, v21, v20 :: v_dual_sub_f32 v15, v15, v55
	s_delay_alu instid0(VALU_DEP_1) | instskip(SKIP_2) | instid1(VALU_DEP_4)
	v_dual_sub_f32 v14, v14, v55 :: v_dual_sub_f32 v13, v13, v56
	v_dual_sub_f32 v17, v17, v55 :: v_dual_sub_f32 v16, v16, v56
	v_sub_f32_e32 v18, v18, v56
	v_mul_f32_e32 v20, 0x3fb8aa3b, v15
	s_delay_alu instid0(VALU_DEP_4) | instskip(NEXT) | instid1(VALU_DEP_4)
	v_dual_mul_f32 v22, 0x3fb8aa3b, v14 :: v_dual_mul_f32 v33, 0x3fb8aa3b, v13
	v_mul_f32_e32 v21, 0x3fb8aa3b, v17
	v_mul_f32_e32 v23, 0x3fb8aa3b, v16
	s_delay_alu instid0(VALU_DEP_4)
	v_fma_f32 v34, 0x3fb8aa3b, v15, -v20
	v_rndne_f32_e32 v35, v20
	v_mul_f32_e32 v24, 0x3fb8aa3b, v18
	v_fma_f32 v83, 0x3fb8aa3b, v17, -v21
	v_rndne_f32_e32 v84, v21
	v_fma_f32 v93, 0x3fb8aa3b, v14, -v22
	v_rndne_f32_e32 v94, v22
	v_cmp_ngt_f32_e32 vcc_lo, 0xc2ce8ed0, v17
	v_cmp_ngt_f32_e64 s2, 0xc2ce8ed0, v14
	v_cmp_ngt_f32_e64 s6, 0xc2ce8ed0, v15
	v_cmp_nlt_f32_e64 s7, 0x42b17218, v17
	v_cmp_nlt_f32_e64 s8, 0x42b17218, v14
	;; [unrolled: 1-line block ×3, first 2 shown]
	v_fma_f32 v95, 0x3fb8aa3b, v16, -v23
	v_rndne_f32_e32 v96, v23
	v_dual_fmac_f32 v34, 0x32a5705f, v15 :: v_dual_fmac_f32 v83, 0x32a5705f, v17
	v_sub_f32_e32 v15, v20, v35
	v_fma_f32 v97, 0x3fb8aa3b, v18, -v24
	v_sub_f32_e32 v17, v21, v84
	v_fmac_f32_e32 v93, 0x32a5705f, v14
	v_sub_f32_e32 v14, v22, v94
	v_cmp_ngt_f32_e64 s3, 0xc2ce8ed0, v16
	v_cmp_nlt_f32_e64 s9, 0x42b17218, v16
	v_rndne_f32_e32 v98, v24
	v_fmac_f32_e32 v95, 0x32a5705f, v16
	v_dual_sub_f32 v16, v23, v96 :: v_dual_fmac_f32 v97, 0x32a5705f, v18
	v_add_f32_e32 v14, v14, v93
	v_cvt_i32_f32_e32 v22, v94
	v_add_f32_e32 v15, v15, v34
	v_cvt_i32_f32_e32 v20, v35
	v_cvt_i32_f32_e32 v21, v84
	v_exp_f32_e32 v14, v14
	v_cmp_ngt_f32_e64 s4, 0xc2ce8ed0, v18
	v_exp_f32_e32 v15, v15
	v_cmp_nlt_f32_e64 s10, 0x42b17218, v18
	v_fma_f32 v99, 0x3fb8aa3b, v13, -v33
	v_rndne_f32_e32 v100, v33
	v_sub_f32_e32 v18, v24, v98
	v_cmp_ngt_f32_e64 s5, 0xc2ce8ed0, v13
	v_cmp_nlt_f32_e64 s11, 0x42b17218, v13
	v_dual_fmac_f32 v99, 0x32a5705f, v13 :: v_dual_add_f32 v16, v16, v95
	v_ldexp_f32 v14, v14, v22
	s_delay_alu instid0(TRANS32_DEP_1) | instskip(SKIP_1) | instid1(VALU_DEP_4)
	v_ldexp_f32 v15, v15, v20
	v_dual_sub_f32 v13, v33, v100 :: v_dual_add_f32 v18, v18, v97
	v_exp_f32_e32 v16, v16
	s_wait_alu 0xf1ff
	v_cndmask_b32_e64 v14, 0, v14, s2
	v_cndmask_b32_e64 v15, 0, v15, s6
	v_cvt_i32_f32_e32 v23, v96
	v_exp_f32_e32 v18, v18
	v_cvt_i32_f32_e32 v24, v98
	v_cndmask_b32_e64 v14, 0x7f800000, v14, s8
	v_add_f32_e32 v17, v17, v83
	v_cndmask_b32_e64 v15, 0x7f800000, v15, s12
	v_cvt_i32_f32_e32 v33, v100
	v_ldexp_f32 v16, v16, v23
	s_delay_alu instid0(VALU_DEP_4) | instskip(NEXT) | instid1(TRANS32_DEP_2)
	v_exp_f32_e32 v17, v17
	v_ldexp_f32 v18, v18, v24
	s_delay_alu instid0(VALU_DEP_2) | instskip(NEXT) | instid1(VALU_DEP_2)
	v_cndmask_b32_e64 v16, 0, v16, s3
	v_cndmask_b32_e64 v18, 0, v18, s4
	s_delay_alu instid0(VALU_DEP_2) | instskip(NEXT) | instid1(TRANS32_DEP_1)
	v_cndmask_b32_e64 v16, 0x7f800000, v16, s9
	v_ldexp_f32 v17, v17, v21
	v_cvt_f16_f32_e32 v21, v14
	s_delay_alu instid0(VALU_DEP_4) | instskip(SKIP_1) | instid1(VALU_DEP_3)
	v_cndmask_b32_e64 v18, 0x7f800000, v18, s10
	s_wait_alu 0xfffd
	v_cndmask_b32_e32 v17, 0, v17, vcc_lo
	s_delay_alu instid0(VALU_DEP_2) | instskip(NEXT) | instid1(VALU_DEP_2)
	v_cvt_f16_f32_e32 v20, v18
	v_cndmask_b32_e64 v17, 0x7f800000, v17, s7
	s_delay_alu instid0(VALU_DEP_1) | instskip(NEXT) | instid1(VALU_DEP_1)
	v_dual_add_f32 v13, v13, v99 :: v_dual_add_f32 v84, v15, v17
	v_exp_f32_e32 v13, v13
	s_delay_alu instid0(VALU_DEP_1) | instskip(NEXT) | instid1(TRANS32_DEP_1)
	v_fmac_f32_e32 v84, v12, v14
	v_ldexp_f32 v13, v13, v33
	s_delay_alu instid0(VALU_DEP_1) | instskip(NEXT) | instid1(VALU_DEP_1)
	v_cndmask_b32_e64 v13, 0, v13, s5
	v_cndmask_b32_e64 v133, 0x7f800000, v13, s11
	v_cvt_f16_f32_e32 v13, v15
	v_cvt_f16_f32_e32 v15, v17
	;; [unrolled: 1-line block ×3, first 2 shown]
	s_delay_alu instid0(VALU_DEP_2) | instskip(NEXT) | instid1(VALU_DEP_2)
	v_pack_b32_f16 v15, v15, v20
	v_pack_b32_f16 v13, v13, v17
	ds_store_2addr_b32 v78, v13, v15 offset1:32
	s_wait_loadcnt 0x3
	ds_store_b128 v72, v[25:28]
	s_wait_loadcnt 0x2
	ds_store_b128 v74, v[29:32]
	s_wait_loadcnt 0x1
	ds_store_b128 v75, v[85:88]
	s_wait_loadcnt 0x0
	ds_store_b128 v76, v[89:92]
	s_wait_dscnt 0x0
	s_barrier_signal -1
	s_barrier_wait -1
	global_inv scope:SCOPE_SE
	ds_load_b128 v[12:15], v73
	v_add_f32_e32 v83, v16, v18
	v_cvt_f16_f32_e64 v16, v133
	v_and_b32_e32 v17, 0xffff, v21
	ds_load_2addr_b64 v[20:23], v59 offset1:32
	ds_load_b128 v[24:27], v73 offset:16
	ds_load_b128 v[28:31], v73 offset:32
	;; [unrolled: 1-line block ×3, first 2 shown]
	ds_load_2addr_b64 v[85:88], v59 offset0:64 offset1:96
	ds_load_2addr_b64 v[89:92], v59 offset0:128 offset1:160
	;; [unrolled: 1-line block ×3, first 2 shown]
	ds_load_2addr_b64 v[97:100], v80 offset1:32
	ds_load_2addr_b64 v[101:104], v80 offset0:64 offset1:96
	ds_load_2addr_b64 v[105:108], v80 offset0:128 offset1:160
	;; [unrolled: 1-line block ×3, first 2 shown]
	ds_load_2addr_b64 v[113:116], v81 offset1:32
	ds_load_2addr_b64 v[117:120], v81 offset0:64 offset1:96
	ds_load_2addr_b64 v[121:124], v81 offset0:128 offset1:160
	ds_load_b128 v[125:128], v73 offset:64
	ds_load_b128 v[129:132], v73 offset:80
	v_and_b32_e32 v16, 0xffff, v16
	v_mul_u32_u24_e32 v17, 0x10001, v17
	s_wait_dscnt 0xd
	v_and_b32_e32 v136, 0xffff, v31
	s_delay_alu instid0(VALU_DEP_3) | instskip(NEXT) | instid1(VALU_DEP_3)
	v_mul_u32_u24_e32 v16, 0x10001, v16
	v_pk_mul_f16 v11, v11, v17
	s_delay_alu instid0(VALU_DEP_2) | instskip(SKIP_2) | instid1(VALU_DEP_2)
	v_pk_mul_f16 v18, v8, v16
	v_and_b32_e32 v8, 0xffff, v12
	v_lshrrev_b32_e32 v12, 16, v12
	v_mul_u32_u24_e32 v8, 0x10001, v8
	s_delay_alu instid0(VALU_DEP_2) | instskip(NEXT) | instid1(VALU_DEP_2)
	v_mul_u32_u24_e32 v12, 0x10001, v12
	v_pk_mul_f16 v134, v20, v8
	v_pk_fma_f16 v135, v21, v8, v11
	s_delay_alu instid0(VALU_DEP_3)
	v_pk_mul_f16 v8, v20, v12
	v_pk_fma_f16 v12, v21, v12, v18
	v_and_b32_e32 v18, 0xffff, v13
	v_lshrrev_b32_e32 v13, 16, v13
	v_pk_fma_f16 v17, v10, v17, v134
	v_pk_fma_f16 v16, v9, v16, v8
	v_fmac_f32_e32 v83, v19, v133
	v_mul_u32_u24_e32 v18, 0x10001, v18
	v_mul_u32_u24_e32 v13, 0x10001, v13
	v_lshrrev_b32_e32 v19, 16, v14
	v_lshrrev_b32_e32 v133, 16, v15
	ds_load_2addr_b64 v[8:11], v81 offset0:192 offset1:224
	v_pk_fma_f16 v134, v23, v18, v135
	v_pk_fma_f16 v17, v22, v18, v17
	;; [unrolled: 1-line block ×3, first 2 shown]
	v_and_b32_e32 v12, 0xffff, v14
	v_pk_fma_f16 v16, v22, v13, v16
	v_and_b32_e32 v135, 0xffff, v15
	v_mul_u32_u24_e32 v19, 0x10001, v19
	ds_load_2addr_b64 v[20:23], v82 offset1:32
	v_mul_u32_u24_e32 v12, 0x10001, v12
	s_wait_dscnt 0xd
	v_pk_fma_f16 v18, v86, v19, v18
	v_pk_fma_f16 v16, v85, v19, v16
	s_delay_alu instid0(VALU_DEP_3)
	v_pk_fma_f16 v134, v86, v12, v134
	v_pk_fma_f16 v17, v85, v12, v17
	v_mul_u32_u24_e32 v19, 0x10001, v135
	v_lshrrev_b32_e32 v85, 16, v24
	v_and_b32_e32 v135, 0xffff, v27
	ds_load_b128 v[12:15], v73 offset:96
	v_pk_fma_f16 v86, v88, v19, v134
	v_pk_fma_f16 v17, v87, v19, v17
	v_and_b32_e32 v19, 0xffff, v24
	v_mul_u32_u24_e32 v24, 0x10001, v133
	v_lshrrev_b32_e32 v134, 16, v27
	v_mul_u32_u24_e32 v85, 0x10001, v85
	v_lshrrev_b32_e32 v133, 16, v26
	v_and_b32_e32 v26, 0xffff, v26
	v_pk_fma_f16 v88, v88, v24, v18
	v_pk_fma_f16 v24, v87, v24, v16
	v_lshrrev_b32_e32 v87, 16, v25
	v_and_b32_e32 v25, 0xffff, v25
	v_mul_u32_u24_e32 v16, 0x10001, v19
	s_wait_dscnt 0xd
	v_pk_fma_f16 v88, v90, v85, v88
	v_pk_fma_f16 v24, v89, v85, v24
	v_lshrrev_b32_e32 v85, 16, v28
	v_mul_u32_u24_e32 v25, 0x10001, v25
	v_pk_fma_f16 v27, v90, v16, v86
	v_pk_fma_f16 v86, v89, v16, v17
	v_and_b32_e32 v89, 0xffff, v29
	v_lshrrev_b32_e32 v90, 16, v30
	v_and_b32_e32 v28, 0xffff, v28
	v_pk_fma_f16 v27, v92, v25, v27
	v_pk_fma_f16 v25, v91, v25, v86
	v_mul_u32_u24_e32 v86, 0x10001, v87
	v_mul_u32_u24_e32 v90, 0x10001, v90
	;; [unrolled: 1-line block ×3, first 2 shown]
	ds_load_2addr_b64 v[16:19], v82 offset0:64 offset1:96
	v_pk_fma_f16 v87, v92, v86, v88
	v_pk_fma_f16 v86, v91, v86, v24
	v_lshrrev_b32_e32 v92, 16, v31
	v_mul_u32_u24_e32 v24, 0x10001, v26
	v_mul_u32_u24_e32 v31, 0x10001, v133
	v_lshrrev_b32_e32 v88, 16, v29
	v_and_b32_e32 v91, 0xffff, v30
	v_and_b32_e32 v133, 0xffff, v34
	s_wait_dscnt 0xd
	v_pk_fma_f16 v29, v94, v24, v27
	v_pk_fma_f16 v30, v93, v24, v25
	;; [unrolled: 1-line block ×4, first 2 shown]
	v_mul_u32_u24_e32 v93, 0x10001, v135
	v_lshrrev_b32_e32 v86, 16, v32
	v_and_b32_e32 v135, 0xffff, v35
	v_lshrrev_b32_e32 v94, 16, v33
	ds_load_2addr_b64 v[24:27], v82 offset0:128 offset1:160
	v_pk_fma_f16 v29, v96, v93, v29
	v_pk_fma_f16 v30, v95, v93, v30
	v_and_b32_e32 v93, 0xffff, v32
	v_mul_u32_u24_e32 v32, 0x10001, v134
	v_lshrrev_b32_e32 v134, 16, v35
	v_mul_u32_u24_e32 v35, 0x10001, v85
	v_mul_u32_u24_e32 v86, 0x10001, v86
	s_delay_alu instid0(VALU_DEP_4)
	v_pk_fma_f16 v87, v96, v32, v87
	v_pk_fma_f16 v32, v95, v32, v31
	v_and_b32_e32 v95, 0xffff, v33
	v_lshrrev_b32_e32 v96, 16, v34
	s_wait_dscnt 0xd
	v_pk_fma_f16 v33, v98, v28, v29
	v_pk_fma_f16 v34, v97, v28, v30
	;; [unrolled: 1-line block ×4, first 2 shown]
	v_mul_u32_u24_e32 v35, 0x10001, v89
	ds_load_b128 v[28:31], v73 offset:112
	s_wait_dscnt 0x7
	v_lshrrev_b32_e32 v87, 16, v125
	v_and_b32_e32 v97, 0xffff, v125
	v_lshrrev_b32_e32 v98, 16, v126
	v_pk_fma_f16 v33, v100, v35, v33
	v_pk_fma_f16 v34, v99, v35, v34
	v_mul_u32_u24_e32 v35, 0x10001, v88
	v_and_b32_e32 v125, 0xffff, v127
	v_mul_u32_u24_e32 v95, 0x10001, v95
	v_mul_u32_u24_e32 v96, 0x10001, v96
	;; [unrolled: 1-line block ×3, first 2 shown]
	v_pk_fma_f16 v85, v100, v35, v85
	v_pk_fma_f16 v88, v99, v35, v32
	v_mul_u32_u24_e32 v32, 0x10001, v91
	v_and_b32_e32 v99, 0xffff, v126
	v_lshrrev_b32_e32 v100, 16, v127
	v_pk_fma_f16 v85, v102, v90, v85
	v_pk_fma_f16 v88, v101, v90, v88
	;; [unrolled: 1-line block ×3, first 2 shown]
	v_mul_u32_u24_e32 v90, 0x10001, v136
	v_pk_fma_f16 v91, v101, v32, v34
	v_lshrrev_b32_e32 v126, 16, v128
	v_and_b32_e32 v127, 0xffff, v128
	ds_load_2addr_b64 v[32:35], v82 offset0:192 offset1:224
	v_pk_fma_f16 v102, v104, v90, v89
	v_mul_u32_u24_e32 v89, 0x10001, v92
	s_wait_loadcnt_dscnt 0x0
	s_barrier_signal -1
	s_barrier_wait -1
	global_inv scope:SCOPE_SE
	v_pk_fma_f16 v128, v103, v90, v91
	v_pk_fma_f16 v85, v104, v89, v85
	;; [unrolled: 1-line block ×3, first 2 shown]
	global_load_b128 v[89:92], v[6:7], off
	v_mul_u32_u24_e32 v6, 0x10001, v93
	v_mul_u32_u24_e32 v87, 0x10001, v87
	v_pk_fma_f16 v85, v106, v86, v85
	v_pk_fma_f16 v86, v105, v86, v88
	v_lshrrev_b32_e32 v88, 16, v12
	v_pk_fma_f16 v93, v106, v6, v102
	v_pk_fma_f16 v102, v105, v6, v128
	v_and_b32_e32 v105, 0xffff, v13
	v_lshrrev_b32_e32 v106, 16, v14
	v_and_b32_e32 v128, 0xffff, v15
	v_pk_fma_f16 v93, v108, v95, v93
	v_pk_fma_f16 v95, v107, v95, v102
	v_and_b32_e32 v102, 0xffff, v12
	v_mul_u32_u24_e32 v12, 0x10001, v94
	v_lshrrev_b32_e32 v94, 16, v13
	global_load_b128 v[4:7], v[4:5], off
	v_mul_u32_u24_e32 v99, 0x10001, v99
	v_mul_u32_u24_e32 v98, 0x10001, v98
	v_pk_fma_f16 v85, v108, v12, v85
	v_pk_fma_f16 v86, v107, v12, v86
	v_and_b32_e32 v107, 0xffff, v14
	v_lshrrev_b32_e32 v108, 16, v15
	global_load_b128 v[12:15], v[2:3], off
	v_mul_u32_u24_e32 v2, 0x10001, v133
	v_pk_fma_f16 v86, v109, v96, v86
	v_pk_fma_f16 v85, v110, v96, v85
	v_mul_u32_u24_e32 v100, 0x10001, v100
	v_lshrrev_b32_e32 v101, 16, v129
	v_pk_fma_f16 v93, v110, v2, v93
	v_pk_fma_f16 v95, v109, v2, v95
	global_load_b128 v[0:3], v[0:1], off
	v_mul_u32_u24_e32 v109, 0x10001, v135
	v_and_b32_e32 v129, 0xffff, v129
	v_mul_u32_u24_e32 v126, 0x10001, v126
	v_lshrrev_b32_e32 v103, 16, v130
	v_and_b32_e32 v104, 0xffff, v130
	v_pk_fma_f16 v93, v112, v109, v93
	v_pk_fma_f16 v95, v111, v109, v95
	v_mul_u32_u24_e32 v109, 0x10001, v134
	v_mul_u32_u24_e32 v101, 0x10001, v101
	v_lshrrev_b32_e32 v130, 16, v131
	v_pk_fma_f16 v93, v114, v97, v93
	v_pk_fma_f16 v95, v113, v97, v95
	;; [unrolled: 1-line block ×4, first 2 shown]
	v_mul_u32_u24_e32 v112, 0x10001, v125
	v_mul_u32_u24_e32 v125, 0x10001, v127
	;; [unrolled: 1-line block ×3, first 2 shown]
	v_pk_fma_f16 v85, v114, v87, v85
	v_pk_fma_f16 v86, v113, v87, v86
	;; [unrolled: 1-line block ×4, first 2 shown]
	v_and_b32_e32 v131, 0xffff, v131
	v_pk_fma_f16 v85, v116, v98, v85
	v_pk_fma_f16 v86, v115, v98, v86
	;; [unrolled: 1-line block ×4, first 2 shown]
	v_mul_u32_u24_e32 v104, 0x10001, v104
	v_pk_fma_f16 v85, v118, v100, v85
	v_pk_fma_f16 v86, v117, v100, v86
	;; [unrolled: 1-line block ×4, first 2 shown]
	v_mul_u32_u24_e32 v103, 0x10001, v103
	v_pk_fma_f16 v85, v120, v126, v85
	v_pk_fma_f16 v86, v119, v126, v86
	;; [unrolled: 1-line block ×4, first 2 shown]
	v_lshrrev_b32_e32 v136, 16, v132
	v_pk_fma_f16 v85, v122, v101, v85
	v_pk_fma_f16 v86, v121, v101, v86
	v_and_b32_e32 v132, 0xffff, v132
	v_mul_u32_u24_e32 v129, 0x10001, v131
	v_mul_u32_u24_e32 v130, 0x10001, v130
	v_pk_fma_f16 v87, v124, v104, v87
	v_pk_fma_f16 v85, v124, v103, v85
	v_pk_fma_f16 v93, v123, v104, v93
	v_pk_fma_f16 v86, v123, v103, v86
	v_mul_u32_u24_e32 v131, 0x10001, v132
	v_mul_u32_u24_e32 v132, 0x10001, v136
	v_pk_fma_f16 v87, v9, v129, v87
	v_pk_fma_f16 v9, v9, v130, v85
	v_pk_fma_f16 v85, v8, v129, v93
	v_pk_fma_f16 v8, v8, v130, v86
	;; [unrolled: 6-line block ×5, first 2 shown]
	v_lshrrev_b32_e32 v96, 16, v28
	v_and_b32_e32 v28, 0xffff, v28
	v_mul_u32_u24_e32 v128, 0x10001, v128
	v_mul_u32_u24_e32 v108, 0x10001, v108
	v_pk_fma_f16 v10, v17, v107, v10
	v_pk_fma_f16 v9, v17, v106, v9
	v_pk_fma_f16 v11, v16, v107, v11
	v_pk_fma_f16 v8, v16, v106, v8
	v_lshrrev_b32_e32 v109, 16, v29
	v_and_b32_e32 v29, 0xffff, v29
	v_mul_u32_u24_e32 v28, 0x10001, v28
	v_mul_u32_u24_e32 v96, 0x10001, v96
	v_pk_fma_f16 v10, v19, v128, v10
	v_pk_fma_f16 v9, v19, v108, v9
	v_pk_fma_f16 v11, v18, v128, v11
	v_pk_fma_f16 v8, v18, v108, v8
	;; [unrolled: 8-line block ×4, first 2 shown]
	v_mul_u32_u24_e32 v31, 0x10001, v31
	v_mul_u32_u24_e32 v111, 0x10001, v111
	v_pk_fma_f16 v10, v33, v30, v10
	v_pk_fma_f16 v9, v33, v110, v9
	;; [unrolled: 1-line block ×4, first 2 shown]
	s_wait_loadcnt 0x3
	ds_store_b128 v72, v[89:92]
	s_wait_loadcnt 0x2
	ds_store_b128 v74, v[4:7]
	;; [unrolled: 2-line block ×4, first 2 shown]
	v_pk_fma_f16 v87, v35, v31, v10
	v_pk_fma_f16 v85, v35, v111, v9
	;; [unrolled: 1-line block ×4, first 2 shown]
	s_wait_dscnt 0x0
	s_barrier_signal -1
	s_barrier_wait -1
	global_inv scope:SCOPE_SE
	ds_load_b128 v[32:35], v73 offset:128
	ds_load_b128 v[28:31], v73 offset:144
	ds_load_2addr_b64 v[24:27], v59 offset1:32
	ds_load_b128 v[20:23], v73 offset:160
	ds_load_b128 v[0:3], v73 offset:176
	ds_load_2addr_b64 v[16:19], v59 offset0:64 offset1:96
	ds_load_2addr_b64 v[12:15], v59 offset0:128 offset1:160
	;; [unrolled: 1-line block ×3, first 2 shown]
	ds_load_2addr_b64 v[4:7], v80 offset1:32
	ds_load_b128 v[89:92], v73 offset:192
	ds_load_b128 v[93:96], v73 offset:208
	;; [unrolled: 1-line block ×4, first 2 shown]
	ds_load_2addr_b64 v[105:108], v80 offset0:64 offset1:96
	ds_load_2addr_b64 v[109:112], v80 offset0:128 offset1:160
	;; [unrolled: 1-line block ×3, first 2 shown]
	ds_load_2addr_b64 v[117:120], v81 offset1:32
	ds_load_2addr_b64 v[121:124], v81 offset0:64 offset1:96
	s_wait_dscnt 0x11
	v_lshrrev_b32_e32 v125, 16, v32
	v_and_b32_e32 v32, 0xffff, v32
	s_wait_dscnt 0x10
	v_lshrrev_b32_e32 v129, 16, v28
	v_and_b32_e32 v130, 0xffff, v28
	v_lshrrev_b32_e32 v126, 16, v33
	v_and_b32_e32 v33, 0xffff, v33
	v_mul_u32_u24_e32 v28, 0x10001, v32
	v_lshrrev_b32_e32 v127, 16, v34
	v_and_b32_e32 v34, 0xffff, v34
	v_lshrrev_b32_e32 v128, 16, v35
	v_mul_u32_u24_e32 v33, 0x10001, v33
	s_wait_dscnt 0xf
	v_pk_fma_f16 v32, v24, v28, v88
	v_mul_u32_u24_e32 v88, 0x10001, v125
	v_pk_fma_f16 v87, v25, v28, v87
	v_and_b32_e32 v35, 0xffff, v35
	v_and_b32_e32 v132, 0xffff, v29
	v_pk_fma_f16 v32, v26, v33, v32
	v_pk_fma_f16 v24, v24, v88, v86
	;; [unrolled: 1-line block ×3, first 2 shown]
	s_wait_dscnt 0xe
	v_lshrrev_b32_e32 v85, 16, v20
	v_and_b32_e32 v86, 0xffff, v20
	v_mul_u32_u24_e32 v20, 0x10001, v126
	v_pk_fma_f16 v33, v27, v33, v87
	v_mul_u32_u24_e32 v129, 0x10001, v129
	v_lshrrev_b32_e32 v131, 16, v29
	v_lshrrev_b32_e32 v133, 16, v30
	v_pk_fma_f16 v24, v26, v20, v24
	v_pk_fma_f16 v25, v27, v20, v25
	v_mul_u32_u24_e32 v20, 0x10001, v34
	v_mul_u32_u24_e32 v34, 0x10001, v127
	v_and_b32_e32 v134, 0xffff, v30
	v_and_b32_e32 v136, 0xffff, v31
	v_mul_u32_u24_e32 v133, 0x10001, v133
	s_wait_dscnt 0xc
	v_pk_fma_f16 v32, v16, v20, v32
	v_pk_fma_f16 v33, v17, v20, v33
	;; [unrolled: 1-line block ×3, first 2 shown]
	v_mul_u32_u24_e32 v25, 0x10001, v35
	v_pk_fma_f16 v16, v16, v34, v24
	v_lshrrev_b32_e32 v24, 16, v0
	v_lshrrev_b32_e32 v135, 16, v31
	;; [unrolled: 1-line block ×3, first 2 shown]
	v_pk_fma_f16 v32, v18, v25, v32
	v_pk_fma_f16 v25, v19, v25, v33
	v_and_b32_e32 v33, 0xffff, v0
	v_mul_u32_u24_e32 v0, 0x10001, v128
	v_and_b32_e32 v27, 0xffff, v21
	v_mul_u32_u24_e32 v85, 0x10001, v85
	;; [unrolled: 2-line block ×3, first 2 shown]
	v_pk_fma_f16 v16, v18, v0, v16
	v_pk_fma_f16 v17, v19, v0, v17
	v_mul_u32_u24_e32 v0, 0x10001, v130
	v_mul_u32_u24_e32 v27, 0x10001, v27
	v_lshrrev_b32_e32 v87, 16, v22
	v_and_b32_e32 v126, 0xffff, v23
	v_lshrrev_b32_e32 v125, 16, v23
	s_wait_dscnt 0xb
	v_pk_fma_f16 v32, v12, v0, v32
	v_pk_fma_f16 v25, v13, v0, v25
	;; [unrolled: 1-line block ×3, first 2 shown]
	v_mul_u32_u24_e32 v17, 0x10001, v132
	v_pk_fma_f16 v12, v12, v129, v16
	s_wait_dscnt 0x8
	v_lshrrev_b32_e32 v16, 16, v89
	v_mul_u32_u24_e32 v87, 0x10001, v87
	v_lshrrev_b32_e32 v18, 16, v1
	v_pk_fma_f16 v32, v14, v17, v32
	v_pk_fma_f16 v17, v15, v17, v25
	v_and_b32_e32 v25, 0xffff, v89
	v_mul_u32_u24_e32 v89, 0x10001, v131
	v_and_b32_e32 v19, 0xffff, v1
	v_mul_u32_u24_e32 v33, 0x10001, v33
	v_mul_u32_u24_e32 v24, 0x10001, v24
	v_lshrrev_b32_e32 v34, 16, v2
	v_pk_fma_f16 v129, v14, v89, v12
	v_mul_u32_u24_e32 v12, 0x10001, v134
	v_pk_fma_f16 v89, v15, v89, v13
	v_and_b32_e32 v35, 0xffff, v2
	v_mul_u32_u24_e32 v19, 0x10001, v19
	v_mul_u32_u24_e32 v18, 0x10001, v18
	v_pk_fma_f16 v32, v8, v12, v32
	v_pk_fma_f16 v17, v9, v12, v17
	;; [unrolled: 1-line block ×3, first 2 shown]
	v_mul_u32_u24_e32 v129, 0x10001, v136
	v_pk_fma_f16 v9, v9, v133, v89
	v_lshrrev_b32_e32 v127, 16, v3
	v_and_b32_e32 v128, 0xffff, v3
	v_mul_u32_u24_e32 v35, 0x10001, v35
	v_pk_fma_f16 v32, v10, v129, v32
	v_pk_fma_f16 v17, v11, v129, v17
	v_mul_u32_u24_e32 v129, 0x10001, v135
	v_mul_u32_u24_e32 v34, 0x10001, v34
	v_lshrrev_b32_e32 v130, 16, v90
	v_and_b32_e32 v90, 0xffff, v90
	v_mul_u32_u24_e32 v25, 0x10001, v25
	v_pk_fma_f16 v133, v10, v129, v8
	v_mul_u32_u24_e32 v8, 0x10001, v86
	v_pk_fma_f16 v129, v11, v129, v9
	v_mul_u32_u24_e32 v16, 0x10001, v16
	ds_load_2addr_b64 v[28:31], v81 offset0:128 offset1:160
	v_lshrrev_b32_e32 v131, 16, v91
	v_pk_fma_f16 v32, v4, v8, v32
	v_pk_fma_f16 v17, v5, v8, v17
	;; [unrolled: 1-line block ×4, first 2 shown]
	v_and_b32_e32 v91, 0xffff, v91
	v_pk_fma_f16 v32, v6, v27, v32
	v_pk_fma_f16 v17, v7, v27, v17
	;; [unrolled: 1-line block ×3, first 2 shown]
	v_mul_u32_u24_e32 v4, 0x10001, v88
	v_pk_fma_f16 v26, v7, v26, v5
	v_mul_u32_u24_e32 v88, 0x10001, v126
	v_mul_u32_u24_e32 v90, 0x10001, v90
	s_wait_dscnt 0x5
	v_pk_fma_f16 v86, v105, v87, v86
	v_pk_fma_f16 v32, v105, v4, v32
	;; [unrolled: 1-line block ×4, first 2 shown]
	v_lshrrev_b32_e32 v87, 16, v101
	v_lshrrev_b32_e32 v132, 16, v92
	v_pk_fma_f16 v32, v107, v88, v32
	v_pk_fma_f16 v17, v108, v88, v17
	v_and_b32_e32 v88, 0xffff, v101
	v_mul_u32_u24_e32 v101, 0x10001, v125
	v_mul_u32_u24_e32 v125, 0x10001, v130
	s_wait_dscnt 0x4
	v_pk_fma_f16 v32, v109, v33, v32
	v_pk_fma_f16 v17, v110, v33, v17
	v_and_b32_e32 v92, 0xffff, v92
	v_pk_fma_f16 v86, v107, v101, v86
	v_pk_fma_f16 v26, v108, v101, v26
	;; [unrolled: 1-line block ×4, first 2 shown]
	v_mul_u32_u24_e32 v107, 0x10001, v128
	v_pk_fma_f16 v86, v109, v24, v86
	v_pk_fma_f16 v24, v110, v24, v26
	v_mul_u32_u24_e32 v108, 0x10001, v127
	s_wait_dscnt 0x3
	v_pk_fma_f16 v17, v114, v35, v17
	v_mul_u32_u24_e32 v91, 0x10001, v91
	v_pk_fma_f16 v33, v111, v18, v86
	v_pk_fma_f16 v18, v112, v18, v24
	;; [unrolled: 1-line block ×4, first 2 shown]
	v_mul_u32_u24_e32 v126, 0x10001, v131
	v_pk_fma_f16 v32, v113, v34, v33
	v_pk_fma_f16 v18, v114, v34, v18
	;; [unrolled: 1-line block ×3, first 2 shown]
	s_wait_dscnt 0x2
	v_pk_fma_f16 v17, v118, v25, v17
	ds_load_2addr_b64 v[20:23], v81 offset0:192 offset1:224
	v_pk_fma_f16 v32, v115, v108, v32
	v_pk_fma_f16 v18, v116, v108, v18
	;; [unrolled: 1-line block ×4, first 2 shown]
	v_lshrrev_b32_e32 v89, 16, v93
	v_pk_fma_f16 v32, v117, v16, v32
	v_pk_fma_f16 v16, v118, v16, v18
	;; [unrolled: 1-line block ×3, first 2 shown]
	v_and_b32_e32 v93, 0xffff, v93
	v_mul_u32_u24_e32 v92, 0x10001, v92
	v_pk_fma_f16 v25, v119, v125, v32
	v_pk_fma_f16 v16, v120, v125, v16
	v_mul_u32_u24_e32 v127, 0x10001, v132
	s_wait_dscnt 0x2
	v_pk_fma_f16 v24, v121, v91, v24
	v_pk_fma_f16 v17, v122, v91, v17
	;; [unrolled: 1-line block ×4, first 2 shown]
	v_lshrrev_b32_e32 v134, 16, v94
	v_and_b32_e32 v94, 0xffff, v94
	v_mul_u32_u24_e32 v93, 0x10001, v93
	v_mul_u32_u24_e32 v89, 0x10001, v89
	v_pk_fma_f16 v24, v123, v92, v24
	v_pk_fma_f16 v25, v123, v127, v25
	;; [unrolled: 1-line block ×4, first 2 shown]
	ds_load_2addr_b64 v[0:3], v82 offset1:32
	v_lshrrev_b32_e32 v135, 16, v95
	v_and_b32_e32 v95, 0xffff, v95
	v_mul_u32_u24_e32 v94, 0x10001, v94
	v_mul_u32_u24_e32 v128, 0x10001, v134
	s_wait_dscnt 0x2
	v_pk_fma_f16 v24, v28, v93, v24
	v_pk_fma_f16 v25, v28, v89, v25
	v_pk_fma_f16 v17, v29, v93, v17
	v_pk_fma_f16 v16, v29, v89, v16
	v_lshrrev_b32_e32 v136, 16, v96
	v_and_b32_e32 v96, 0xffff, v96
	v_mul_u32_u24_e32 v95, 0x10001, v95
	v_mul_u32_u24_e32 v130, 0x10001, v135
	v_pk_fma_f16 v24, v30, v94, v24
	v_pk_fma_f16 v25, v30, v128, v25
	v_pk_fma_f16 v17, v31, v94, v17
	v_pk_fma_f16 v16, v31, v128, v16
	ds_load_2addr_b64 v[12:15], v82 offset0:64 offset1:96
	v_lshrrev_b32_e32 v85, 16, v97
	v_and_b32_e32 v27, 0xffff, v97
	v_mul_u32_u24_e32 v26, 0x10001, v96
	v_mul_u32_u24_e32 v19, 0x10001, v136
	s_wait_dscnt 0x2
	v_pk_fma_f16 v24, v20, v95, v24
	v_pk_fma_f16 v20, v20, v130, v25
	v_pk_fma_f16 v17, v21, v95, v17
	v_pk_fma_f16 v16, v21, v130, v16
	v_lshrrev_b32_e32 v97, 16, v98
	v_and_b32_e32 v98, 0xffff, v98
	v_mul_u32_u24_e32 v27, 0x10001, v27
	v_mul_u32_u24_e32 v33, 0x10001, v85
	v_pk_fma_f16 v24, v22, v26, v24
	v_pk_fma_f16 v20, v22, v19, v20
	v_pk_fma_f16 v17, v23, v26, v17
	v_pk_fma_f16 v16, v23, v19, v16
	ds_load_2addr_b64 v[8:11], v82 offset0:128 offset1:160
	;; [unrolled: 18-line block ×3, first 2 shown]
	v_mul_u32_u24_e32 v28, 0x10001, v100
	v_mul_u32_u24_e32 v29, 0x10001, v133
	s_wait_dscnt 0x2
	v_pk_fma_f16 v17, v12, v34, v20
	v_pk_fma_f16 v0, v12, v35, v0
	;; [unrolled: 1-line block ×4, first 2 shown]
	s_wait_loadcnt_dscnt 0x0
	s_barrier_signal -1
	s_barrier_wait -1
	global_inv scope:SCOPE_SE
	s_load_b32 s2, s[42:43], 0x4
	v_lshrrev_b32_e32 v101, 16, v102
	v_and_b32_e32 v102, 0xffff, v102
	v_mul_u32_u24_e32 v21, 0x10001, v88
	v_mul_u32_u24_e32 v19, 0x10001, v87
	v_pk_fma_f16 v13, v14, v28, v17
	v_pk_fma_f16 v0, v14, v29, v0
	v_pk_fma_f16 v2, v15, v28, v2
	v_pk_fma_f16 v1, v15, v29, v1
	v_lshrrev_b32_e32 v105, 16, v103
	v_and_b32_e32 v103, 0xffff, v103
	v_mul_u32_u24_e32 v16, 0x10001, v102
	v_mul_u32_u24_e32 v3, 0x10001, v101
	v_pk_fma_f16 v13, v8, v21, v13
	v_pk_fma_f16 v0, v8, v19, v0
	v_pk_fma_f16 v2, v9, v21, v2
	v_pk_fma_f16 v1, v9, v19, v1
	;; [unrolled: 8-line block ×3, first 2 shown]
	v_mul_u32_u24_e32 v8, 0x10001, v104
	v_mul_u32_u24_e32 v3, 0x10001, v106
	v_pk_fma_f16 v9, v4, v12, v9
	v_pk_fma_f16 v0, v4, v14, v0
	;; [unrolled: 1-line block ×4, first 2 shown]
	s_wait_kmcnt 0x0
	s_lshl_b32 s2, s2, 6
	v_pk_fma_f16 v10, v6, v8, v9
	v_pk_fma_f16 v9, v6, v3, v0
	;; [unrolled: 1-line block ×4, first 2 shown]
	s_wait_alu 0xfffe
	s_add_co_i32 s18, s2, s18
	s_wait_alu 0xfffe
	s_cmp_ge_i32 s18, s30
	s_cbranch_scc0 .LBB13_9
; %bb.10:
	v_dual_mov_b32 v4, 32 :: v_dual_mov_b32 v5, v60
.LBB13_11:
	s_delay_alu instid0(VALU_DEP_1)
	v_cmp_lt_i32_e32 vcc_lo, v65, v4
	s_cmp_lg_u64 s[16:17], 0
	s_cselect_b32 s2, -1, 0
	s_cmp_eq_u32 s14, 0
	s_wait_alu 0xfffd
	v_cndmask_b32_e32 v0, v5, v65, vcc_lo
	v_cmp_lt_i32_e32 vcc_lo, v64, v4
	s_cselect_b32 s3, -1, 0
	s_wait_alu 0xfffe
	s_and_b32 s2, s3, s2
	v_lshlrev_b32_e32 v0, 2, v0
	s_wait_alu 0xfffd
	v_cndmask_b32_e32 v2, v5, v64, vcc_lo
	v_cmp_lt_i32_e32 vcc_lo, v63, v4
	ds_bpermute_b32 v1, v0, v84
	s_wait_alu 0xfffd
	v_cndmask_b32_e32 v6, v5, v63, vcc_lo
	v_cmp_lt_i32_e32 vcc_lo, v62, v4
	s_wait_dscnt 0x0
	s_delay_alu instid0(VALU_DEP_2)
	v_dual_add_f32 v1, v84, v1 :: v_dual_lshlrev_b32 v6, 2, v6
	v_lshlrev_b32_e32 v2, 2, v2
	ds_bpermute_b32 v0, v0, v83
	ds_bpermute_b32 v3, v2, v1
	s_wait_dscnt 0x0
	v_dual_add_f32 v1, v1, v3 :: v_dual_add_f32 v0, v83, v0
	ds_bpermute_b32 v2, v2, v0
	s_wait_dscnt 0x0
	v_add_f32_e32 v0, v0, v2
	ds_bpermute_b32 v2, v6, v1
	ds_bpermute_b32 v3, v6, v0
	s_wait_alu 0xfffd
	v_cndmask_b32_e32 v6, v5, v62, vcc_lo
	v_cmp_lt_i32_e32 vcc_lo, v61, v4
	s_delay_alu instid0(VALU_DEP_2)
	v_lshlrev_b32_e32 v6, 2, v6
	s_wait_alu 0xfffd
	v_cndmask_b32_e32 v4, v5, v61, vcc_lo
	s_wait_alu 0xfffe
	s_and_b32 vcc_lo, exec_lo, s2
	s_mov_b32 s2, 0
	s_wait_dscnt 0x1
	v_dual_add_f32 v1, v1, v2 :: v_dual_lshlrev_b32 v4, 2, v4
	ds_bpermute_b32 v2, v6, v1
	s_wait_dscnt 0x0
	v_dual_add_f32 v0, v0, v3 :: v_dual_add_f32 v1, v1, v2
	ds_bpermute_b32 v3, v6, v0
	s_wait_dscnt 0x0
	v_add_f32_e32 v2, v0, v3
	ds_bpermute_b32 v0, v4, v1
	ds_bpermute_b32 v3, v4, v2
	s_wait_dscnt 0x0
	v_dual_add_f32 v0, v1, v0 :: v_dual_add_f32 v1, v2, v3
	v_add_nc_u32_e32 v2, s33, v58
	s_wait_alu 0xfffe
	s_cbranch_vccnz .LBB13_14
; %bb.12:
	s_delay_alu instid0(VALU_DEP_2)
	v_dual_mov_b32 v4, v1 :: v_dual_add_nc_u32 v5, s33, v58
	v_mov_b32_e32 v3, v0
	s_and_not1_b32 vcc_lo, exec_lo, s2
	s_wait_alu 0xfffe
	s_cbranch_vccz .LBB13_15
; %bb.13:
	v_mov_b32_e32 v2, v5
	s_branch .LBB13_16
.LBB13_14:
                                        ; implicit-def: $vgpr5
                                        ; implicit-def: $vgpr3_vgpr4
.LBB13_15:
	s_delay_alu instid0(VALU_DEP_1) | instskip(SKIP_1) | instid1(VALU_DEP_2)
	v_ashrrev_i32_e32 v3, 31, v2
	v_max_num_f32_e32 v7, v56, v56
	v_lshlrev_b64_e32 v[3:4], 2, v[2:3]
	s_delay_alu instid0(VALU_DEP_1) | instskip(SKIP_1) | instid1(VALU_DEP_2)
	v_add_co_u32 v3, vcc_lo, s16, v3
	s_wait_alu 0xfffd
	v_add_co_ci_u32_e64 v4, null, s17, v4, vcc_lo
	global_load_b64 v[3:4], v[3:4], off
	s_wait_loadcnt 0x0
	v_dual_max_num_f32 v5, v55, v55 :: v_dual_max_num_f32 v12, v4, v4
	v_max_num_f32_e32 v6, v3, v3
	s_delay_alu instid0(VALU_DEP_1) | instskip(NEXT) | instid1(VALU_DEP_1)
	v_dual_max_num_f32 v5, v5, v6 :: v_dual_max_num_f32 v6, v7, v12
	v_dual_sub_f32 v7, v55, v5 :: v_dual_sub_f32 v12, v56, v6
	v_dual_sub_f32 v3, v3, v5 :: v_dual_sub_f32 v4, v4, v6
	s_delay_alu instid0(VALU_DEP_2) | instskip(NEXT) | instid1(VALU_DEP_2)
	v_dual_mov_b32 v56, v6 :: v_dual_mul_f32 v13, 0x3fb8aa3b, v7
	v_dual_mul_f32 v15, 0x3fb8aa3b, v12 :: v_dual_mul_f32 v14, 0x3fb8aa3b, v3
	s_delay_alu instid0(VALU_DEP_3) | instskip(SKIP_1) | instid1(VALU_DEP_4)
	v_mul_f32_e32 v16, 0x3fb8aa3b, v4
	v_cmp_ngt_f32_e32 vcc_lo, 0xc2ce8ed0, v7
	v_fma_f32 v17, 0x3fb8aa3b, v7, -v13
	v_rndne_f32_e32 v18, v13
	v_fma_f32 v19, 0x3fb8aa3b, v3, -v14
	v_fma_f32 v20, 0x3fb8aa3b, v12, -v15
	v_rndne_f32_e32 v21, v15
	v_rndne_f32_e32 v22, v14
	v_fmac_f32_e32 v17, 0x32a5705f, v7
	v_rndne_f32_e32 v24, v16
	v_dual_sub_f32 v13, v13, v18 :: v_dual_fmac_f32 v20, 0x32a5705f, v12
	s_delay_alu instid0(VALU_DEP_4) | instskip(SKIP_1) | instid1(VALU_DEP_4)
	v_dual_sub_f32 v15, v15, v21 :: v_dual_sub_f32 v14, v14, v22
	v_fma_f32 v23, 0x3fb8aa3b, v4, -v16
	v_dual_fmac_f32 v19, 0x32a5705f, v3 :: v_dual_sub_f32 v16, v16, v24
	s_delay_alu instid0(VALU_DEP_4) | instskip(SKIP_1) | instid1(VALU_DEP_4)
	v_add_f32_e32 v13, v13, v17
	v_cvt_i32_f32_e32 v17, v18
	v_fmac_f32_e32 v23, 0x32a5705f, v4
	s_delay_alu instid0(VALU_DEP_4) | instskip(NEXT) | instid1(VALU_DEP_4)
	v_dual_add_f32 v15, v15, v20 :: v_dual_add_f32 v14, v14, v19
	v_exp_f32_e32 v13, v13
	v_cvt_i32_f32_e32 v18, v21
	s_delay_alu instid0(VALU_DEP_3) | instskip(NEXT) | instid1(VALU_DEP_3)
	v_add_f32_e32 v16, v16, v23
	v_exp_f32_e32 v15, v15
	v_exp_f32_e32 v14, v14
	v_cvt_i32_f32_e32 v19, v22
	v_mov_b32_e32 v55, v5
	v_exp_f32_e32 v16, v16
	v_ldexp_f32 v13, v13, v17
	v_cvt_i32_f32_e32 v17, v24
	s_delay_alu instid0(TRANS32_DEP_3) | instskip(NEXT) | instid1(TRANS32_DEP_2)
	v_ldexp_f32 v15, v15, v18
	v_ldexp_f32 v14, v14, v19
	s_wait_alu 0xfffd
	v_cndmask_b32_e32 v13, 0, v13, vcc_lo
	v_cmp_ngt_f32_e32 vcc_lo, 0xc2ce8ed0, v12
	s_wait_alu 0xfffd
	v_cndmask_b32_e32 v15, 0, v15, vcc_lo
	v_cmp_nlt_f32_e32 vcc_lo, 0x42b17218, v7
	s_wait_alu 0xfffd
	v_cndmask_b32_e32 v7, 0x7f800000, v13, vcc_lo
	v_cmp_nlt_f32_e32 vcc_lo, 0x42b17218, v12
	v_ldexp_f32 v13, v16, v17
	s_wait_alu 0xfffd
	v_cndmask_b32_e32 v12, 0x7f800000, v15, vcc_lo
	v_cmp_ngt_f32_e32 vcc_lo, 0xc2ce8ed0, v3
	s_delay_alu instid0(VALU_DEP_2)
	v_cvt_f16_f32_e32 v16, v12
	s_wait_alu 0xfffd
	v_cndmask_b32_e32 v14, 0, v14, vcc_lo
	v_cmp_ngt_f32_e32 vcc_lo, 0xc2ce8ed0, v4
	s_wait_alu 0xfffd
	v_cndmask_b32_e32 v13, 0, v13, vcc_lo
	v_cmp_nlt_f32_e32 vcc_lo, 0x42b17218, v3
	s_wait_alu 0xfffd
	v_cndmask_b32_e32 v3, 0x7f800000, v14, vcc_lo
	v_cmp_nlt_f32_e32 vcc_lo, 0x42b17218, v4
	s_wait_alu 0xfffd
	s_delay_alu instid0(VALU_DEP_2) | instskip(NEXT) | instid1(VALU_DEP_1)
	v_dual_fmac_f32 v3, v0, v7 :: v_dual_cndmask_b32 v4, 0x7f800000, v13
	v_mov_b32_e32 v0, v3
	v_cvt_f16_f32_e32 v15, v7
	s_delay_alu instid0(VALU_DEP_3) | instskip(NEXT) | instid1(VALU_DEP_2)
	v_fmac_f32_e32 v4, v1, v12
	v_and_b32_e32 v14, 0xffff, v15
	v_and_b32_e32 v15, 0xffff, v16
	s_delay_alu instid0(VALU_DEP_3) | instskip(NEXT) | instid1(VALU_DEP_3)
	v_mov_b32_e32 v1, v4
	v_mul_u32_u24_e32 v7, 0x10001, v14
	s_delay_alu instid0(VALU_DEP_3) | instskip(NEXT) | instid1(VALU_DEP_2)
	v_mul_u32_u24_e32 v5, 0x10001, v15
	v_pk_mul_f16 v10, v10, v7
	v_pk_mul_f16 v11, v11, v7
	s_delay_alu instid0(VALU_DEP_3)
	v_pk_mul_f16 v9, v9, v5
	v_pk_mul_f16 v8, v8, v5
.LBB13_16:
	s_load_b32 s1, s[0:1], 0xd4
	v_mov_b32_e32 v7, 1.0
	s_wait_kmcnt 0x0
	s_cmp_lg_u32 s1, 1
	s_cselect_b32 s3, -1, 0
	s_cmp_eq_u32 s1, 1
	s_cselect_b32 s2, -1, 0
	s_wait_alu 0xfffe
	s_and_b32 vcc_lo, exec_lo, s3
	s_wait_alu 0xfffe
	s_cbranch_vccnz .LBB13_18
; %bb.17:
	v_div_scale_f32 v5, null, v0, v0, 1.0
	s_delay_alu instid0(VALU_DEP_1) | instskip(NEXT) | instid1(TRANS32_DEP_1)
	v_rcp_f32_e32 v6, v5
	v_fma_f32 v7, -v5, v6, 1.0
	s_delay_alu instid0(VALU_DEP_1) | instskip(SKIP_1) | instid1(VALU_DEP_1)
	v_fmac_f32_e32 v6, v7, v6
	v_div_scale_f32 v7, vcc_lo, 1.0, v0, 1.0
	v_mul_f32_e32 v12, v7, v6
	s_delay_alu instid0(VALU_DEP_1) | instskip(NEXT) | instid1(VALU_DEP_1)
	v_fma_f32 v13, -v5, v12, v7
	v_fmac_f32_e32 v12, v13, v6
	s_delay_alu instid0(VALU_DEP_1) | instskip(SKIP_1) | instid1(VALU_DEP_1)
	v_fma_f32 v5, -v5, v12, v7
	s_wait_alu 0xfffd
	v_div_fmas_f32 v5, v5, v6, v12
	s_delay_alu instid0(VALU_DEP_1)
	v_div_fixup_f32 v7, v5, v0, 1.0
.LBB13_18:
	v_mad_co_u64_u32 v[5:6], null, s28, s26, v[36:37]
	v_lshrrev_b32_e32 v0, 16, v10
	v_cmp_eq_u32_e32 vcc_lo, 0, v37
	s_delay_alu instid0(VALU_DEP_2) | instskip(NEXT) | instid1(VALU_DEP_4)
	v_cvt_f32_f16_e32 v0, v0
	v_mad_co_u64_u32 v[5:6], null, v5, s27, v[2:3]
	v_lshrrev_b32_e32 v2, 16, v11
	v_cvt_f32_f16_e32 v11, v11
	s_delay_alu instid0(VALU_DEP_2) | instskip(NEXT) | instid1(VALU_DEP_4)
	v_cvt_f32_f16_e32 v2, v2
	v_mad_co_u64_u32 v[5:6], null, s1, v5, s[14:15]
	v_cvt_f32_f16_e32 v6, v10
	s_delay_alu instid0(VALU_DEP_1) | instskip(NEXT) | instid1(VALU_DEP_3)
	v_dual_mov_b32 v13, 0 :: v_dual_mul_f32 v10, v7, v6
	v_lshl_add_u32 v12, v5, 7, v57
	s_delay_alu instid0(VALU_DEP_1) | instskip(SKIP_3) | instid1(VALU_DEP_4)
	v_lshlrev_b64_e32 v[14:15], 2, v[12:13]
	v_mul_f32_e32 v12, v7, v11
	v_mul_f32_e32 v11, v7, v0
	;; [unrolled: 1-line block ×3, first 2 shown]
	v_add_co_u32 v6, s0, s20, v14
	s_wait_alu 0xf1ff
	v_add_co_ci_u32_e64 v7, null, s21, v15, s0
	s_and_b32 s0, vcc_lo, s3
	global_store_b128 v[6:7], v[10:13], off
	s_wait_alu 0xfffe
	s_and_saveexec_b32 s3, s0
	s_cbranch_execz .LBB13_20
; %bb.19:
	v_ashrrev_i32_e32 v6, 31, v5
	v_mov_b32_e32 v2, v55
	s_delay_alu instid0(VALU_DEP_2) | instskip(NEXT) | instid1(VALU_DEP_1)
	v_lshlrev_b64_e32 v[6:7], 3, v[5:6]
	v_add_co_u32 v6, vcc_lo, s22, v6
	s_wait_alu 0xfffd
	s_delay_alu instid0(VALU_DEP_2)
	v_add_co_ci_u32_e64 v7, null, s23, v7, vcc_lo
	global_store_b64 v[6:7], v[2:3], off
.LBB13_20:
	s_wait_alu 0xfffe
	s_or_b32 exec_lo, exec_lo, s3
	v_mov_b32_e32 v2, 1.0
	s_and_not1_b32 vcc_lo, exec_lo, s2
	s_wait_alu 0xfffe
	s_cbranch_vccnz .LBB13_22
; %bb.21:
	v_div_scale_f32 v0, null, v1, v1, 1.0
	s_delay_alu instid0(VALU_DEP_1) | instskip(NEXT) | instid1(TRANS32_DEP_1)
	v_rcp_f32_e32 v2, v0
	v_fma_f32 v3, -v0, v2, 1.0
	s_delay_alu instid0(VALU_DEP_1) | instskip(SKIP_1) | instid1(VALU_DEP_1)
	v_fmac_f32_e32 v2, v3, v2
	v_div_scale_f32 v3, vcc_lo, 1.0, v1, 1.0
	v_mul_f32_e32 v6, v3, v2
	s_delay_alu instid0(VALU_DEP_1) | instskip(NEXT) | instid1(VALU_DEP_1)
	v_fma_f32 v7, -v0, v6, v3
	v_fmac_f32_e32 v6, v7, v2
	s_delay_alu instid0(VALU_DEP_1) | instskip(SKIP_1) | instid1(VALU_DEP_1)
	v_fma_f32 v0, -v0, v6, v3
	s_wait_alu 0xfffd
	v_div_fmas_f32 v0, v0, v2, v6
	s_delay_alu instid0(VALU_DEP_1)
	v_div_fixup_f32 v2, v0, v1, 1.0
.LBB13_22:
	v_cvt_f32_f16_e32 v7, v9
	v_add_nc_u32_e32 v0, s1, v5
	v_lshrrev_b32_e32 v3, 16, v8
	v_cvt_f32_f16_e32 v8, v8
	v_mov_b32_e32 v6, 0
	v_lshrrev_b32_e32 v1, 16, v9
	v_lshl_add_u32 v5, v0, 7, v57
	v_cvt_f32_f16_e32 v3, v3
	s_delay_alu instid0(VALU_DEP_3) | instskip(NEXT) | instid1(VALU_DEP_3)
	v_cvt_f32_f16_e32 v1, v1
	v_lshlrev_b64_e32 v[9:10], 2, v[5:6]
	v_mul_f32_e32 v5, v2, v7
	v_mul_f32_e32 v7, v2, v8
	;; [unrolled: 1-line block ×4, first 2 shown]
	v_add_co_u32 v1, vcc_lo, s20, v9
	s_wait_alu 0xfffd
	v_add_co_ci_u32_e64 v2, null, s21, v10, vcc_lo
	global_store_b128 v[1:2], v[5:8], off
	s_and_saveexec_b32 s1, s0
	s_cbranch_execz .LBB13_24
; %bb.23:
	v_ashrrev_i32_e32 v1, 31, v0
	v_mov_b32_e32 v3, v56
	s_delay_alu instid0(VALU_DEP_2) | instskip(NEXT) | instid1(VALU_DEP_1)
	v_lshlrev_b64_e32 v[0:1], 3, v[0:1]
	v_add_co_u32 v0, vcc_lo, s22, v0
	s_wait_alu 0xfffd
	s_delay_alu instid0(VALU_DEP_2)
	v_add_co_ci_u32_e64 v1, null, s23, v1, vcc_lo
	global_store_b64 v[0:1], v[3:4], off
.LBB13_24:
	s_nop 0
	s_sendmsg sendmsg(MSG_DEALLOC_VGPRS)
	s_endpgm
	.section	.rodata,"a",@progbits
	.p2align	6, 0x0
	.amdhsa_kernel _ZL15flash_attn_tileILi128ELi128ELi1ELi8ELb0EEvPKcS1_S1_S1_S1_PKiPfP15HIP_vector_typeIfLj2EEffffjfiS5_IjLj3EEiiiiiiiiiiiliiliiiiil
		.amdhsa_group_segment_fixed_size 12288
		.amdhsa_private_segment_fixed_size 0
		.amdhsa_kernarg_size 464
		.amdhsa_user_sgpr_count 2
		.amdhsa_user_sgpr_dispatch_ptr 0
		.amdhsa_user_sgpr_queue_ptr 0
		.amdhsa_user_sgpr_kernarg_segment_ptr 1
		.amdhsa_user_sgpr_dispatch_id 0
		.amdhsa_user_sgpr_private_segment_size 0
		.amdhsa_wavefront_size32 1
		.amdhsa_uses_dynamic_stack 0
		.amdhsa_enable_private_segment 0
		.amdhsa_system_sgpr_workgroup_id_x 1
		.amdhsa_system_sgpr_workgroup_id_y 1
		.amdhsa_system_sgpr_workgroup_id_z 1
		.amdhsa_system_sgpr_workgroup_info 0
		.amdhsa_system_vgpr_workitem_id 1
		.amdhsa_next_free_vgpr 137
		.amdhsa_next_free_sgpr 44
		.amdhsa_reserve_vcc 1
		.amdhsa_float_round_mode_32 0
		.amdhsa_float_round_mode_16_64 0
		.amdhsa_float_denorm_mode_32 3
		.amdhsa_float_denorm_mode_16_64 3
		.amdhsa_fp16_overflow 0
		.amdhsa_workgroup_processor_mode 1
		.amdhsa_memory_ordered 1
		.amdhsa_forward_progress 1
		.amdhsa_inst_pref_size 86
		.amdhsa_round_robin_scheduling 0
		.amdhsa_exception_fp_ieee_invalid_op 0
		.amdhsa_exception_fp_denorm_src 0
		.amdhsa_exception_fp_ieee_div_zero 0
		.amdhsa_exception_fp_ieee_overflow 0
		.amdhsa_exception_fp_ieee_underflow 0
		.amdhsa_exception_fp_ieee_inexact 0
		.amdhsa_exception_int_div_zero 0
	.end_amdhsa_kernel
	.section	.text._ZL15flash_attn_tileILi128ELi128ELi1ELi8ELb0EEvPKcS1_S1_S1_S1_PKiPfP15HIP_vector_typeIfLj2EEffffjfiS5_IjLj3EEiiiiiiiiiiiliiliiiiil,"axG",@progbits,_ZL15flash_attn_tileILi128ELi128ELi1ELi8ELb0EEvPKcS1_S1_S1_S1_PKiPfP15HIP_vector_typeIfLj2EEffffjfiS5_IjLj3EEiiiiiiiiiiiliiliiiiil,comdat
.Lfunc_end13:
	.size	_ZL15flash_attn_tileILi128ELi128ELi1ELi8ELb0EEvPKcS1_S1_S1_S1_PKiPfP15HIP_vector_typeIfLj2EEffffjfiS5_IjLj3EEiiiiiiiiiiiliiliiiiil, .Lfunc_end13-_ZL15flash_attn_tileILi128ELi128ELi1ELi8ELb0EEvPKcS1_S1_S1_S1_PKiPfP15HIP_vector_typeIfLj2EEffffjfiS5_IjLj3EEiiiiiiiiiiiliiliiiiil
                                        ; -- End function
	.set _ZL15flash_attn_tileILi128ELi128ELi1ELi8ELb0EEvPKcS1_S1_S1_S1_PKiPfP15HIP_vector_typeIfLj2EEffffjfiS5_IjLj3EEiiiiiiiiiiiliiliiiiil.num_vgpr, 137
	.set _ZL15flash_attn_tileILi128ELi128ELi1ELi8ELb0EEvPKcS1_S1_S1_S1_PKiPfP15HIP_vector_typeIfLj2EEffffjfiS5_IjLj3EEiiiiiiiiiiiliiliiiiil.num_agpr, 0
	.set _ZL15flash_attn_tileILi128ELi128ELi1ELi8ELb0EEvPKcS1_S1_S1_S1_PKiPfP15HIP_vector_typeIfLj2EEffffjfiS5_IjLj3EEiiiiiiiiiiiliiliiiiil.numbered_sgpr, 44
	.set _ZL15flash_attn_tileILi128ELi128ELi1ELi8ELb0EEvPKcS1_S1_S1_S1_PKiPfP15HIP_vector_typeIfLj2EEffffjfiS5_IjLj3EEiiiiiiiiiiiliiliiiiil.num_named_barrier, 0
	.set _ZL15flash_attn_tileILi128ELi128ELi1ELi8ELb0EEvPKcS1_S1_S1_S1_PKiPfP15HIP_vector_typeIfLj2EEffffjfiS5_IjLj3EEiiiiiiiiiiiliiliiiiil.private_seg_size, 0
	.set _ZL15flash_attn_tileILi128ELi128ELi1ELi8ELb0EEvPKcS1_S1_S1_S1_PKiPfP15HIP_vector_typeIfLj2EEffffjfiS5_IjLj3EEiiiiiiiiiiiliiliiiiil.uses_vcc, 1
	.set _ZL15flash_attn_tileILi128ELi128ELi1ELi8ELb0EEvPKcS1_S1_S1_S1_PKiPfP15HIP_vector_typeIfLj2EEffffjfiS5_IjLj3EEiiiiiiiiiiiliiliiiiil.uses_flat_scratch, 0
	.set _ZL15flash_attn_tileILi128ELi128ELi1ELi8ELb0EEvPKcS1_S1_S1_S1_PKiPfP15HIP_vector_typeIfLj2EEffffjfiS5_IjLj3EEiiiiiiiiiiiliiliiiiil.has_dyn_sized_stack, 0
	.set _ZL15flash_attn_tileILi128ELi128ELi1ELi8ELb0EEvPKcS1_S1_S1_S1_PKiPfP15HIP_vector_typeIfLj2EEffffjfiS5_IjLj3EEiiiiiiiiiiiliiliiiiil.has_recursion, 0
	.set _ZL15flash_attn_tileILi128ELi128ELi1ELi8ELb0EEvPKcS1_S1_S1_S1_PKiPfP15HIP_vector_typeIfLj2EEffffjfiS5_IjLj3EEiiiiiiiiiiiliiliiiiil.has_indirect_call, 0
	.section	.AMDGPU.csdata,"",@progbits
; Kernel info:
; codeLenInByte = 10976
; TotalNumSgprs: 46
; NumVgprs: 137
; ScratchSize: 0
; MemoryBound: 0
; FloatMode: 240
; IeeeMode: 1
; LDSByteSize: 12288 bytes/workgroup (compile time only)
; SGPRBlocks: 0
; VGPRBlocks: 17
; NumSGPRsForWavesPerEU: 46
; NumVGPRsForWavesPerEU: 137
; Occupancy: 10
; WaveLimiterHint : 1
; COMPUTE_PGM_RSRC2:SCRATCH_EN: 0
; COMPUTE_PGM_RSRC2:USER_SGPR: 2
; COMPUTE_PGM_RSRC2:TRAP_HANDLER: 0
; COMPUTE_PGM_RSRC2:TGID_X_EN: 1
; COMPUTE_PGM_RSRC2:TGID_Y_EN: 1
; COMPUTE_PGM_RSRC2:TGID_Z_EN: 1
; COMPUTE_PGM_RSRC2:TIDIG_COMP_CNT: 1
	.section	.text._ZL25flash_attn_mask_to_KV_maxILi1EEvPK7__half2Piiii,"axG",@progbits,_ZL25flash_attn_mask_to_KV_maxILi1EEvPK7__half2Piiii,comdat
	.globl	_ZL25flash_attn_mask_to_KV_maxILi1EEvPK7__half2Piiii ; -- Begin function _ZL25flash_attn_mask_to_KV_maxILi1EEvPK7__half2Piiii
	.p2align	8
	.type	_ZL25flash_attn_mask_to_KV_maxILi1EEvPK7__half2Piiii,@function
_ZL25flash_attn_mask_to_KV_maxILi1EEvPK7__half2Piiii: ; @_ZL25flash_attn_mask_to_KV_maxILi1EEvPK7__half2Piiii
; %bb.0:
	s_load_b64 s[4:5], s[0:1], 0x0
	s_mov_b32 s2, exec_lo
	v_cmpx_gt_u32_e32 32, v0
; %bb.1:
	v_dual_mov_b32 v2, 1 :: v_dual_lshlrev_b32 v1, 2, v0
	ds_store_b32 v1, v2
; %bb.2:
	s_or_b32 exec_lo, exec_lo, s2
	s_clause 0x2
	s_load_b96 s[8:10], s[0:1], 0x10
	s_load_b64 s[2:3], s[0:1], 0x8
	s_load_b32 s1, s[0:1], 0x20
	v_dual_mov_b32 v2, 0 :: v_dual_and_b32 v1, 31, v0
	v_lshrrev_b32_e32 v3, 3, v0
	s_wait_dscnt 0x0
	s_barrier_signal -1
	s_delay_alu instid0(VALU_DEP_2)
	v_lshlrev_b32_e32 v4, 2, v1
	s_barrier_wait -1
	global_inv scope:SCOPE_SE
	s_wait_kmcnt 0x0
	s_mul_i32 s0, s10, ttmp7
	s_mul_i32 s6, s9, ttmp9
	s_delay_alu instid0(SALU_CYCLE_1) | instskip(SKIP_2) | instid1(SALU_CYCLE_1)
	s_add_co_i32 s6, s0, s6
	v_cmp_eq_u32_e64 s0, 0, v1
	s_ashr_i32 s7, s6, 31
	s_lshl_b64 s[6:7], s[6:7], 2
	s_delay_alu instid0(SALU_CYCLE_1)
	s_add_nc_u64 s[4:5], s[4:5], s[6:7]
	s_lshl_b32 s7, s8, 8
	s_branch .LBB14_4
.LBB14_3:                               ;   in Loop: Header=BB14_4 Depth=1
	s_wait_alu 0xfffe
	s_or_b32 exec_lo, exec_lo, s9
	s_wait_dscnt 0x0
	s_barrier_signal -1
	s_barrier_wait -1
	global_inv scope:SCOPE_SE
	ds_load_b32 v1, v4
	s_wait_loadcnt_dscnt 0x0
	s_barrier_signal -1
	s_barrier_wait -1
	global_inv scope:SCOPE_SE
	v_cmp_ne_u32_e32 vcc_lo, 0, v1
	s_cmp_lg_u32 vcc_lo, exec_lo
	s_cselect_b32 s8, -1, 0
	s_wait_alu 0xfffe
	s_and_b32 vcc_lo, exec_lo, s8
	s_wait_alu 0xfffe
	s_cbranch_vccnz .LBB14_8
.LBB14_4:                               ; =>This Inner Loop Header: Depth=1
	s_mov_b32 s6, s7
	s_addk_co_i32 s7, 0xff00
	s_delay_alu instid0(SALU_CYCLE_1)
	s_cmp_lt_i32 s7, 0
	s_cbranch_scc1 .LBB14_7
; %bb.5:                                ;   in Loop: Header=BB14_4 Depth=1
	s_lshr_b32 s9, s7, 1
	s_mov_b32 s8, exec_lo
	s_wait_alu 0xfffe
	v_add_nc_u32_e32 v1, s9, v0
	s_delay_alu instid0(VALU_DEP_1) | instskip(NEXT) | instid1(VALU_DEP_1)
	v_lshlrev_b64_e32 v[5:6], 2, v[1:2]
	v_add_co_u32 v5, vcc_lo, s4, v5
	s_wait_alu 0xfffd
	s_delay_alu instid0(VALU_DEP_2) | instskip(SKIP_4) | instid1(VALU_DEP_2)
	v_add_co_ci_u32_e64 v6, null, s5, v6, vcc_lo
	global_load_b32 v1, v[5:6], off
	s_wait_loadcnt 0x0
	v_lshrrev_b32_e32 v5, 16, v1
	v_cmp_class_f16_e64 s9, v1, 0x204
	v_cmp_class_f16_e64 s10, v5, 0x204
	s_and_b32 s9, s9, s10
	s_wait_alu 0xfffe
	v_cndmask_b32_e64 v1, 0, 1, s9
	s_delay_alu instid0(VALU_DEP_1)
	v_cmp_ne_u32_e32 vcc_lo, 0, v1
	s_and_saveexec_b32 s9, s0
	s_cbranch_execz .LBB14_3
; %bb.6:                                ;   in Loop: Header=BB14_4 Depth=1
	s_cmp_eq_u32 vcc_lo, s8
	s_cselect_b32 s8, -1, 0
	s_wait_alu 0xfffe
	v_cndmask_b32_e64 v1, 0, 1, s8
	ds_store_b32 v3, v1
	s_branch .LBB14_3
.LBB14_7:                               ;   in Loop: Header=BB14_4 Depth=1
	s_cbranch_execz .LBB14_4
.LBB14_8:
	s_mov_b32 s0, exec_lo
	v_cmpx_eq_u32_e32 0, v0
	s_cbranch_execz .LBB14_10
; %bb.9:
	s_mul_i32 s0, s1, ttmp7
	v_dual_mov_b32 v0, 0 :: v_dual_mov_b32 v1, s6
	s_add_co_i32 s0, s0, ttmp9
	s_delay_alu instid0(SALU_CYCLE_1) | instskip(NEXT) | instid1(SALU_CYCLE_1)
	s_ashr_i32 s1, s0, 31
	s_lshl_b64 s[0:1], s[0:1], 2
	s_delay_alu instid0(SALU_CYCLE_1)
	s_add_nc_u64 s[0:1], s[2:3], s[0:1]
	global_store_b32 v0, v1, s[0:1]
.LBB14_10:
	s_endpgm
	.section	.rodata,"a",@progbits
	.p2align	6, 0x0
	.amdhsa_kernel _ZL25flash_attn_mask_to_KV_maxILi1EEvPK7__half2Piiii
		.amdhsa_group_segment_fixed_size 128
		.amdhsa_private_segment_fixed_size 0
		.amdhsa_kernarg_size 288
		.amdhsa_user_sgpr_count 2
		.amdhsa_user_sgpr_dispatch_ptr 0
		.amdhsa_user_sgpr_queue_ptr 0
		.amdhsa_user_sgpr_kernarg_segment_ptr 1
		.amdhsa_user_sgpr_dispatch_id 0
		.amdhsa_user_sgpr_private_segment_size 0
		.amdhsa_wavefront_size32 1
		.amdhsa_uses_dynamic_stack 0
		.amdhsa_enable_private_segment 0
		.amdhsa_system_sgpr_workgroup_id_x 1
		.amdhsa_system_sgpr_workgroup_id_y 1
		.amdhsa_system_sgpr_workgroup_id_z 0
		.amdhsa_system_sgpr_workgroup_info 0
		.amdhsa_system_vgpr_workitem_id 0
		.amdhsa_next_free_vgpr 7
		.amdhsa_next_free_sgpr 11
		.amdhsa_reserve_vcc 1
		.amdhsa_float_round_mode_32 0
		.amdhsa_float_round_mode_16_64 0
		.amdhsa_float_denorm_mode_32 3
		.amdhsa_float_denorm_mode_16_64 3
		.amdhsa_fp16_overflow 0
		.amdhsa_workgroup_processor_mode 1
		.amdhsa_memory_ordered 1
		.amdhsa_forward_progress 1
		.amdhsa_inst_pref_size 4
		.amdhsa_round_robin_scheduling 0
		.amdhsa_exception_fp_ieee_invalid_op 0
		.amdhsa_exception_fp_denorm_src 0
		.amdhsa_exception_fp_ieee_div_zero 0
		.amdhsa_exception_fp_ieee_overflow 0
		.amdhsa_exception_fp_ieee_underflow 0
		.amdhsa_exception_fp_ieee_inexact 0
		.amdhsa_exception_int_div_zero 0
	.end_amdhsa_kernel
	.section	.text._ZL25flash_attn_mask_to_KV_maxILi1EEvPK7__half2Piiii,"axG",@progbits,_ZL25flash_attn_mask_to_KV_maxILi1EEvPK7__half2Piiii,comdat
.Lfunc_end14:
	.size	_ZL25flash_attn_mask_to_KV_maxILi1EEvPK7__half2Piiii, .Lfunc_end14-_ZL25flash_attn_mask_to_KV_maxILi1EEvPK7__half2Piiii
                                        ; -- End function
	.set _ZL25flash_attn_mask_to_KV_maxILi1EEvPK7__half2Piiii.num_vgpr, 7
	.set _ZL25flash_attn_mask_to_KV_maxILi1EEvPK7__half2Piiii.num_agpr, 0
	.set _ZL25flash_attn_mask_to_KV_maxILi1EEvPK7__half2Piiii.numbered_sgpr, 11
	.set _ZL25flash_attn_mask_to_KV_maxILi1EEvPK7__half2Piiii.num_named_barrier, 0
	.set _ZL25flash_attn_mask_to_KV_maxILi1EEvPK7__half2Piiii.private_seg_size, 0
	.set _ZL25flash_attn_mask_to_KV_maxILi1EEvPK7__half2Piiii.uses_vcc, 1
	.set _ZL25flash_attn_mask_to_KV_maxILi1EEvPK7__half2Piiii.uses_flat_scratch, 0
	.set _ZL25flash_attn_mask_to_KV_maxILi1EEvPK7__half2Piiii.has_dyn_sized_stack, 0
	.set _ZL25flash_attn_mask_to_KV_maxILi1EEvPK7__half2Piiii.has_recursion, 0
	.set _ZL25flash_attn_mask_to_KV_maxILi1EEvPK7__half2Piiii.has_indirect_call, 0
	.section	.AMDGPU.csdata,"",@progbits
; Kernel info:
; codeLenInByte = 496
; TotalNumSgprs: 13
; NumVgprs: 7
; ScratchSize: 0
; MemoryBound: 0
; FloatMode: 240
; IeeeMode: 1
; LDSByteSize: 128 bytes/workgroup (compile time only)
; SGPRBlocks: 0
; VGPRBlocks: 0
; NumSGPRsForWavesPerEU: 13
; NumVGPRsForWavesPerEU: 7
; Occupancy: 16
; WaveLimiterHint : 0
; COMPUTE_PGM_RSRC2:SCRATCH_EN: 0
; COMPUTE_PGM_RSRC2:USER_SGPR: 2
; COMPUTE_PGM_RSRC2:TRAP_HANDLER: 0
; COMPUTE_PGM_RSRC2:TGID_X_EN: 1
; COMPUTE_PGM_RSRC2:TGID_Y_EN: 1
; COMPUTE_PGM_RSRC2:TGID_Z_EN: 0
; COMPUTE_PGM_RSRC2:TIDIG_COMP_CNT: 0
	.section	.text._ZL33flash_attn_stream_k_fixup_uniformILi128ELi1ELi8EEvPfPK15HIP_vector_typeIfLj2EEiiiiiiS1_IjLj3EES5_S5_,"axG",@progbits,_ZL33flash_attn_stream_k_fixup_uniformILi128ELi1ELi8EEvPfPK15HIP_vector_typeIfLj2EEiiiiiiS1_IjLj3EES5_S5_,comdat
	.globl	_ZL33flash_attn_stream_k_fixup_uniformILi128ELi1ELi8EEvPfPK15HIP_vector_typeIfLj2EEiiiiiiS1_IjLj3EES5_S5_ ; -- Begin function _ZL33flash_attn_stream_k_fixup_uniformILi128ELi1ELi8EEvPfPK15HIP_vector_typeIfLj2EEiiiiiiS1_IjLj3EES5_S5_
	.p2align	8
	.type	_ZL33flash_attn_stream_k_fixup_uniformILi128ELi1ELi8EEvPfPK15HIP_vector_typeIfLj2EEiiiiiiS1_IjLj3EES5_S5_,@function
_ZL33flash_attn_stream_k_fixup_uniformILi128ELi1ELi8EEvPfPK15HIP_vector_typeIfLj2EEiiiiiiS1_IjLj3EES5_S5_: ; @_ZL33flash_attn_stream_k_fixup_uniformILi128ELi1ELi8EEvPfPK15HIP_vector_typeIfLj2EEiiiiiiS1_IjLj3EES5_S5_
; %bb.0:
	s_clause 0x1
	s_load_b256 s[4:11], s[0:1], 0x1c
	s_load_b128 s[16:19], s[0:1], 0x3c
	s_wait_kmcnt 0x0
	s_mul_hi_u32 s2, s7, ttmp9
	s_delay_alu instid0(SALU_CYCLE_1) | instskip(NEXT) | instid1(SALU_CYCLE_1)
	s_add_co_i32 s2, ttmp9, s2
	s_lshr_b32 s12, s2, s8
	s_delay_alu instid0(SALU_CYCLE_1) | instskip(SKIP_2) | instid1(SALU_CYCLE_1)
	s_mul_i32 s2, s12, s9
	s_load_b64 s[8:9], s[0:1], 0x10
	s_sub_co_i32 s2, ttmp9, s2
	s_mul_hi_u32 s3, s2, s10
	s_and_b32 s10, ttmp7, 0xffff
	s_add_co_i32 s3, s2, s3
	s_delay_alu instid0(SALU_CYCLE_1) | instskip(NEXT) | instid1(SALU_CYCLE_1)
	s_lshr_b32 s11, s3, s11
	s_mul_i32 s3, s11, s16
	s_delay_alu instid0(SALU_CYCLE_1) | instskip(NEXT) | instid1(SALU_CYCLE_1)
	s_sub_co_i32 s2, s2, s3
	s_mul_hi_u32 s3, s2, s17
	s_delay_alu instid0(SALU_CYCLE_1) | instskip(NEXT) | instid1(SALU_CYCLE_1)
	s_add_co_i32 s3, s2, s3
	s_lshr_b32 s3, s3, s18
	s_delay_alu instid0(SALU_CYCLE_1)
	s_mul_i32 s7, s3, s19
	s_lshl_b32 s14, s3, 3
	s_sub_co_i32 s13, s2, s7
	s_lshr_b32 s7, ttmp7, 16
	s_add_co_i32 s13, s13, s10
	s_wait_kmcnt 0x0
	s_cmp_lt_i32 s13, s8
	s_cselect_b32 s2, -1, 0
	s_add_co_i32 s14, s14, s7
	s_delay_alu instid0(SALU_CYCLE_1) | instskip(SKIP_1) | instid1(SALU_CYCLE_1)
	s_cmp_lt_i32 s14, s5
	s_cselect_b32 s3, -1, 0
	s_and_b32 s2, s2, s3
	s_delay_alu instid0(SALU_CYCLE_1)
	s_and_not1_b32 vcc_lo, exec_lo, s2
	s_cbranch_vccnz .LBB15_6
; %bb.1:
	s_mul_i32 s12, s12, s8
	s_mul_i32 s11, s11, s5
	s_add_co_i32 s5, s13, s12
	s_load_b128 s[0:3], s[0:1], 0x0
	s_add_co_i32 s8, s14, s11
	s_mul_i32 s5, s5, s9
	s_delay_alu instid0(SALU_CYCLE_1) | instskip(NEXT) | instid1(SALU_CYCLE_1)
	s_add_co_i32 s8, s8, s5
	v_lshl_or_b32 v1, s8, 7, v0
	s_mul_i32 s8, s6, ttmp9
	s_wait_alu 0xfffe
	s_add_co_i32 s9, s8, s6
	s_delay_alu instid0(VALU_DEP_1) | instskip(SKIP_2) | instid1(VALU_DEP_1)
	v_ashrrev_i32_e32 v2, 31, v1
	s_wait_alu 0xfffe
	s_add_co_i32 s5, s9, -2
	v_lshlrev_b64_e32 v[1:2], 2, v[1:2]
	s_wait_kmcnt 0x0
	s_delay_alu instid0(VALU_DEP_1) | instskip(NEXT) | instid1(VALU_DEP_1)
	v_add_co_u32 v1, vcc_lo, s0, v1
	v_add_co_ci_u32_e64 v2, null, s1, v2, vcc_lo
	s_add_co_i32 s0, s10, s9
	s_wait_alu 0xfffe
	s_lshl_b32 s0, s0, 3
	global_load_b32 v5, v[1:2], off
	s_wait_alu 0xfffe
	s_add_co_i32 s0, s0, s7
	s_wait_alu 0xfffe
	s_add_co_i32 s0, s0, -8
	s_wait_alu 0xfffe
	s_ashr_i32 s1, s0, 31
	s_wait_alu 0xfffe
	s_lshl_b64 s[0:1], s[0:1], 3
	s_cmp_lt_i32 s5, s8
	s_wait_alu 0xfffe
	s_add_nc_u64 s[0:1], s[2:3], s[0:1]
	s_load_b32 s11, s[0:1], 0x4
	s_cbranch_scc1 .LBB15_4
; %bb.2:
	s_load_b32 s0, s[0:1], 0x0
	s_add_co_i32 s1, ttmp9, 1
	s_lshl_b32 s5, s7, 7
	s_wait_alu 0xfffe
	s_mul_i32 s1, s6, s1
	s_lshl_b32 s6, s10, 10
	s_wait_alu 0xfffe
	s_lshl_b32 s1, s1, 10
	s_add_co_i32 s5, s5, s6
	s_lshl_b32 s12, s4, 5
	s_wait_alu 0xfffe
	s_add_co_i32 s5, s5, s1
	s_add_co_i32 s1, s10, s4
	v_or_b32_e32 v0, s5, v0
	s_wait_alu 0xfffe
	s_add_co_i32 s1, s1, s9
	s_ashr_i32 s13, s12, 31
	s_wait_alu 0xfffe
	s_lshl_b32 s1, s1, 3
	s_wait_kmcnt 0x0
	v_dual_mov_b32 v6, s11 :: v_dual_add_nc_u32 v3, 0xfffff800, v0
	s_lshl_b64 s[4:5], s[12:13], 2
	s_wait_alu 0xfffe
	s_add_co_i32 s6, s7, s1
	s_add_nc_u64 s[4:5], s[2:3], s[4:5]
	s_add_co_i32 s1, s9, -1
	s_add_co_i32 s6, s6, -16
.LBB15_3:                               ; =>This Inner Loop Header: Depth=1
	v_ashrrev_i32_e32 v4, 31, v3
	s_ashr_i32 s7, s6, 31
	v_mov_b32_e32 v10, v6
	s_lshl_b64 s[10:11], s[6:7], 3
	s_wait_loadcnt 0x0
	v_mov_b32_e32 v9, v5
	v_lshlrev_b64_e32 v[7:8], 2, v[3:4]
	s_wait_alu 0xfffe
	s_add_nc_u64 s[10:11], s[2:3], s[10:11]
	v_max_num_f32_e64 v4, s0, s0
	s_load_b64 s[10:11], s[10:11], 0x0
	v_add_nc_u32_e32 v3, 0xfffffc00, v3
	v_add_co_u32 v7, vcc_lo, s4, v7
	s_wait_alu 0xfffd
	v_add_co_ci_u32_e64 v8, null, s5, v8, vcc_lo
	v_readfirstlane_b32 s7, v4
	global_load_b32 v0, v[7:8], off
	s_wait_kmcnt 0x0
	v_max_num_f32_e64 v4, s10, s10
	s_delay_alu instid0(VALU_DEP_1) | instskip(SKIP_1) | instid1(SALU_CYCLE_3)
	v_readfirstlane_b32 s9, v4
	s_max_num_f32 s7, s7, s9
	s_sub_f32 s0, s0, s7
	s_sub_f32 s9, s10, s7
	s_wait_alu 0xfffe
	s_delay_alu instid0(SALU_CYCLE_1) | instskip(NEXT) | instid1(SALU_CYCLE_1)
	s_mul_f32 s10, s0, 0x3fb8aa3b
	s_mul_f32 s12, s9, 0x3fb8aa3b
	s_wait_alu 0xfffe
	s_delay_alu instid0(SALU_CYCLE_1)
	s_xor_b32 s13, s10, 0x80000000
	s_rndne_f32 s14, s10
	s_fmamk_f32 s13, s0, 0x3fb8aa3b, s13
	s_cmp_nlt_f32 s0, 0xc2ce8ed0
	s_rndne_f32 s15, s12
	s_wait_alu 0xfffe
	s_sub_f32 s10, s10, s14
	s_fmamk_f32 s13, s0, 0x32a5705f, s13
	s_cvt_i32_f32 s14, s14
	s_cselect_b32 vcc_lo, -1, 0
	s_cmp_ngt_f32 s0, 0x42b17218
	s_wait_alu 0xfffe
	s_add_f32 s10, s10, s13
	s_sub_f32 s13, s12, s15
	s_wait_alu 0xfffe
	s_delay_alu instid0(SALU_CYCLE_1) | instskip(SKIP_1) | instid1(TRANS32_DEP_1)
	v_s_exp_f32 s10, s10
	s_wait_alu 0xf1ff
	v_ldexp_f32 v4, s10, s14
	s_cvt_i32_f32 s10, s15
	s_delay_alu instid0(VALU_DEP_1) | instskip(SKIP_3) | instid1(VALU_DEP_1)
	v_cndmask_b32_e32 v4, 0, v4, vcc_lo
	s_cselect_b32 vcc_lo, -1, 0
	s_cmp_ge_f32 s0, 0xc1a00000
	s_wait_alu 0xfffe
	v_cndmask_b32_e32 v4, 0x7f800000, v4, vcc_lo
	s_cselect_b32 vcc_lo, -1, 0
	s_xor_b32 s0, s12, 0x80000000
	s_cmp_nlt_f32 s9, 0xc2ce8ed0
	s_wait_alu 0xfffe
	s_fmamk_f32 s0, s9, 0x3fb8aa3b, s0
	s_wait_alu 0xfffe
	s_delay_alu instid0(SALU_CYCLE_2) | instskip(SKIP_1) | instid1(SALU_CYCLE_2)
	s_fmamk_f32 s0, s9, 0x32a5705f, s0
	s_wait_alu 0xfffe
	s_add_f32 s0, s13, s0
	s_wait_alu 0xfffe
	s_delay_alu instid0(SALU_CYCLE_2) | instskip(SKIP_1) | instid1(TRANS32_DEP_1)
	v_s_exp_f32 s0, s0
	s_wait_alu 0xf1ff
	v_ldexp_f32 v7, s0, s10
	s_cselect_b32 s0, -1, 0
	s_cmp_ngt_f32 s9, 0x42b17218
	s_wait_alu 0xfffe
	s_delay_alu instid0(VALU_DEP_1) | instskip(SKIP_3) | instid1(VALU_DEP_1)
	v_cndmask_b32_e64 v7, 0, v7, s0
	s_cselect_b32 s0, -1, 0
	s_cmp_ge_f32 s9, 0xc1a00000
	s_wait_alu 0xfffe
	v_cndmask_b32_e64 v7, 0x7f800000, v7, s0
	s_cselect_b32 s0, -1, 0
	s_add_co_i32 s1, s1, -1
	s_add_co_i32 s6, s6, -8
	s_wait_alu 0xfffe
	s_cmp_le_i32 s1, s8
	v_cndmask_b32_e64 v7, 0, v7, s0
	s_mov_b32 s0, s7
	s_wait_loadcnt 0x0
	s_delay_alu instid0(VALU_DEP_1) | instskip(NEXT) | instid1(VALU_DEP_1)
	v_dual_mul_f32 v5, v0, v7 :: v_dual_cndmask_b32 v4, 0, v4
	v_dual_mul_f32 v8, s11, v7 :: v_dual_fmac_f32 v5, v9, v4
	s_delay_alu instid0(VALU_DEP_1) | instskip(NEXT) | instid1(VALU_DEP_1)
	v_mov_b32_e32 v6, v8
	v_fmac_f32_e32 v6, v10, v4
	s_cbranch_scc0 .LBB15_3
	s_branch .LBB15_5
.LBB15_4:
	s_wait_kmcnt 0x0
	v_mov_b32_e32 v6, s11
.LBB15_5:
	s_wait_loadcnt 0x0
	s_delay_alu instid0(VALU_DEP_1) | instskip(NEXT) | instid1(VALU_DEP_1)
	v_div_scale_f32 v0, null, v6, v6, v5
	v_rcp_f32_e32 v3, v0
	s_delay_alu instid0(TRANS32_DEP_1) | instskip(NEXT) | instid1(VALU_DEP_1)
	v_fma_f32 v4, -v0, v3, 1.0
	v_fmac_f32_e32 v3, v4, v3
	v_div_scale_f32 v4, vcc_lo, v5, v6, v5
	s_delay_alu instid0(VALU_DEP_1) | instskip(NEXT) | instid1(VALU_DEP_1)
	v_mul_f32_e32 v7, v4, v3
	v_fma_f32 v8, -v0, v7, v4
	s_delay_alu instid0(VALU_DEP_1) | instskip(NEXT) | instid1(VALU_DEP_1)
	v_fmac_f32_e32 v7, v8, v3
	v_fma_f32 v0, -v0, v7, v4
	s_wait_alu 0xfffd
	s_delay_alu instid0(VALU_DEP_1) | instskip(NEXT) | instid1(VALU_DEP_1)
	v_div_fmas_f32 v0, v0, v3, v7
	v_div_fixup_f32 v0, v0, v6, v5
	global_store_b32 v[1:2], v0, off
.LBB15_6:
	s_endpgm
	.section	.rodata,"a",@progbits
	.p2align	6, 0x0
	.amdhsa_kernel _ZL33flash_attn_stream_k_fixup_uniformILi128ELi1ELi8EEvPfPK15HIP_vector_typeIfLj2EEiiiiiiS1_IjLj3EES5_S5_
		.amdhsa_group_segment_fixed_size 0
		.amdhsa_private_segment_fixed_size 0
		.amdhsa_kernarg_size 76
		.amdhsa_user_sgpr_count 2
		.amdhsa_user_sgpr_dispatch_ptr 0
		.amdhsa_user_sgpr_queue_ptr 0
		.amdhsa_user_sgpr_kernarg_segment_ptr 1
		.amdhsa_user_sgpr_dispatch_id 0
		.amdhsa_user_sgpr_private_segment_size 0
		.amdhsa_wavefront_size32 1
		.amdhsa_uses_dynamic_stack 0
		.amdhsa_enable_private_segment 0
		.amdhsa_system_sgpr_workgroup_id_x 1
		.amdhsa_system_sgpr_workgroup_id_y 1
		.amdhsa_system_sgpr_workgroup_id_z 1
		.amdhsa_system_sgpr_workgroup_info 0
		.amdhsa_system_vgpr_workitem_id 0
		.amdhsa_next_free_vgpr 11
		.amdhsa_next_free_sgpr 20
		.amdhsa_reserve_vcc 1
		.amdhsa_float_round_mode_32 0
		.amdhsa_float_round_mode_16_64 0
		.amdhsa_float_denorm_mode_32 3
		.amdhsa_float_denorm_mode_16_64 3
		.amdhsa_fp16_overflow 0
		.amdhsa_workgroup_processor_mode 1
		.amdhsa_memory_ordered 1
		.amdhsa_forward_progress 1
		.amdhsa_inst_pref_size 9
		.amdhsa_round_robin_scheduling 0
		.amdhsa_exception_fp_ieee_invalid_op 0
		.amdhsa_exception_fp_denorm_src 0
		.amdhsa_exception_fp_ieee_div_zero 0
		.amdhsa_exception_fp_ieee_overflow 0
		.amdhsa_exception_fp_ieee_underflow 0
		.amdhsa_exception_fp_ieee_inexact 0
		.amdhsa_exception_int_div_zero 0
	.end_amdhsa_kernel
	.section	.text._ZL33flash_attn_stream_k_fixup_uniformILi128ELi1ELi8EEvPfPK15HIP_vector_typeIfLj2EEiiiiiiS1_IjLj3EES5_S5_,"axG",@progbits,_ZL33flash_attn_stream_k_fixup_uniformILi128ELi1ELi8EEvPfPK15HIP_vector_typeIfLj2EEiiiiiiS1_IjLj3EES5_S5_,comdat
.Lfunc_end15:
	.size	_ZL33flash_attn_stream_k_fixup_uniformILi128ELi1ELi8EEvPfPK15HIP_vector_typeIfLj2EEiiiiiiS1_IjLj3EES5_S5_, .Lfunc_end15-_ZL33flash_attn_stream_k_fixup_uniformILi128ELi1ELi8EEvPfPK15HIP_vector_typeIfLj2EEiiiiiiS1_IjLj3EES5_S5_
                                        ; -- End function
	.set _ZL33flash_attn_stream_k_fixup_uniformILi128ELi1ELi8EEvPfPK15HIP_vector_typeIfLj2EEiiiiiiS1_IjLj3EES5_S5_.num_vgpr, 11
	.set _ZL33flash_attn_stream_k_fixup_uniformILi128ELi1ELi8EEvPfPK15HIP_vector_typeIfLj2EEiiiiiiS1_IjLj3EES5_S5_.num_agpr, 0
	.set _ZL33flash_attn_stream_k_fixup_uniformILi128ELi1ELi8EEvPfPK15HIP_vector_typeIfLj2EEiiiiiiS1_IjLj3EES5_S5_.numbered_sgpr, 20
	.set _ZL33flash_attn_stream_k_fixup_uniformILi128ELi1ELi8EEvPfPK15HIP_vector_typeIfLj2EEiiiiiiS1_IjLj3EES5_S5_.num_named_barrier, 0
	.set _ZL33flash_attn_stream_k_fixup_uniformILi128ELi1ELi8EEvPfPK15HIP_vector_typeIfLj2EEiiiiiiS1_IjLj3EES5_S5_.private_seg_size, 0
	.set _ZL33flash_attn_stream_k_fixup_uniformILi128ELi1ELi8EEvPfPK15HIP_vector_typeIfLj2EEiiiiiiS1_IjLj3EES5_S5_.uses_vcc, 1
	.set _ZL33flash_attn_stream_k_fixup_uniformILi128ELi1ELi8EEvPfPK15HIP_vector_typeIfLj2EEiiiiiiS1_IjLj3EES5_S5_.uses_flat_scratch, 0
	.set _ZL33flash_attn_stream_k_fixup_uniformILi128ELi1ELi8EEvPfPK15HIP_vector_typeIfLj2EEiiiiiiS1_IjLj3EES5_S5_.has_dyn_sized_stack, 0
	.set _ZL33flash_attn_stream_k_fixup_uniformILi128ELi1ELi8EEvPfPK15HIP_vector_typeIfLj2EEiiiiiiS1_IjLj3EES5_S5_.has_recursion, 0
	.set _ZL33flash_attn_stream_k_fixup_uniformILi128ELi1ELi8EEvPfPK15HIP_vector_typeIfLj2EEiiiiiiS1_IjLj3EES5_S5_.has_indirect_call, 0
	.section	.AMDGPU.csdata,"",@progbits
; Kernel info:
; codeLenInByte = 1120
; TotalNumSgprs: 22
; NumVgprs: 11
; ScratchSize: 0
; MemoryBound: 0
; FloatMode: 240
; IeeeMode: 1
; LDSByteSize: 0 bytes/workgroup (compile time only)
; SGPRBlocks: 0
; VGPRBlocks: 1
; NumSGPRsForWavesPerEU: 22
; NumVGPRsForWavesPerEU: 11
; Occupancy: 16
; WaveLimiterHint : 0
; COMPUTE_PGM_RSRC2:SCRATCH_EN: 0
; COMPUTE_PGM_RSRC2:USER_SGPR: 2
; COMPUTE_PGM_RSRC2:TRAP_HANDLER: 0
; COMPUTE_PGM_RSRC2:TGID_X_EN: 1
; COMPUTE_PGM_RSRC2:TGID_Y_EN: 1
; COMPUTE_PGM_RSRC2:TGID_Z_EN: 1
; COMPUTE_PGM_RSRC2:TIDIG_COMP_CNT: 0
	.section	.text._ZL33flash_attn_stream_k_fixup_generalILi128ELi1ELi8EEvPfPK15HIP_vector_typeIfLj2EEiiiiS1_IjLj3EES5_S5_S5_,"axG",@progbits,_ZL33flash_attn_stream_k_fixup_generalILi128ELi1ELi8EEvPfPK15HIP_vector_typeIfLj2EEiiiiS1_IjLj3EES5_S5_S5_,comdat
	.globl	_ZL33flash_attn_stream_k_fixup_generalILi128ELi1ELi8EEvPfPK15HIP_vector_typeIfLj2EEiiiiS1_IjLj3EES5_S5_S5_ ; -- Begin function _ZL33flash_attn_stream_k_fixup_generalILi128ELi1ELi8EEvPfPK15HIP_vector_typeIfLj2EEiiiiS1_IjLj3EES5_S5_S5_
	.p2align	8
	.type	_ZL33flash_attn_stream_k_fixup_generalILi128ELi1ELi8EEvPfPK15HIP_vector_typeIfLj2EEiiiiS1_IjLj3EES5_S5_S5_,@function
_ZL33flash_attn_stream_k_fixup_generalILi128ELi1ELi8EEvPfPK15HIP_vector_typeIfLj2EEiiiiS1_IjLj3EES5_S5_S5_: ; @_ZL33flash_attn_stream_k_fixup_generalILi128ELi1ELi8EEvPfPK15HIP_vector_typeIfLj2EEiiiiS1_IjLj3EES5_S5_S5_
; %bb.0:
	s_clause 0x1
	s_load_b128 s[4:7], s[0:1], 0x10
	s_load_b32 s16, s[0:1], 0x50
	s_mov_b32 s2, ttmp9
	s_ashr_i32 s3, ttmp9, 31
	s_mov_b32 s17, 0
	s_delay_alu instid0(SALU_CYCLE_1) | instskip(SKIP_3) | instid1(SALU_CYCLE_1)
	s_mov_b32 s8, s17
	s_wait_kmcnt 0x0
	s_ashr_i32 s19, s7, 31
	s_mov_b32 s18, s7
	s_mul_u64 s[2:3], s[18:19], s[2:3]
	s_delay_alu instid0(SALU_CYCLE_1) | instskip(NEXT) | instid1(SALU_CYCLE_1)
	s_mov_b32 s9, s3
	s_cmp_lg_u64 s[8:9], 0
	s_cbranch_scc0 .LBB16_21
; %bb.1:
	s_add_nc_u64 s[8:9], s[16:17], 0
	s_mov_b32 s15, s17
	s_xor_b64 s[8:9], s[8:9], 0
	s_mov_b32 s23, s17
	s_cvt_f32_u32 s7, s8
	s_cvt_f32_u32 s10, s9
	s_sub_nc_u64 s[12:13], 0, s[8:9]
	s_delay_alu instid0(SALU_CYCLE_2) | instskip(NEXT) | instid1(SALU_CYCLE_3)
	s_fmamk_f32 s7, s10, 0x4f800000, s7
	v_s_rcp_f32 s7, s7
	s_delay_alu instid0(TRANS32_DEP_1) | instskip(SKIP_1) | instid1(SALU_CYCLE_2)
	s_mul_f32 s7, s7, 0x5f7ffffc
	s_wait_alu 0xfffe
	s_mul_f32 s10, s7, 0x2f800000
	s_delay_alu instid0(SALU_CYCLE_3) | instskip(NEXT) | instid1(SALU_CYCLE_3)
	s_trunc_f32 s10, s10
	s_fmamk_f32 s7, s10, 0xcf800000, s7
	s_cvt_u32_f32 s11, s10
	s_wait_alu 0xfffe
	s_delay_alu instid0(SALU_CYCLE_1) | instskip(NEXT) | instid1(SALU_CYCLE_3)
	s_cvt_u32_f32 s10, s7
	s_mul_u64 s[20:21], s[12:13], s[10:11]
	s_delay_alu instid0(SALU_CYCLE_1)
	s_mul_hi_u32 s25, s10, s21
	s_mul_i32 s24, s10, s21
	s_mul_hi_u32 s14, s10, s20
	s_mul_i32 s22, s11, s20
	s_add_nc_u64 s[14:15], s[14:15], s[24:25]
	s_mul_hi_u32 s7, s11, s20
	s_mul_hi_u32 s26, s11, s21
	s_add_co_u32 s14, s14, s22
	s_wait_alu 0xfffe
	s_add_co_ci_u32 s22, s15, s7
	s_mul_i32 s20, s11, s21
	s_add_co_ci_u32 s21, s26, 0
	s_delay_alu instid0(SALU_CYCLE_1)
	s_add_nc_u64 s[14:15], s[22:23], s[20:21]
	s_mov_b32 s21, s17
	s_add_co_u32 s10, s10, s14
	s_cselect_b32 s7, -1, 0
	s_wait_alu 0xfffe
	s_cmp_lg_u32 s7, 0
	s_add_co_ci_u32 s11, s11, s15
	s_mov_b32 s15, s17
	s_mul_u64 s[12:13], s[12:13], s[10:11]
	s_delay_alu instid0(SALU_CYCLE_1)
	s_mul_hi_u32 s23, s10, s13
	s_mul_i32 s22, s10, s13
	s_mul_hi_u32 s14, s10, s12
	s_mul_i32 s20, s11, s12
	s_add_nc_u64 s[14:15], s[14:15], s[22:23]
	s_mul_hi_u32 s7, s11, s12
	s_mul_hi_u32 s24, s11, s13
	s_mul_i32 s12, s11, s13
	s_add_co_u32 s13, s14, s20
	s_wait_alu 0xfffe
	s_add_co_ci_u32 s20, s15, s7
	s_add_co_ci_u32 s13, s24, 0
	s_mov_b32 s15, s17
	s_add_nc_u64 s[12:13], s[20:21], s[12:13]
	s_delay_alu instid0(SALU_CYCLE_1) | instskip(SKIP_1) | instid1(SALU_CYCLE_1)
	s_add_co_u32 s7, s10, s12
	s_cselect_b32 s10, -1, 0
	s_cmp_lg_u32 s10, 0
	s_add_co_ci_u32 s20, s11, s13
	s_ashr_i32 s10, s3, 31
	s_delay_alu instid0(SALU_CYCLE_1) | instskip(NEXT) | instid1(SALU_CYCLE_1)
	s_mov_b32 s11, s10
	s_add_nc_u64 s[12:13], s[2:3], s[10:11]
	s_delay_alu instid0(SALU_CYCLE_1) | instskip(NEXT) | instid1(SALU_CYCLE_1)
	s_xor_b64 s[12:13], s[12:13], s[10:11]
	s_mul_hi_u32 s23, s12, s20
	s_mul_i32 s22, s12, s20
	s_wait_alu 0xfffe
	s_mul_hi_u32 s14, s12, s7
	s_mul_hi_u32 s24, s13, s7
	s_mul_i32 s7, s13, s7
	s_add_nc_u64 s[14:15], s[14:15], s[22:23]
	s_mul_hi_u32 s3, s13, s20
	s_wait_alu 0xfffe
	s_add_co_u32 s7, s14, s7
	s_mul_i32 s22, s13, s20
	s_add_co_ci_u32 s20, s15, s24
	s_add_co_ci_u32 s23, s3, 0
	s_delay_alu instid0(SALU_CYCLE_1) | instskip(NEXT) | instid1(SALU_CYCLE_1)
	s_add_nc_u64 s[14:15], s[20:21], s[22:23]
	s_mul_u64 s[20:21], s[8:9], s[14:15]
	s_delay_alu instid0(SALU_CYCLE_1)
	s_sub_co_u32 s3, s12, s20
	s_cselect_b32 s7, -1, 0
	s_sub_co_i32 s12, s13, s21
	s_wait_alu 0xfffe
	s_cmp_lg_u32 s7, 0
	s_sub_co_ci_u32 s12, s12, s9
	s_sub_co_u32 s20, s3, s8
	s_cselect_b32 s22, -1, 0
	s_delay_alu instid0(SALU_CYCLE_1) | instskip(SKIP_2) | instid1(SALU_CYCLE_1)
	s_cmp_lg_u32 s22, 0
	s_add_nc_u64 s[22:23], s[14:15], 1
	s_sub_co_ci_u32 s12, s12, 0
	s_cmp_ge_u32 s12, s9
	s_cselect_b32 s24, -1, 0
	s_cmp_ge_u32 s20, s8
	s_cselect_b32 s20, -1, 0
	s_cmp_eq_u32 s12, s9
	s_cselect_b32 s12, s20, s24
	s_add_nc_u64 s[24:25], s[14:15], 2
	s_cmp_lg_u32 s12, 0
	s_cselect_b32 s12, s24, s22
	s_cselect_b32 s20, s25, s23
	s_cmp_lg_u32 s7, 0
	s_sub_co_ci_u32 s7, s13, s21
	s_wait_alu 0xfffe
	s_cmp_ge_u32 s7, s9
	s_cselect_b32 s13, -1, 0
	s_cmp_ge_u32 s3, s8
	s_cselect_b32 s3, -1, 0
	s_cmp_eq_u32 s7, s9
	s_cselect_b32 s3, s3, s13
	s_delay_alu instid0(SALU_CYCLE_1) | instskip(SKIP_4) | instid1(SALU_CYCLE_1)
	s_cmp_lg_u32 s3, 0
	s_mov_b32 s3, s17
	s_cselect_b32 s9, s20, s15
	s_cselect_b32 s8, s12, s14
	s_xor_b64 s[10:11], s[10:11], 0
	s_xor_b64 s[8:9], s[8:9], s[10:11]
	s_delay_alu instid0(SALU_CYCLE_1)
	s_sub_nc_u64 s[20:21], s[8:9], s[10:11]
	s_and_not1_b32 vcc_lo, exec_lo, s3
	s_cbranch_vccnz .LBB16_3
.LBB16_2:
	v_cvt_f32_u32_e32 v1, s16
	s_sub_co_i32 s7, 0, s16
	s_delay_alu instid0(VALU_DEP_1) | instskip(NEXT) | instid1(TRANS32_DEP_1)
	v_rcp_iflag_f32_e32 v1, v1
	v_mul_f32_e32 v1, 0x4f7ffffe, v1
	s_delay_alu instid0(VALU_DEP_1) | instskip(NEXT) | instid1(VALU_DEP_1)
	v_cvt_u32_f32_e32 v1, v1
	v_readfirstlane_b32 s3, v1
	s_wait_alu 0xfffe
	s_mul_i32 s7, s7, s3
	s_wait_alu 0xfffe
	s_mul_hi_u32 s7, s3, s7
	s_wait_alu 0xfffe
	s_add_co_i32 s3, s3, s7
	s_delay_alu instid0(SALU_CYCLE_1) | instskip(NEXT) | instid1(SALU_CYCLE_1)
	s_mul_hi_u32 s3, s2, s3
	s_mul_i32 s7, s3, s16
	s_wait_alu 0xfffe
	s_sub_co_i32 s2, s2, s7
	s_add_co_i32 s7, s3, 1
	s_sub_co_i32 s8, s2, s16
	s_cmp_ge_u32 s2, s16
	s_wait_alu 0xfffe
	s_cselect_b32 s3, s7, s3
	s_cselect_b32 s2, s8, s2
	s_add_co_i32 s7, s3, 1
	s_cmp_ge_u32 s2, s16
	s_wait_alu 0xfffe
	s_cselect_b32 s20, s7, s3
.LBB16_3:
	s_add_co_i32 s2, ttmp9, 1
	s_mov_b32 s8, 0
	s_ashr_i32 s3, s2, 31
	s_delay_alu instid0(SALU_CYCLE_1) | instskip(NEXT) | instid1(SALU_CYCLE_1)
	s_mul_u64 s[2:3], s[18:19], s[2:3]
	s_mov_b32 s9, s3
	s_delay_alu instid0(SALU_CYCLE_1)
	s_cmp_lg_u64 s[8:9], 0
	s_cbranch_scc0 .LBB16_22
; %bb.4:
	s_add_nc_u64 s[10:11], s[16:17], 0
	s_mov_b32 s23, s8
	s_xor_b64 s[10:11], s[10:11], 0
	s_mov_b32 s27, s8
	s_cvt_f32_u32 s7, s10
	s_cvt_f32_u32 s9, s11
	s_sub_nc_u64 s[14:15], 0, s[10:11]
	s_wait_alu 0xfffe
	s_delay_alu instid0(SALU_CYCLE_1) | instskip(SKIP_1) | instid1(SALU_CYCLE_2)
	s_fmamk_f32 s7, s9, 0x4f800000, s7
	s_wait_alu 0xfffe
	v_s_rcp_f32 s7, s7
	s_delay_alu instid0(TRANS32_DEP_1) | instskip(SKIP_1) | instid1(SALU_CYCLE_2)
	s_mul_f32 s7, s7, 0x5f7ffffc
	s_wait_alu 0xfffe
	s_mul_f32 s9, s7, 0x2f800000
	s_delay_alu instid0(SALU_CYCLE_3) | instskip(NEXT) | instid1(SALU_CYCLE_3)
	s_trunc_f32 s9, s9
	s_fmamk_f32 s7, s9, 0xcf800000, s7
	s_cvt_u32_f32 s13, s9
	s_wait_alu 0xfffe
	s_delay_alu instid0(SALU_CYCLE_1) | instskip(NEXT) | instid1(SALU_CYCLE_3)
	s_cvt_u32_f32 s12, s7
	s_mul_u64 s[24:25], s[14:15], s[12:13]
	s_delay_alu instid0(SALU_CYCLE_1)
	s_mul_hi_u32 s29, s12, s25
	s_mul_i32 s28, s12, s25
	s_mul_hi_u32 s22, s12, s24
	s_mul_i32 s9, s13, s24
	s_add_nc_u64 s[22:23], s[22:23], s[28:29]
	s_mul_hi_u32 s7, s13, s24
	s_mul_hi_u32 s21, s13, s25
	s_add_co_u32 s9, s22, s9
	s_wait_alu 0xfffe
	s_add_co_ci_u32 s26, s23, s7
	s_mul_i32 s24, s13, s25
	s_add_co_ci_u32 s25, s21, 0
	s_delay_alu instid0(SALU_CYCLE_1)
	s_add_nc_u64 s[22:23], s[26:27], s[24:25]
	s_mov_b32 s25, s8
	s_add_co_u32 s12, s12, s22
	s_cselect_b32 s7, -1, 0
	s_wait_alu 0xfffe
	s_cmp_lg_u32 s7, 0
	s_add_co_ci_u32 s13, s13, s23
	s_mov_b32 s23, s8
	s_mul_u64 s[14:15], s[14:15], s[12:13]
	s_delay_alu instid0(SALU_CYCLE_1)
	s_mul_hi_u32 s27, s12, s15
	s_mul_i32 s26, s12, s15
	s_mul_hi_u32 s22, s12, s14
	s_mul_i32 s9, s13, s14
	s_add_nc_u64 s[22:23], s[22:23], s[26:27]
	s_mul_hi_u32 s7, s13, s14
	s_mul_hi_u32 s21, s13, s15
	s_add_co_u32 s9, s22, s9
	s_wait_alu 0xfffe
	s_add_co_ci_u32 s24, s23, s7
	s_mul_i32 s14, s13, s15
	s_add_co_ci_u32 s15, s21, 0
	s_mov_b32 s23, s8
	s_add_nc_u64 s[14:15], s[24:25], s[14:15]
	s_delay_alu instid0(SALU_CYCLE_1) | instskip(SKIP_1) | instid1(SALU_CYCLE_1)
	s_add_co_u32 s7, s12, s14
	s_cselect_b32 s9, -1, 0
	s_cmp_lg_u32 s9, 0
	s_add_co_ci_u32 s9, s13, s15
	s_ashr_i32 s12, s3, 31
	s_delay_alu instid0(SALU_CYCLE_1) | instskip(NEXT) | instid1(SALU_CYCLE_1)
	s_mov_b32 s13, s12
	s_add_nc_u64 s[14:15], s[2:3], s[12:13]
	s_delay_alu instid0(SALU_CYCLE_1) | instskip(NEXT) | instid1(SALU_CYCLE_1)
	s_xor_b64 s[14:15], s[14:15], s[12:13]
	s_mul_hi_u32 s27, s14, s9
	s_mul_i32 s26, s14, s9
	s_wait_alu 0xfffe
	s_mul_hi_u32 s22, s14, s7
	s_mul_hi_u32 s21, s15, s7
	s_mul_i32 s7, s15, s7
	s_add_nc_u64 s[22:23], s[22:23], s[26:27]
	s_mul_hi_u32 s3, s15, s9
	s_wait_alu 0xfffe
	s_add_co_u32 s7, s22, s7
	s_add_co_ci_u32 s24, s23, s21
	s_mul_i32 s26, s15, s9
	s_add_co_ci_u32 s27, s3, 0
	s_delay_alu instid0(SALU_CYCLE_1) | instskip(NEXT) | instid1(SALU_CYCLE_1)
	s_add_nc_u64 s[22:23], s[24:25], s[26:27]
	s_mul_u64 s[24:25], s[10:11], s[22:23]
	s_add_nc_u64 s[26:27], s[22:23], 1
	s_sub_co_u32 s3, s14, s24
	s_cselect_b32 s7, -1, 0
	s_sub_co_i32 s9, s15, s25
	s_wait_alu 0xfffe
	s_cmp_lg_u32 s7, 0
	s_add_nc_u64 s[28:29], s[22:23], 2
	s_sub_co_ci_u32 s9, s9, s11
	s_sub_co_u32 s14, s3, s10
	s_cselect_b32 s21, -1, 0
	s_delay_alu instid0(SALU_CYCLE_1) | instskip(SKIP_1) | instid1(SALU_CYCLE_1)
	s_cmp_lg_u32 s21, 0
	s_sub_co_ci_u32 s9, s9, 0
	s_cmp_ge_u32 s9, s11
	s_cselect_b32 s21, -1, 0
	s_cmp_ge_u32 s14, s10
	s_cselect_b32 s14, -1, 0
	s_cmp_eq_u32 s9, s11
	s_cselect_b32 s9, s14, s21
	s_delay_alu instid0(SALU_CYCLE_1)
	s_cmp_lg_u32 s9, 0
	s_cselect_b32 s9, s28, s26
	s_cselect_b32 s14, s29, s27
	s_cmp_lg_u32 s7, 0
	s_sub_co_ci_u32 s7, s15, s25
	s_wait_alu 0xfffe
	s_cmp_ge_u32 s7, s11
	s_cselect_b32 s15, -1, 0
	s_cmp_ge_u32 s3, s10
	s_cselect_b32 s3, -1, 0
	s_cmp_eq_u32 s7, s11
	s_cselect_b32 s3, s3, s15
	s_delay_alu instid0(SALU_CYCLE_1) | instskip(SKIP_3) | instid1(SALU_CYCLE_1)
	s_cmp_lg_u32 s3, 0
	s_cselect_b32 s11, s14, s23
	s_cselect_b32 s10, s9, s22
	s_xor_b64 s[12:13], s[12:13], 0
	s_xor_b64 s[10:11], s[10:11], s[12:13]
	s_delay_alu instid0(SALU_CYCLE_1)
	s_sub_nc_u64 s[10:11], s[10:11], s[12:13]
	s_load_b96 s[12:14], s[0:1], 0x44
	s_and_not1_b32 vcc_lo, exec_lo, s8
	s_cbranch_vccnz .LBB16_6
.LBB16_5:
	v_cvt_f32_u32_e32 v1, s16
	s_sub_co_i32 s7, 0, s16
	s_delay_alu instid0(VALU_DEP_1) | instskip(NEXT) | instid1(TRANS32_DEP_1)
	v_rcp_iflag_f32_e32 v1, v1
	v_mul_f32_e32 v1, 0x4f7ffffe, v1
	s_delay_alu instid0(VALU_DEP_1) | instskip(NEXT) | instid1(VALU_DEP_1)
	v_cvt_u32_f32_e32 v1, v1
	v_readfirstlane_b32 s3, v1
	s_wait_alu 0xfffe
	s_mul_i32 s7, s7, s3
	s_wait_alu 0xfffe
	s_mul_hi_u32 s7, s3, s7
	s_wait_alu 0xfffe
	s_add_co_i32 s3, s3, s7
	s_delay_alu instid0(SALU_CYCLE_1) | instskip(NEXT) | instid1(SALU_CYCLE_1)
	s_mul_hi_u32 s3, s2, s3
	s_mul_i32 s7, s3, s16
	s_wait_alu 0xfffe
	s_sub_co_i32 s2, s2, s7
	s_add_co_i32 s7, s3, 1
	s_sub_co_i32 s8, s2, s16
	s_cmp_ge_u32 s2, s16
	s_wait_alu 0xfffe
	s_cselect_b32 s3, s7, s3
	s_cselect_b32 s2, s8, s2
	s_add_co_i32 s7, s3, 1
	s_cmp_ge_u32 s2, s16
	s_wait_alu 0xfffe
	s_cselect_b32 s10, s7, s3
.LBB16_6:
	s_mov_b32 s21, 0
	s_wait_kmcnt 0x0
	s_mov_b32 s22, s12
	s_mov_b32 s23, s21
	s_cmp_eq_u32 s20, s10
	s_mul_u64 s[2:3], s[20:21], s[22:23]
	s_cselect_b32 s7, -1, 0
	s_add_co_i32 s2, s3, s20
	s_mov_b32 s11, s21
	s_lshr_b32 s12, s2, s13
	s_mul_u64 s[2:3], s[10:11], s[22:23]
	s_mul_i32 s2, s12, s14
	s_delay_alu instid0(SALU_CYCLE_1) | instskip(SKIP_2) | instid1(SALU_CYCLE_1)
	s_cmp_eq_u32 s2, s20
	s_cselect_b32 s2, -1, 0
	s_add_co_i32 s3, s3, s10
	s_lshr_b32 s3, s3, s13
	s_delay_alu instid0(SALU_CYCLE_1)
	s_cmp_eq_u32 s12, s3
	s_mul_i32 s3, s3, s14
	s_cselect_b32 s8, -1, 0
	s_cmp_lg_u32 s3, s10
	s_cselect_b32 s3, -1, 0
	s_wait_alu 0xfffe
	s_or_b32 s2, s7, s2
	s_and_b32 s3, s8, s3
	s_delay_alu instid0(SALU_CYCLE_1) | instskip(NEXT) | instid1(SALU_CYCLE_1)
	s_or_b32 s2, s2, s3
	s_and_b32 vcc_lo, exec_lo, s2
	s_cbranch_vccnz .LBB16_24
; %bb.7:
	s_load_b256 s[24:31], s[0:1], 0x20
	s_mov_b32 s3, s21
	s_load_b32 s7, s[0:1], 0x40
	s_and_b32 s15, ttmp7, 0xffff
	s_wait_kmcnt 0x0
	s_mov_b32 s2, s24
	s_delay_alu instid0(SALU_CYCLE_1) | instskip(NEXT) | instid1(SALU_CYCLE_1)
	s_mul_u64 s[2:3], s[20:21], s[2:3]
	s_add_co_i32 s2, s3, s20
	s_delay_alu instid0(SALU_CYCLE_1) | instskip(NEXT) | instid1(SALU_CYCLE_1)
	s_lshr_b32 s2, s2, s25
	s_mul_i32 s3, s2, s26
	s_delay_alu instid0(SALU_CYCLE_1) | instskip(NEXT) | instid1(SALU_CYCLE_1)
	s_sub_co_i32 s8, s20, s3
	s_mul_hi_u32 s3, s8, s27
	s_delay_alu instid0(SALU_CYCLE_1) | instskip(NEXT) | instid1(SALU_CYCLE_1)
	s_add_co_i32 s3, s8, s3
	s_lshr_b32 s3, s3, s28
	s_delay_alu instid0(SALU_CYCLE_1) | instskip(NEXT) | instid1(SALU_CYCLE_1)
	s_mul_i32 s9, s3, s29
	s_sub_co_i32 s8, s8, s9
	s_delay_alu instid0(SALU_CYCLE_1) | instskip(NEXT) | instid1(SALU_CYCLE_1)
	s_mul_hi_u32 s9, s8, s30
	s_add_co_i32 s9, s8, s9
	s_delay_alu instid0(SALU_CYCLE_1)
	s_lshr_b32 s24, s9, s31
	s_mov_b32 s9, s21
	s_mul_i32 s7, s24, s7
	s_lshr_b32 s21, ttmp7, 16
	s_wait_alu 0xfffe
	s_sub_co_i32 s8, s8, s7
	s_lshl_b32 s24, s24, 3
	s_mul_u64 s[10:11], s[8:9], s[22:23]
	s_delay_alu instid0(SALU_CYCLE_1)
	s_add_co_i32 s7, s8, s11
	s_wait_alu 0xfffe
	s_lshr_b32 s7, s7, s13
	s_wait_alu 0xfffe
	s_add_co_i32 s7, s7, s15
	s_wait_alu 0xfffe
	s_cmp_lt_i32 s7, s4
	s_cselect_b32 s8, -1, 0
	s_add_co_i32 s24, s24, s21
	s_delay_alu instid0(SALU_CYCLE_1) | instskip(SKIP_1) | instid1(SALU_CYCLE_1)
	s_cmp_lt_i32 s24, s6
	s_cselect_b32 s9, -1, 0
	s_and_b32 s8, s8, s9
	s_delay_alu instid0(SALU_CYCLE_1)
	s_and_not1_b32 vcc_lo, exec_lo, s8
	s_cbranch_vccnz .LBB16_24
; %bb.8:
	s_mul_i32 s2, s2, s4
	s_load_b128 s[8:11], s[0:1], 0x0
	s_mul_i32 s3, s3, s6
	s_add_co_i32 s0, s7, s2
	s_add_co_i32 s1, s24, s3
	s_mul_i32 s0, s0, s5
	v_cvt_f32_u32_e32 v4, s16
	s_add_co_i32 s1, s1, s0
	s_add_co_i32 s34, ttmp9, -1
	v_lshl_or_b32 v1, s1, 7, v0
	s_add_nc_u64 s[0:1], s[16:17], 0
	v_rcp_iflag_f32_e32 v4, v4
	s_wait_alu 0xfffe
	s_xor_b64 s[6:7], s[0:1], 0
	s_add_co_i32 s0, s15, ttmp9
	v_ashrrev_i32_e32 v2, 31, v1
	s_wait_alu 0xfffe
	s_cvt_f32_u32 s1, s6
	s_cvt_f32_u32 s2, s7
	s_lshl_b32 s0, s0, 3
	v_lshl_or_b32 v0, s21, 7, v0
	v_lshlrev_b64_e32 v[1:2], 2, v[1:2]
	s_wait_alu 0xfffe
	s_add_co_i32 s0, s0, s21
	s_fmamk_f32 s2, s2, 0x4f800000, s1
	s_wait_alu 0xfffe
	s_ashr_i32 s1, s0, 31
	s_sub_nc_u64 s[30:31], 0, s[6:7]
	s_wait_alu 0xfffe
	s_lshl_b64 s[0:1], s[0:1], 3
	s_wait_kmcnt 0x0
	v_add_co_u32 v1, vcc_lo, s8, v1
	s_delay_alu instid0(VALU_DEP_1)
	v_add_co_ci_u32_e64 v2, null, s9, v2, vcc_lo
	v_s_rcp_f32 s2, s2
	s_wait_alu 0xfffe
	s_add_nc_u64 s[0:1], s[10:11], s[0:1]
	s_mov_b32 s8, 0
	global_load_b32 v3, v[1:2], off
	s_load_b64 s[26:27], s[0:1], 0x0
	v_mul_f32_e32 v4, 0x4f7ffffe, v4
	s_lshl_b32 s0, s16, 5
	s_mul_f32 s2, s2, 0x5f7ffffc
	s_wait_alu 0xfffe
	s_delay_alu instid0(SALU_CYCLE_2) | instskip(SKIP_1) | instid1(SALU_CYCLE_2)
	s_mul_f32 s1, s2, 0x2f800000
	s_wait_alu 0xfffe
	s_trunc_f32 s3, s1
	s_mov_b32 s1, s8
	s_wait_alu 0xfffe
	s_lshl_b64 s[0:1], s[0:1], 2
	s_fmamk_f32 s2, s3, 0xcf800000, s2
	s_cvt_u32_f32 s29, s3
	s_wait_alu 0xfffe
	s_add_nc_u64 s[24:25], s[10:11], s[0:1]
	s_cvt_u32_f32 s28, s2
	s_wait_kmcnt 0x0
	v_mov_b32_e32 v5, s27
	v_cvt_u32_f32_e32 v4, v4
.LBB16_9:                               ; =>This Inner Loop Header: Depth=1
	s_wait_alu 0xfffe
	s_ashr_i32 s35, s34, 31
	s_mov_b32 s2, -1
	s_wait_alu 0xfffe
	s_mul_u64 s[0:1], s[34:35], s[18:19]
                                        ; implicit-def: $sgpr38_sgpr39
	s_wait_alu 0xfffe
	s_mov_b32 s9, s1
	s_wait_alu 0xfffe
	s_cmp_lg_u64 s[8:9], 0
	s_cbranch_scc0 .LBB16_11
; %bb.10:                               ;   in Loop: Header=BB16_9 Depth=1
	s_mul_u64 s[2:3], s[30:31], s[28:29]
	s_mov_b32 s37, s8
	s_wait_alu 0xfffe
	s_mul_hi_u32 s5, s28, s3
	s_mul_i32 s4, s28, s3
	s_mul_hi_u32 s36, s28, s2
	s_mul_hi_u32 s9, s29, s2
	s_wait_alu 0xfffe
	s_add_nc_u64 s[4:5], s[36:37], s[4:5]
	s_mul_i32 s2, s29, s2
	s_mul_hi_u32 s17, s29, s3
	s_wait_alu 0xfffe
	s_add_co_u32 s2, s4, s2
	s_add_co_ci_u32 s2, s5, s9
	s_add_co_ci_u32 s5, s17, 0
	s_mul_i32 s4, s29, s3
	s_mov_b32 s3, s8
	s_mov_b32 s39, s8
	s_wait_alu 0xfffe
	s_add_nc_u64 s[2:3], s[2:3], s[4:5]
	s_wait_alu 0xfffe
	s_add_co_u32 s2, s28, s2
	s_cselect_b32 s4, -1, 0
	s_wait_alu 0xfffe
	s_cmp_lg_u32 s4, 0
	s_add_co_ci_u32 s3, s29, s3
	s_wait_alu 0xfffe
	s_mul_u64 s[4:5], s[30:31], s[2:3]
	s_wait_alu 0xfffe
	s_mul_hi_u32 s37, s2, s5
	s_mul_i32 s36, s2, s5
	s_mul_hi_u32 s38, s2, s4
	s_mul_hi_u32 s9, s3, s4
	s_mul_i32 s4, s3, s4
	s_wait_alu 0xfffe
	s_add_nc_u64 s[36:37], s[38:39], s[36:37]
	s_mul_hi_u32 s17, s3, s5
	s_wait_alu 0xfffe
	s_add_co_u32 s4, s36, s4
	s_add_co_ci_u32 s4, s37, s9
	s_add_co_ci_u32 s37, s17, 0
	s_mul_i32 s36, s3, s5
	s_mov_b32 s5, s8
	s_wait_alu 0xfffe
	s_add_nc_u64 s[4:5], s[4:5], s[36:37]
	s_mov_b32 s37, s8
	s_wait_alu 0xfffe
	s_add_co_u32 s9, s2, s4
	s_cselect_b32 s2, -1, 0
	s_wait_alu 0xfffe
	s_cmp_lg_u32 s2, 0
	s_add_co_ci_u32 s17, s3, s5
	s_ashr_i32 s2, s1, 31
	s_wait_alu 0xfffe
	s_mov_b32 s3, s2
	s_wait_alu 0xfffe
	s_add_nc_u64 s[4:5], s[0:1], s[2:3]
	s_wait_alu 0xfffe
	s_xor_b64 s[4:5], s[4:5], s[2:3]
	s_wait_alu 0xfffe
	s_mul_hi_u32 s39, s4, s17
	s_mul_i32 s38, s4, s17
	s_mul_hi_u32 s36, s4, s9
	s_mul_i32 s27, s5, s9
	s_wait_alu 0xfffe
	s_add_nc_u64 s[36:37], s[36:37], s[38:39]
	s_mul_hi_u32 s9, s5, s9
	s_mul_hi_u32 s1, s5, s17
	s_wait_alu 0xfffe
	s_add_co_u32 s27, s36, s27
	s_add_co_ci_u32 s36, s37, s9
	s_add_co_ci_u32 s39, s1, 0
	s_mul_i32 s38, s5, s17
	s_mov_b32 s37, s8
	s_wait_alu 0xfffe
	s_add_nc_u64 s[36:37], s[36:37], s[38:39]
	s_wait_alu 0xfffe
	s_mul_u64 s[38:39], s[6:7], s[36:37]
	s_add_nc_u64 s[40:41], s[36:37], 1
	s_wait_alu 0xfffe
	s_sub_co_u32 s1, s4, s38
	s_cselect_b32 s4, -1, 0
	s_sub_co_i32 s9, s5, s39
	s_wait_alu 0xfffe
	s_cmp_lg_u32 s4, 0
	s_add_nc_u64 s[42:43], s[36:37], 2
	s_sub_co_ci_u32 s9, s9, s7
	s_sub_co_u32 s17, s1, s6
	s_cselect_b32 s27, -1, 0
	s_wait_alu 0xfffe
	s_cmp_lg_u32 s27, 0
	s_sub_co_ci_u32 s9, s9, 0
	s_wait_alu 0xfffe
	s_cmp_ge_u32 s9, s7
	s_cselect_b32 s27, -1, 0
	s_cmp_ge_u32 s17, s6
	s_cselect_b32 s17, -1, 0
	s_cmp_eq_u32 s9, s7
	s_wait_alu 0xfffe
	s_cselect_b32 s9, s17, s27
	s_wait_alu 0xfffe
	s_cmp_lg_u32 s9, 0
	s_cselect_b32 s9, s42, s40
	s_cselect_b32 s17, s43, s41
	s_cmp_lg_u32 s4, 0
	s_sub_co_ci_u32 s4, s5, s39
	s_wait_alu 0xfffe
	s_cmp_ge_u32 s4, s7
	s_cselect_b32 s5, -1, 0
	s_cmp_ge_u32 s1, s6
	s_cselect_b32 s1, -1, 0
	s_cmp_eq_u32 s4, s7
	s_wait_alu 0xfffe
	s_cselect_b32 s1, s1, s5
	s_wait_alu 0xfffe
	s_cmp_lg_u32 s1, 0
	s_cselect_b32 s5, s17, s37
	s_cselect_b32 s4, s9, s36
	s_xor_b64 s[2:3], s[2:3], 0
	s_wait_alu 0xfffe
	s_xor_b64 s[4:5], s[4:5], s[2:3]
	s_wait_alu 0xfffe
	s_sub_nc_u64 s[38:39], s[4:5], s[2:3]
	s_mov_b32 s2, 0
.LBB16_11:                              ;   in Loop: Header=BB16_9 Depth=1
	s_wait_alu 0xfffe
	s_and_not1_b32 vcc_lo, exec_lo, s2
	s_wait_alu 0xfffe
	s_cbranch_vccnz .LBB16_13
; %bb.12:                               ;   in Loop: Header=BB16_9 Depth=1
	v_readfirstlane_b32 s1, v4
	s_sub_co_i32 s2, 0, s16
	s_wait_alu 0xfffe
	s_mul_i32 s2, s2, s1
	s_wait_alu 0xfffe
	s_mul_hi_u32 s2, s1, s2
	s_wait_alu 0xfffe
	s_add_co_i32 s1, s1, s2
	s_wait_alu 0xfffe
	s_mul_hi_u32 s1, s0, s1
	s_wait_alu 0xfffe
	s_mul_i32 s2, s1, s16
	s_wait_alu 0xfffe
	s_sub_co_i32 s0, s0, s2
	s_add_co_i32 s2, s1, 1
	s_wait_alu 0xfffe
	s_sub_co_i32 s3, s0, s16
	s_cmp_ge_u32 s0, s16
	s_cselect_b32 s1, s2, s1
	s_wait_alu 0xfffe
	s_cselect_b32 s0, s3, s0
	s_add_co_i32 s2, s1, 1
	s_wait_alu 0xfffe
	s_cmp_ge_u32 s0, s16
	s_cselect_b32 s38, s2, s1
.LBB16_13:                              ;   in Loop: Header=BB16_9 Depth=1
	v_readfirstlane_b32 s9, v0
	s_wait_alu 0xfffe
	s_cmp_lg_u32 s20, s38
	s_mov_b32 s0, -1
                                        ; implicit-def: $sgpr27
                                        ; implicit-def: $vgpr6
                                        ; implicit-def: $vgpr7
                                        ; implicit-def: $sgpr17
                                        ; implicit-def: $sgpr33
	s_cbranch_scc1 .LBB16_16
; %bb.14:                               ;   in Loop: Header=BB16_9 Depth=1
	s_wait_alu 0xfffe
	s_and_not1_b32 vcc_lo, exec_lo, s0
	s_wait_alu 0xfffe
	s_cbranch_vccz .LBB16_19
.LBB16_15:                              ;   in Loop: Header=BB16_9 Depth=1
	s_and_not1_b32 vcc_lo, exec_lo, s27
	s_wait_alu 0xfffe
	s_cbranch_vccnz .LBB16_20
	s_branch .LBB16_23
.LBB16_16:                              ;   in Loop: Header=BB16_9 Depth=1
	s_add_co_i32 s40, s34, s15
	s_mov_b32 s1, s8
	s_wait_alu 0xfffe
	s_add_co_i32 s0, s40, s16
	v_max_num_f32_e64 v6, s26, s26
	s_wait_alu 0xfffe
	s_lshl_b32 s0, s0, 3
	s_mov_b32 s39, s8
	s_wait_alu 0xfffe
	s_add_co_i32 s0, s0, s21
	s_mul_u64 s[42:43], s[38:39], s[22:23]
	s_wait_alu 0xfffe
	s_lshl_b64 s[0:1], s[0:1], 3
	s_mov_b32 s33, s20
	s_wait_alu 0xfffe
	s_add_nc_u64 s[0:1], s[10:11], s[0:1]
	s_load_b64 s[36:37], s[0:1], 0x0
	v_readfirstlane_b32 s0, v6
	s_wait_kmcnt 0x0
	v_max_num_f32_e64 v7, s36, s36
	s_delay_alu instid0(VALU_DEP_1) | instskip(SKIP_2) | instid1(SALU_CYCLE_2)
	v_readfirstlane_b32 s1, v7
	s_max_num_f32 s9, s0, s1
	s_wait_alu 0xfffe
	s_sub_f32 s35, s26, s9
	s_sub_f32 s36, s36, s9
	s_wait_alu 0xfffe
	s_delay_alu instid0(SALU_CYCLE_1)
	s_cmp_nlt_f32 s35, 0xc2ce8ed0
	s_cselect_b32 s0, -1, 0
	s_cmp_ngt_f32 s35, 0x42b17218
	s_cselect_b32 s1, -1, 0
	s_cmp_ge_f32 s35, 0xc1a00000
	s_cselect_b32 s2, -1, 0
	s_cmp_nlt_f32 s36, 0xc2ce8ed0
	s_cselect_b32 s3, -1, 0
	s_cmp_ngt_f32 s36, 0x42b17218
	s_cselect_b32 s4, -1, 0
	s_cmp_ge_f32 s36, 0xc1a00000
	s_cselect_b32 s5, -1, 0
	s_add_co_i32 s17, s43, s38
	s_wait_alu 0xfffe
	s_lshr_b32 s17, s17, s13
	s_wait_alu 0xfffe
	s_mul_i32 s27, s17, s14
	s_wait_alu 0xfffe
	s_cmp_eq_u32 s27, s38
	s_cselect_b32 s27, -1, 0
	s_cmp_lt_u32 s17, s12
	s_cselect_b32 s17, -1, 0
	s_wait_alu 0xfffe
	s_or_b32 s17, s17, s27
	s_mov_b32 s27, -1
	s_wait_alu 0xfffe
	s_and_b32 vcc_lo, exec_lo, s17
	s_mov_b32 s17, s34
	s_wait_alu 0xfffe
	s_cbranch_vccnz .LBB16_18
; %bb.17:                               ;   in Loop: Header=BB16_9 Depth=1
	s_add_co_i32 s17, s34, -1
	s_mov_b32 s27, 0
	s_mov_b32 s33, s38
.LBB16_18:                              ;   in Loop: Header=BB16_9 Depth=1
	v_lshl_add_u32 v6, s40, 10, v0
	s_mul_f32 s38, s36, 0x3fb8aa3b
	s_mul_f32 s39, s35, 0x3fb8aa3b
	s_wait_alu 0xfffe
	s_delay_alu instid0(SALU_CYCLE_1)
	s_xor_b32 s40, s38, 0x80000000
	v_ashrrev_i32_e32 v7, 31, v6
	s_rndne_f32 s41, s38
	s_wait_alu 0xfffe
	s_fmamk_f32 s40, s36, 0x3fb8aa3b, s40
	s_xor_b32 s42, s39, 0x80000000
	s_rndne_f32 s43, s39
	v_lshlrev_b64_e32 v[6:7], 2, v[6:7]
	s_sub_f32 s38, s38, s41
	s_wait_alu 0xfffe
	s_fmamk_f32 s36, s36, 0x32a5705f, s40
	s_fmamk_f32 s40, s35, 0x3fb8aa3b, s42
	s_sub_f32 s39, s39, s43
	v_add_co_u32 v6, vcc_lo, s24, v6
	s_wait_alu 0xfffd
	v_add_co_ci_u32_e64 v7, null, s25, v7, vcc_lo
	s_wait_alu 0xfffe
	s_add_f32 s36, s38, s36
	s_fmamk_f32 s35, s35, 0x32a5705f, s40
	s_cvt_i32_f32 s38, s41
	global_load_b32 v6, v[6:7], off
	s_wait_alu 0xfffe
	v_s_exp_f32 s36, s36
	s_add_f32 s35, s39, s35
	s_wait_alu 0xfffe
	s_delay_alu instid0(SALU_CYCLE_2) | instskip(NEXT) | instid1(TRANS32_DEP_2)
	v_s_exp_f32 s35, s35
	v_ldexp_f32 v7, s36, s38
	s_cvt_i32_f32 s36, s43
	s_wait_alu 0xf1fe
	s_delay_alu instid0(TRANS32_DEP_1) | instid1(SALU_CYCLE_2)
	v_ldexp_f32 v8, s35, s36
	s_delay_alu instid0(VALU_DEP_2) | instskip(NEXT) | instid1(VALU_DEP_2)
	v_cndmask_b32_e64 v7, 0, v7, s3
	v_cndmask_b32_e64 v8, 0, v8, s0
	s_delay_alu instid0(VALU_DEP_2) | instskip(NEXT) | instid1(VALU_DEP_2)
	v_cndmask_b32_e64 v7, 0x7f800000, v7, s4
	v_cndmask_b32_e64 v8, 0x7f800000, v8, s1
	;; [unrolled: 3-line block ×3, first 2 shown]
	s_wait_loadcnt 0x0
	s_delay_alu instid0(VALU_DEP_2) | instskip(SKIP_1) | instid1(VALU_DEP_1)
	v_mul_f32_e32 v6, v6, v7
	v_mul_f32_e32 v7, s37, v7
	v_fmac_f32_e32 v7, v5, v8
	s_delay_alu instid0(VALU_DEP_3)
	v_fmac_f32_e32 v6, v3, v8
	s_cbranch_execnz .LBB16_15
.LBB16_19:                              ;   in Loop: Header=BB16_9 Depth=1
	s_wait_loadcnt 0x0
	v_dual_mov_b32 v7, v5 :: v_dual_mov_b32 v6, v3
	s_add_co_i32 s17, s34, -1
	s_mov_b32 s33, s20
	s_mov_b32 s9, s26
	s_cbranch_execz .LBB16_23
.LBB16_20:                              ;   in Loop: Header=BB16_9 Depth=1
	v_mov_b32_e32 v5, v7
	s_wait_loadcnt 0x0
	v_mov_b32_e32 v3, v6
	s_mov_b32 s20, s33
	s_wait_alu 0xfffe
	s_mov_b32 s34, s17
	s_mov_b32 s26, s9
	s_branch .LBB16_9
.LBB16_21:
                                        ; implicit-def: $sgpr20_sgpr21
	s_branch .LBB16_2
.LBB16_22:
                                        ; implicit-def: $sgpr10_sgpr11
	s_load_b96 s[12:14], s[0:1], 0x44
	s_branch .LBB16_5
.LBB16_23:
	v_div_scale_f32 v0, null, v7, v7, v6
	s_wait_loadcnt 0x0
	s_delay_alu instid0(VALU_DEP_1) | instskip(NEXT) | instid1(TRANS32_DEP_1)
	v_rcp_f32_e32 v3, v0
	v_fma_f32 v4, -v0, v3, 1.0
	s_delay_alu instid0(VALU_DEP_1) | instskip(SKIP_1) | instid1(VALU_DEP_1)
	v_fmac_f32_e32 v3, v4, v3
	v_div_scale_f32 v4, vcc_lo, v6, v7, v6
	v_mul_f32_e32 v5, v4, v3
	s_delay_alu instid0(VALU_DEP_1) | instskip(NEXT) | instid1(VALU_DEP_1)
	v_fma_f32 v8, -v0, v5, v4
	v_fmac_f32_e32 v5, v8, v3
	s_delay_alu instid0(VALU_DEP_1) | instskip(SKIP_1) | instid1(VALU_DEP_1)
	v_fma_f32 v0, -v0, v5, v4
	s_wait_alu 0xfffd
	v_div_fmas_f32 v0, v0, v3, v5
	s_delay_alu instid0(VALU_DEP_1)
	v_div_fixup_f32 v0, v0, v7, v6
	global_store_b32 v[1:2], v0, off
.LBB16_24:
	s_endpgm
	.section	.rodata,"a",@progbits
	.p2align	6, 0x0
	.amdhsa_kernel _ZL33flash_attn_stream_k_fixup_generalILi128ELi1ELi8EEvPfPK15HIP_vector_typeIfLj2EEiiiiS1_IjLj3EES5_S5_S5_
		.amdhsa_group_segment_fixed_size 0
		.amdhsa_private_segment_fixed_size 0
		.amdhsa_kernarg_size 336
		.amdhsa_user_sgpr_count 2
		.amdhsa_user_sgpr_dispatch_ptr 0
		.amdhsa_user_sgpr_queue_ptr 0
		.amdhsa_user_sgpr_kernarg_segment_ptr 1
		.amdhsa_user_sgpr_dispatch_id 0
		.amdhsa_user_sgpr_private_segment_size 0
		.amdhsa_wavefront_size32 1
		.amdhsa_uses_dynamic_stack 0
		.amdhsa_enable_private_segment 0
		.amdhsa_system_sgpr_workgroup_id_x 1
		.amdhsa_system_sgpr_workgroup_id_y 1
		.amdhsa_system_sgpr_workgroup_id_z 1
		.amdhsa_system_sgpr_workgroup_info 0
		.amdhsa_system_vgpr_workitem_id 0
		.amdhsa_next_free_vgpr 9
		.amdhsa_next_free_sgpr 44
		.amdhsa_reserve_vcc 1
		.amdhsa_float_round_mode_32 0
		.amdhsa_float_round_mode_16_64 0
		.amdhsa_float_denorm_mode_32 3
		.amdhsa_float_denorm_mode_16_64 3
		.amdhsa_fp16_overflow 0
		.amdhsa_workgroup_processor_mode 1
		.amdhsa_memory_ordered 1
		.amdhsa_forward_progress 1
		.amdhsa_inst_pref_size 28
		.amdhsa_round_robin_scheduling 0
		.amdhsa_exception_fp_ieee_invalid_op 0
		.amdhsa_exception_fp_denorm_src 0
		.amdhsa_exception_fp_ieee_div_zero 0
		.amdhsa_exception_fp_ieee_overflow 0
		.amdhsa_exception_fp_ieee_underflow 0
		.amdhsa_exception_fp_ieee_inexact 0
		.amdhsa_exception_int_div_zero 0
	.end_amdhsa_kernel
	.section	.text._ZL33flash_attn_stream_k_fixup_generalILi128ELi1ELi8EEvPfPK15HIP_vector_typeIfLj2EEiiiiS1_IjLj3EES5_S5_S5_,"axG",@progbits,_ZL33flash_attn_stream_k_fixup_generalILi128ELi1ELi8EEvPfPK15HIP_vector_typeIfLj2EEiiiiS1_IjLj3EES5_S5_S5_,comdat
.Lfunc_end16:
	.size	_ZL33flash_attn_stream_k_fixup_generalILi128ELi1ELi8EEvPfPK15HIP_vector_typeIfLj2EEiiiiS1_IjLj3EES5_S5_S5_, .Lfunc_end16-_ZL33flash_attn_stream_k_fixup_generalILi128ELi1ELi8EEvPfPK15HIP_vector_typeIfLj2EEiiiiS1_IjLj3EES5_S5_S5_
                                        ; -- End function
	.set _ZL33flash_attn_stream_k_fixup_generalILi128ELi1ELi8EEvPfPK15HIP_vector_typeIfLj2EEiiiiS1_IjLj3EES5_S5_S5_.num_vgpr, 9
	.set _ZL33flash_attn_stream_k_fixup_generalILi128ELi1ELi8EEvPfPK15HIP_vector_typeIfLj2EEiiiiS1_IjLj3EES5_S5_S5_.num_agpr, 0
	.set _ZL33flash_attn_stream_k_fixup_generalILi128ELi1ELi8EEvPfPK15HIP_vector_typeIfLj2EEiiiiS1_IjLj3EES5_S5_S5_.numbered_sgpr, 44
	.set _ZL33flash_attn_stream_k_fixup_generalILi128ELi1ELi8EEvPfPK15HIP_vector_typeIfLj2EEiiiiS1_IjLj3EES5_S5_S5_.num_named_barrier, 0
	.set _ZL33flash_attn_stream_k_fixup_generalILi128ELi1ELi8EEvPfPK15HIP_vector_typeIfLj2EEiiiiS1_IjLj3EES5_S5_S5_.private_seg_size, 0
	.set _ZL33flash_attn_stream_k_fixup_generalILi128ELi1ELi8EEvPfPK15HIP_vector_typeIfLj2EEiiiiS1_IjLj3EES5_S5_S5_.uses_vcc, 1
	.set _ZL33flash_attn_stream_k_fixup_generalILi128ELi1ELi8EEvPfPK15HIP_vector_typeIfLj2EEiiiiS1_IjLj3EES5_S5_S5_.uses_flat_scratch, 0
	.set _ZL33flash_attn_stream_k_fixup_generalILi128ELi1ELi8EEvPfPK15HIP_vector_typeIfLj2EEiiiiS1_IjLj3EES5_S5_S5_.has_dyn_sized_stack, 0
	.set _ZL33flash_attn_stream_k_fixup_generalILi128ELi1ELi8EEvPfPK15HIP_vector_typeIfLj2EEiiiiS1_IjLj3EES5_S5_S5_.has_recursion, 0
	.set _ZL33flash_attn_stream_k_fixup_generalILi128ELi1ELi8EEvPfPK15HIP_vector_typeIfLj2EEiiiiS1_IjLj3EES5_S5_S5_.has_indirect_call, 0
	.section	.AMDGPU.csdata,"",@progbits
; Kernel info:
; codeLenInByte = 3556
; TotalNumSgprs: 46
; NumVgprs: 9
; ScratchSize: 0
; MemoryBound: 0
; FloatMode: 240
; IeeeMode: 1
; LDSByteSize: 0 bytes/workgroup (compile time only)
; SGPRBlocks: 0
; VGPRBlocks: 1
; NumSGPRsForWavesPerEU: 46
; NumVGPRsForWavesPerEU: 9
; Occupancy: 16
; WaveLimiterHint : 0
; COMPUTE_PGM_RSRC2:SCRATCH_EN: 0
; COMPUTE_PGM_RSRC2:USER_SGPR: 2
; COMPUTE_PGM_RSRC2:TRAP_HANDLER: 0
; COMPUTE_PGM_RSRC2:TGID_X_EN: 1
; COMPUTE_PGM_RSRC2:TGID_Y_EN: 1
; COMPUTE_PGM_RSRC2:TGID_Z_EN: 1
; COMPUTE_PGM_RSRC2:TIDIG_COMP_CNT: 0
	.section	.text._ZL15flash_attn_tileILi128ELi128ELi16ELi4ELb0EEvPKcS1_S1_S1_S1_PKiPfP15HIP_vector_typeIfLj2EEffffjfiS5_IjLj3EEiiiiiiiiiiiliiliiiiil,"axG",@progbits,_ZL15flash_attn_tileILi128ELi128ELi16ELi4ELb0EEvPKcS1_S1_S1_S1_PKiPfP15HIP_vector_typeIfLj2EEffffjfiS5_IjLj3EEiiiiiiiiiiiliiliiiiil,comdat
	.globl	_ZL15flash_attn_tileILi128ELi128ELi16ELi4ELb0EEvPKcS1_S1_S1_S1_PKiPfP15HIP_vector_typeIfLj2EEffffjfiS5_IjLj3EEiiiiiiiiiiiliiliiiiil ; -- Begin function _ZL15flash_attn_tileILi128ELi128ELi16ELi4ELb0EEvPKcS1_S1_S1_S1_PKiPfP15HIP_vector_typeIfLj2EEffffjfiS5_IjLj3EEiiiiiiiiiiiliiliiiiil
	.p2align	8
	.type	_ZL15flash_attn_tileILi128ELi128ELi16ELi4ELb0EEvPKcS1_S1_S1_S1_PKiPfP15HIP_vector_typeIfLj2EEffffjfiS5_IjLj3EEiiiiiiiiiiiliiliiiiil,@function
_ZL15flash_attn_tileILi128ELi128ELi16ELi4ELb0EEvPKcS1_S1_S1_S1_PKiPfP15HIP_vector_typeIfLj2EEffffjfiS5_IjLj3EEiiiiiiiiiiiliiliiiiil: ; @_ZL15flash_attn_tileILi128ELi128ELi16ELi4ELb0EEvPKcS1_S1_S1_S1_PKiPfP15HIP_vector_typeIfLj2EEffffjfiS5_IjLj3EEiiiiiiiiiiiliiliiiiil
; %bb.0:
	s_clause 0x1
	s_load_b128 s[28:31], s[0:1], 0x5c
	s_load_b64 s[38:39], s[0:1], 0x80
	s_lshr_b32 s5, ttmp7, 16
	s_clause 0x1
	s_load_b512 s[12:27], s[0:1], 0x0
	s_load_b64 s[8:9], s[0:1], 0xb8
	s_mov_b64 s[40:41], 0
	s_wait_kmcnt 0x0
	s_ashr_i32 s2, s31, 31
	s_delay_alu instid0(SALU_CYCLE_1) | instskip(NEXT) | instid1(SALU_CYCLE_1)
	s_lshr_b32 s2, s2, 30
	s_add_co_i32 s2, s31, s2
	s_delay_alu instid0(SALU_CYCLE_1) | instskip(NEXT) | instid1(SALU_CYCLE_1)
	s_ashr_i32 s2, s2, 2
	s_cvt_f32_u32 s3, s2
	s_sub_co_i32 s4, 0, s2
	s_delay_alu instid0(SALU_CYCLE_2) | instskip(NEXT) | instid1(TRANS32_DEP_1)
	v_rcp_iflag_f32_e32 v1, s3
	v_readfirstlane_b32 s3, v1
	s_mul_f32 s3, s3, 0x4f7ffffe
	s_wait_alu 0xfffe
	s_delay_alu instid0(SALU_CYCLE_2) | instskip(SKIP_1) | instid1(SALU_CYCLE_2)
	s_cvt_u32_f32 s3, s3
	s_wait_alu 0xfffe
	s_mul_i32 s4, s4, s3
	s_delay_alu instid0(SALU_CYCLE_1) | instskip(NEXT) | instid1(SALU_CYCLE_1)
	s_mul_hi_u32 s4, s3, s4
	s_add_co_i32 s3, s3, s4
	s_wait_alu 0xfffe
	s_mul_hi_u32 s3, s5, s3
	s_wait_alu 0xfffe
	s_mul_i32 s4, s3, s2
	s_add_co_i32 s6, s3, 1
	s_sub_co_i32 s4, s5, s4
	s_delay_alu instid0(SALU_CYCLE_1)
	s_sub_co_i32 s7, s4, s2
	s_cmp_ge_u32 s4, s2
	s_cselect_b32 s3, s6, s3
	s_cselect_b32 s4, s7, s4
	s_wait_alu 0xfffe
	s_add_co_i32 s6, s3, 1
	s_cmp_ge_u32 s4, s2
	s_cselect_b32 s36, s6, s3
	s_abs_i32 s2, s39
	s_abs_i32 s7, s31
	s_wait_alu 0xfffe
	s_cvt_f32_u32 s3, s2
	s_sub_co_i32 s4, 0, s2
	s_lshl_b32 s5, s5, 2
	s_mul_i32 s6, s36, s31
	s_wait_alu 0xfffe
	v_rcp_iflag_f32_e32 v1, s3
	s_sub_co_i32 s34, s5, s6
	s_delay_alu instid0(TRANS32_DEP_1) | instskip(SKIP_2) | instid1(SALU_CYCLE_2)
	v_readfirstlane_b32 s3, v1
	s_mul_f32 s3, s3, 0x4f7ffffe
	s_wait_alu 0xfffe
	s_cvt_u32_f32 s3, s3
	s_wait_alu 0xfffe
	s_delay_alu instid0(SALU_CYCLE_2) | instskip(NEXT) | instid1(SALU_CYCLE_1)
	s_mul_i32 s4, s4, s3
	s_mul_hi_u32 s4, s3, s4
	s_delay_alu instid0(SALU_CYCLE_1)
	s_add_co_i32 s3, s3, s4
	s_xor_b32 s4, s31, s39
	s_wait_alu 0xfffe
	s_mul_hi_u32 s3, s7, s3
	s_ashr_i32 s4, s4, 31
	s_wait_alu 0xfffe
	s_mul_i32 s5, s3, s2
	s_add_co_i32 s6, s3, 1
	s_sub_co_i32 s5, s7, s5
	s_delay_alu instid0(SALU_CYCLE_1)
	s_sub_co_i32 s7, s5, s2
	s_cmp_ge_u32 s5, s2
	s_cselect_b32 s3, s6, s3
	s_cselect_b32 s5, s7, s5
	s_wait_alu 0xfffe
	s_add_co_i32 s6, s3, 1
	s_cmp_ge_u32 s5, s2
	s_cselect_b32 s2, s6, s3
	s_mov_b32 s3, 0
	s_wait_alu 0xfffe
	s_xor_b32 s2, s2, s4
	s_wait_alu 0xfffe
	s_sub_co_i32 s11, s2, s4
	s_delay_alu instid0(SALU_CYCLE_1) | instskip(SKIP_3) | instid1(SALU_CYCLE_2)
	s_abs_i32 s10, s11
	s_cmp_eq_u64 s[18:19], 0
	s_cvt_f32_u32 s2, s10
	s_wait_alu 0xfffe
	v_rcp_iflag_f32_e32 v1, s2
	s_delay_alu instid0(TRANS32_DEP_1)
	v_readfirstlane_b32 s2, v1
	s_cbranch_scc1 .LBB17_2
; %bb.1:
	s_abs_i32 s6, s8
	s_delay_alu instid0(SALU_CYCLE_1) | instskip(NEXT) | instid1(SALU_CYCLE_3)
	s_cvt_f32_u32 s4, s6
	v_rcp_iflag_f32_e32 v1, s4
	s_delay_alu instid0(TRANS32_DEP_1) | instskip(SKIP_2) | instid1(SALU_CYCLE_2)
	v_readfirstlane_b32 s4, v1
	s_mul_f32 s4, s4, 0x4f7ffffe
	s_wait_alu 0xfffe
	s_cvt_u32_f32 s7, s4
	s_sub_co_i32 s4, 0, s6
	s_wait_alu 0xfffe
	s_delay_alu instid0(SALU_CYCLE_1) | instskip(SKIP_4) | instid1(SALU_CYCLE_1)
	s_mul_i32 s4, s4, s7
	s_wait_alu 0xfffe
	s_mul_hi_u32 s8, s7, s4
	s_load_b64 s[4:5], s[0:1], 0xc8
	s_add_co_i32 s7, s7, s8
	s_mul_hi_u32 s7, s36, s7
	s_delay_alu instid0(SALU_CYCLE_1) | instskip(NEXT) | instid1(SALU_CYCLE_1)
	s_mul_i32 s7, s7, s6
	s_sub_co_i32 s7, s36, s7
	s_delay_alu instid0(SALU_CYCLE_1) | instskip(SKIP_2) | instid1(SALU_CYCLE_1)
	s_sub_co_i32 s8, s7, s6
	s_cmp_ge_u32 s7, s6
	s_cselect_b32 s7, s8, s7
	s_sub_co_i32 s8, s7, s6
	s_cmp_ge_u32 s7, s6
	s_cselect_b32 s6, s8, s7
	s_delay_alu instid0(SALU_CYCLE_1)
	s_ashr_i32 s7, s6, 31
	s_wait_kmcnt 0x0
	s_mul_u64 s[4:5], s[4:5], s[6:7]
	s_wait_alu 0xfffe
	s_add_nc_u64 s[40:41], s[18:19], s[4:5]
.LBB17_2:
	v_bfe_u32 v1, v0, 10, 10
	v_and_b32_e32 v35, 0x3ff, v0
	s_lshl_b32 s19, ttmp9, 4
	s_load_b96 s[4:6], s[0:1], 0x70
	s_delay_alu instid0(VALU_DEP_2) | instskip(NEXT) | instid1(VALU_DEP_1)
	v_lshlrev_b32_e32 v0, 3, v1
	v_or_b32_e32 v53, 6, v0
	v_or_b32_e32 v33, 4, v0
	;; [unrolled: 1-line block ×4, first 2 shown]
	s_delay_alu instid0(VALU_DEP_4) | instskip(NEXT) | instid1(VALU_DEP_4)
	v_lshrrev_b32_e32 v28, 2, v53
	v_lshrrev_b32_e32 v32, 2, v33
	s_delay_alu instid0(VALU_DEP_4) | instskip(NEXT) | instid1(VALU_DEP_4)
	v_lshrrev_b32_e32 v30, 2, v52
	v_lshrrev_b32_e32 v26, 2, v54
	s_delay_alu instid0(VALU_DEP_4) | instskip(NEXT) | instid1(VALU_DEP_3)
	v_add_nc_u32_e32 v29, s19, v28
	v_add_nc_u32_e32 v31, s19, v30
	s_wait_kmcnt 0x0
	s_ashr_i32 s47, s4, 31
	s_mov_b32 s46, s4
	v_mul_hi_u32 v7, v29, s28
	s_lshr_b64 s[48:49], s[46:47], 2
	s_lshr_b32 s8, s47, 2
	s_mul_i32 s6, s36, s6
	s_mul_i32 s42, s34, s5
	s_ashr_i32 s45, s5, 31
	s_mov_b32 s44, s5
	s_ashr_i32 s7, s6, 31
	v_add_nc_u32_e32 v7, v29, v7
	s_ashr_i32 s43, s42, 31
	s_lshr_b64 s[50:51], s[44:45], 2
	s_and_b32 s44, s5, -4
	s_add_nc_u64 s[4:5], s[12:13], s[6:7]
	v_lshrrev_b32_e32 v7, s29, v7
	s_wait_alu 0xfffe
	s_add_nc_u64 s[4:5], s[4:5], s[42:43]
	s_lshl_b64 s[6:7], s[50:51], 3
	s_wait_alu 0xfffe
	s_add_nc_u64 s[42:43], s[4:5], s[44:45]
	v_add_nc_u32_e32 v27, s19, v26
	v_mul_lo_u32 v7, v7, s30
	s_add_nc_u64 s[6:7], s[4:5], s[6:7]
	s_mul_u64 s[12:13], s[50:51], 12
	s_cmp_eq_u64 s[22:23], 0
	v_mul_hi_u32 v14, v27, s28
	s_add_nc_u64 s[12:13], s[4:5], s[12:13]
	s_delay_alu instid0(VALU_DEP_2) | instskip(NEXT) | instid1(VALU_DEP_2)
	v_sub_nc_u32_e32 v38, v29, v7
	v_add_nc_u32_e32 v14, v27, v14
	s_delay_alu instid0(VALU_DEP_2) | instskip(SKIP_1) | instid1(VALU_DEP_1)
	v_mad_co_u64_u32 v[36:37], null, s48, v38, 0
	v_add_nc_u32_e32 v34, s19, v32
	v_mul_hi_u32 v5, v34, s28
	s_delay_alu instid0(VALU_DEP_1) | instskip(NEXT) | instid1(VALU_DEP_1)
	v_add_nc_u32_e32 v6, v34, v5
	v_lshrrev_b32_e32 v6, s29, v6
	s_delay_alu instid0(VALU_DEP_1) | instskip(NEXT) | instid1(VALU_DEP_1)
	v_mul_lo_u32 v6, v6, s30
	v_sub_nc_u32_e32 v11, v34, v6
	s_delay_alu instid0(VALU_DEP_1) | instskip(SKIP_1) | instid1(VALU_DEP_1)
	v_mad_co_u64_u32 v[20:21], null, s48, v11, 0
	v_lshlrev_b32_e32 v24, 1, v1
	v_add_nc_u32_e32 v25, s19, v24
	s_delay_alu instid0(VALU_DEP_1) | instskip(NEXT) | instid1(VALU_DEP_1)
	v_mul_hi_u32 v2, v25, s28
	v_add_nc_u32_e32 v3, v25, v2
	v_lshlrev_b32_e32 v2, 4, v35
	s_delay_alu instid0(VALU_DEP_2) | instskip(NEXT) | instid1(VALU_DEP_1)
	v_lshrrev_b32_e32 v3, s29, v3
	v_mul_lo_u32 v0, v3, s30
	s_delay_alu instid0(VALU_DEP_1) | instskip(NEXT) | instid1(VALU_DEP_1)
	v_sub_nc_u32_e32 v0, v25, v0
	v_mad_co_u64_u32 v[3:4], null, s48, v0, 0
	s_delay_alu instid0(VALU_DEP_1) | instskip(SKIP_1) | instid1(VALU_DEP_2)
	v_mad_co_u64_u32 v[4:5], null, s8, v0, v[4:5]
	v_mul_hi_u32 v5, v31, s28
	v_lshlrev_b64_e32 v[3:4], 2, v[3:4]
	s_delay_alu instid0(VALU_DEP_2) | instskip(NEXT) | instid1(VALU_DEP_1)
	v_add_nc_u32_e32 v5, v31, v5
	v_lshrrev_b32_e32 v10, s29, v5
	s_delay_alu instid0(VALU_DEP_3) | instskip(NEXT) | instid1(VALU_DEP_1)
	v_add_co_u32 v5, vcc_lo, s4, v3
	v_add_co_ci_u32_e64 v6, null, s5, v4, vcc_lo
	s_delay_alu instid0(VALU_DEP_3)
	v_mul_lo_u32 v10, v10, s30
	v_add_co_u32 v8, vcc_lo, s42, v3
	s_wait_alu 0xfffd
	v_add_co_ci_u32_e64 v9, null, s43, v4, vcc_lo
	v_add_co_u32 v12, vcc_lo, s6, v3
	s_wait_alu 0xfffd
	v_add_co_ci_u32_e64 v13, null, s7, v4, vcc_lo
	v_add_co_u32 v5, vcc_lo, v5, v2
	v_sub_nc_u32_e32 v10, v31, v10
	s_wait_alu 0xfffd
	v_add_co_ci_u32_e64 v6, null, 0, v6, vcc_lo
	v_add_co_u32 v8, vcc_lo, v8, v2
	s_wait_alu 0xfffd
	v_add_co_ci_u32_e64 v9, null, 0, v9, vcc_lo
	v_add_co_u32 v12, vcc_lo, v12, v2
	;; [unrolled: 3-line block ×3, first 2 shown]
	v_mov_b32_e32 v3, v21
	v_mad_co_u64_u32 v[22:23], null, s48, v10, 0
	s_wait_alu 0xfffd
	v_add_co_ci_u32_e64 v17, null, s13, v4, vcc_lo
	s_delay_alu instid0(VALU_DEP_3) | instskip(SKIP_1) | instid1(VALU_DEP_4)
	v_mad_co_u64_u32 v[3:4], null, s8, v11, v[3:4]
	v_lshrrev_b32_e32 v11, s29, v14
	v_mov_b32_e32 v4, v23
	s_delay_alu instid0(VALU_DEP_2) | instskip(NEXT) | instid1(VALU_DEP_4)
	v_mul_lo_u32 v23, v11, s30
	v_mov_b32_e32 v21, v3
	s_delay_alu instid0(VALU_DEP_3) | instskip(NEXT) | instid1(VALU_DEP_2)
	v_mad_co_u64_u32 v[3:4], null, s8, v10, v[4:5]
	v_lshlrev_b64_e32 v[20:21], 2, v[20:21]
	s_delay_alu instid0(VALU_DEP_4) | instskip(NEXT) | instid1(VALU_DEP_3)
	v_sub_nc_u32_e32 v40, v27, v23
	v_mov_b32_e32 v23, v3
	v_add_co_u32 v16, vcc_lo, v15, v2
	s_wait_alu 0xfffd
	v_add_co_ci_u32_e64 v17, null, 0, v17, vcc_lo
	s_clause 0x3
	global_load_b128 v[4:7], v[5:6], off
	global_load_b128 v[8:11], v[8:9], off
	;; [unrolled: 1-line block ×4, first 2 shown]
	v_mad_co_u64_u32 v[44:45], null, s48, v40, 0
	v_mov_b32_e32 v3, v37
	v_add_co_u32 v37, vcc_lo, s4, v20
	s_wait_alu 0xfffd
	v_add_co_ci_u32_e64 v39, null, s5, v21, vcc_lo
	v_lshlrev_b64_e32 v[20:21], 2, v[22:23]
	s_load_b32 s4, s[0:1], 0x40
	s_wait_loadcnt 0x3
	v_mad_co_u64_u32 v[22:23], null, s8, v38, v[3:4]
	v_mov_b32_e32 v3, v45
	v_add_co_u32 v38, vcc_lo, v37, v2
	s_wait_alu 0xfffd
	v_add_co_ci_u32_e64 v39, null, 0, v39, vcc_lo
	s_delay_alu instid0(VALU_DEP_3) | instskip(SKIP_4) | instid1(VALU_DEP_3)
	v_mad_co_u64_u32 v[40:41], null, s8, v40, v[3:4]
	v_add_co_u32 v3, vcc_lo, s42, v20
	s_wait_alu 0xfffd
	v_add_co_ci_u32_e64 v21, null, s43, v21, vcc_lo
	v_mov_b32_e32 v37, v22
	v_add_co_u32 v20, vcc_lo, v3, v2
	v_mov_b32_e32 v45, v40
	s_wait_alu 0xfffd
	v_add_co_ci_u32_e64 v21, null, 0, v21, vcc_lo
	v_lshlrev_b64_e32 v[22:23], 2, v[36:37]
	s_clause 0x1
	global_load_b128 v[36:39], v[38:39], off
	global_load_b128 v[40:43], v[20:21], off
	v_lshlrev_b64_e32 v[20:21], 2, v[44:45]
	s_wait_kmcnt 0x0
	v_fma_mixlo_f16 v4, s4, v4, 0
	v_fma_mixlo_f16 v5, s4, v5, 0
	v_add_co_u32 v3, vcc_lo, s6, v22
	s_wait_alu 0xfffd
	v_add_co_ci_u32_e64 v22, null, s7, v23, vcc_lo
	v_add_co_u32 v23, vcc_lo, s12, v20
	s_wait_alu 0xfffd
	v_add_co_ci_u32_e64 v44, null, s13, v21, vcc_lo
	;; [unrolled: 3-line block ×4, first 2 shown]
	s_clause 0x1
	global_load_b128 v[44:47], v[20:21], off
	global_load_b128 v[48:51], v[22:23], off
	v_fma_mixlo_f16 v6, s4, v6, 0
	v_fma_mixlo_f16 v7, s4, v7, 0
	s_wait_loadcnt 0x6
	v_fma_mixlo_f16 v8, s4, v8, 0
	v_fma_mixlo_f16 v9, s4, v9, 0
	s_wait_loadcnt 0x5
	v_fma_mixlo_f16 v12, s4, v12, 0
	v_fma_mixlo_f16 v13, s4, v13, 0
	;; [unrolled: 1-line block ×4, first 2 shown]
	s_wait_loadcnt 0x4
	v_fma_mixlo_f16 v16, s4, v16, 0
	v_fma_mixlo_f16 v17, s4, v17, 0
	;; [unrolled: 1-line block ×4, first 2 shown]
	v_lshlrev_b32_e32 v5, 16, v5
	v_and_b32_e32 v4, 0xffff, v4
	v_lshlrev_b32_e32 v7, 16, v7
	v_and_b32_e32 v6, 0xffff, v6
	;; [unrolled: 2-line block ×4, first 2 shown]
	v_fma_mixlo_f16 v18, s4, v18, 0
	v_fma_mixlo_f16 v19, s4, v19, 0
	v_lshlrev_b32_e32 v11, 16, v11
	v_and_b32_e32 v10, 0xffff, v10
	v_lshlrev_b32_e32 v17, 16, v17
	v_and_b32_e32 v16, 0xffff, v16
	;; [unrolled: 2-line block ×3, first 2 shown]
	v_lshlrev_b32_e32 v3, 3, v35
	v_lshlrev_b32_e32 v20, 11, v1
	v_or_b32_e32 v4, v5, v4
	v_or3_b32 v5, v7, v6, 0
	v_or_b32_e32 v6, v9, v8
	v_or_b32_e32 v8, v13, v12
	v_lshlrev_b32_e32 v19, 16, v19
	v_and_b32_e32 v18, 0xffff, v18
	v_or3_b32 v7, v11, v10, 0
	v_or_b32_e32 v10, v17, v16
	v_or3_b32 v9, v15, v14, 0
	v_add_nc_u32_e32 v21, v3, v20
	v_or3_b32 v4, 0, 0, v4
	v_or3_b32 v6, 0, 0, v6
	;; [unrolled: 1-line block ×5, first 2 shown]
	v_lshl_add_u32 v22, v33, 8, v3
	ds_store_2addr_b64 v21, v[4:5], v[6:7] offset1:32
	v_lshl_add_u32 v23, v52, 8, v3
	v_lshl_add_u32 v33, v53, 8, v3
	v_lshl_add_u32 v52, v54, 8, v3
	s_wait_loadcnt 0x3
	v_fma_mixlo_f16 v12, s4, v36, 0
	v_fma_mixlo_f16 v13, s4, v37, 0
	s_wait_loadcnt 0x2
	v_fma_mixlo_f16 v16, s4, v40, 0
	v_fma_mixlo_f16 v17, s4, v41, 0
	;; [unrolled: 1-line block ×4, first 2 shown]
	v_lshlrev_b32_e32 v13, 16, v13
	v_and_b32_e32 v12, 0xffff, v12
	v_fma_mixlo_f16 v18, s4, v42, 0
	v_fma_mixlo_f16 v19, s4, v43, 0
	v_lshlrev_b32_e32 v17, 16, v17
	v_and_b32_e32 v16, 0xffff, v16
	v_lshlrev_b32_e32 v15, 16, v15
	v_and_b32_e32 v14, 0xffff, v14
	v_or_b32_e32 v4, v13, v12
	v_lshlrev_b32_e32 v19, 16, v19
	v_and_b32_e32 v18, 0xffff, v18
	v_or_b32_e32 v6, v17, v16
	v_or3_b32 v5, v15, v14, 0
	v_or3_b32 v4, 0, 0, v4
	s_delay_alu instid0(VALU_DEP_4)
	v_or3_b32 v7, v19, v18, 0
	s_wait_loadcnt 0x1
	v_fma_mixlo_f16 v36, s4, v44, 0
	v_fma_mixlo_f16 v37, s4, v45, 0
	s_wait_loadcnt 0x0
	v_fma_mixlo_f16 v40, s4, v48, 0
	v_fma_mixlo_f16 v41, s4, v49, 0
	;; [unrolled: 1-line block ×4, first 2 shown]
	v_lshlrev_b32_e32 v37, 16, v37
	v_and_b32_e32 v36, 0xffff, v36
	v_fma_mixlo_f16 v42, s4, v50, 0
	v_fma_mixlo_f16 v43, s4, v51, 0
	v_lshlrev_b32_e32 v41, 16, v41
	v_and_b32_e32 v40, 0xffff, v40
	v_lshlrev_b32_e32 v39, 16, v39
	v_and_b32_e32 v38, 0xffff, v38
	v_or_b32_e32 v12, v37, v36
	v_lshlrev_b32_e32 v43, 16, v43
	v_and_b32_e32 v42, 0xffff, v42
	v_or_b32_e32 v14, v41, v40
	v_or3_b32 v6, 0, 0, v6
	v_or3_b32 v13, v39, v38, 0
	;; [unrolled: 1-line block ×5, first 2 shown]
	ds_store_2addr_b64 v21, v[8:9], v[10:11] offset0:64 offset1:96
	ds_store_b64 v22, v[4:5]
	ds_store_b64 v23, v[6:7]
	;; [unrolled: 1-line block ×4, first 2 shown]
	s_wait_dscnt 0x0
	s_barrier_signal -1
	s_barrier_wait -1
	global_inv scope:SCOPE_SE
	s_cbranch_scc1 .LBB17_4
; %bb.3:
	s_load_b32 s4, s[0:1], 0xd0
	s_mov_b32 s5, 0
	s_wait_kmcnt 0x0
	s_mul_i32 s4, s4, s36
	s_wait_alu 0xfffe
	s_add_co_i32 s4, s4, ttmp9
	s_wait_alu 0xfffe
	s_lshl_b64 s[4:5], s[4:5], 2
	s_wait_alu 0xfffe
	s_add_nc_u64 s[4:5], s[22:23], s[4:5]
	s_load_b32 s38, s[4:5], 0x0
.LBB17_4:
	s_and_b32 s18, ttmp7, 0xffff
	v_mbcnt_lo_u32_b32 v36, -1, 0
	s_wait_alu 0xfffe
	s_lshl_b32 s22, s18, 6
	s_wait_kmcnt 0x0
	s_cmp_lt_i32 s22, s38
	s_cbranch_scc1 .LBB17_7
; %bb.5:
	v_mbcnt_lo_u32_b32 v9, -1, 0
	v_mov_b32_e32 v8, 32
	s_delay_alu instid0(VALU_DEP_2)
	v_xor_b32_e32 v39, 16, v9
	v_xor_b32_e32 v37, 8, v9
	;; [unrolled: 1-line block ×5, first 2 shown]
	v_lshlrev_b32_e32 v33, 2, v35
	s_mov_b32 s37, 0
	s_cbranch_execz .LBB17_8
; %bb.6:
	v_dual_mov_b32 v76, 0 :: v_dual_mov_b32 v7, 0xfeffffff
	v_dual_mov_b32 v38, 0 :: v_dual_mov_b32 v5, 0xfeffffff
	;; [unrolled: 1-line block ×15, first 2 shown]
	v_mov_b32_e32 v64, 0
	v_mov_b32_e32 v62, 0
	s_branch .LBB17_11
.LBB17_7:
                                        ; implicit-def: $vgpr9
                                        ; implicit-def: $vgpr8
                                        ; implicit-def: $vgpr39
                                        ; implicit-def: $vgpr37
                                        ; implicit-def: $vgpr23
                                        ; implicit-def: $vgpr22
                                        ; implicit-def: $vgpr21
	v_lshlrev_b32_e32 v33, 2, v35
	s_mov_b32 s37, 0
.LBB17_8:
	v_add3_u32 v7, s19, v24, 1
	s_clause 0x1
	s_load_b128 s[4:7], s[0:1], 0x98
	s_load_b64 s[12:13], s[0:1], 0x8c
	s_mul_f32 s2, s2, 0x4f7ffffe
	s_sub_co_i32 s23, 0, s10
	v_lshrrev_b32_e32 v4, 3, v35
	v_mul_hi_u32 v5, s28, v7
	s_wait_alu 0xfffe
	s_cvt_u32_f32 s8, s2
	v_dual_mov_b32 v63, 0 :: v_dual_and_b32 v14, 28, v33
	v_lshrrev_b32_e32 v9, 4, v35
	s_wait_alu 0xfffe
	s_mul_i32 s23, s23, s8
	s_abs_i32 s2, s34
	s_mul_hi_u32 s23, s8, s23
	v_dual_mov_b32 v62, 0 :: v_dual_add_nc_u32 v5, v7, v5
	s_mov_b32 s43, s3
	s_add_co_i32 s42, s8, s23
	v_lshl_add_u32 v6, v1, 2, v4
	s_delay_alu instid0(VALU_DEP_2)
	v_lshrrev_b32_e32 v5, s29, v5
	s_wait_alu 0xfffe
	s_mul_u64 s[42:43], s[2:3], s[42:43]
	v_dual_mov_b32 v65, 0 :: v_dual_lshlrev_b32 v8, 2, v14
	s_wait_alu 0xfffe
	s_mul_i32 s3, s43, s10
	v_mul_lo_u32 v11, v5, s30
	v_add_nc_u32_e32 v9, v9, v24
	s_ashr_i32 s33, s34, 31
	s_ashr_i32 s11, s11, 31
	s_load_b64 s[46:47], s[0:1], 0xa8
	s_sub_co_i32 s2, s2, s3
	s_ashr_i32 s23, s9, 1
	s_wait_kmcnt 0x0
	s_ashr_i32 s42, s6, 2
	s_ashr_i32 s44, s12, 2
	v_mad_u32_u24 v10, 0x90, v6, v8
	v_dual_mov_b32 v67, 0 :: v_dual_and_b32 v18, 60, v33
	s_xor_b32 s8, s33, s11
	s_add_co_i32 s9, s43, 1
	s_wait_alu 0xfffe
	s_sub_co_i32 s3, s2, s10
	s_cmp_ge_u32 s2, s10
	v_mul_lo_u32 v4, s44, v6
	v_mul_lo_u32 v50, v0, s23
	v_mov_b32_e32 v0, 0xfeffffff
	v_mul_lo_u32 v8, s42, v9
	s_cselect_b32 s6, s9, s43
	s_wait_alu 0xfffe
	s_cselect_b32 s2, s3, s2
	v_dual_mov_b32 v64, 0 :: v_dual_add_nc_u32 v47, 0x4000, v10
	v_dual_mov_b32 v69, 0 :: v_dual_lshlrev_b32 v12, 2, v18
	v_dual_mov_b32 v71, 0 :: v_dual_add_nc_u32 v48, 0x5200, v10
	v_sub_nc_u32_e32 v10, v7, v11
	s_add_co_i32 s3, s6, 1
	s_wait_alu 0xfffe
	s_cmp_ge_u32 s2, s10
	v_lshl_add_u32 v6, s44, 5, v4
	s_cselect_b32 s6, s3, s6
	v_lshl_or_b32 v11, v9, 8, v12
	v_mul_lo_u32 v51, v10, s23
	v_lshl_add_u32 v10, s42, 4, v8
	s_wait_alu 0xfffe
	s_xor_b32 s6, s6, s8
	s_mul_u64 s[2:3], s[4:5], s[36:37]
	s_wait_alu 0xfffe
	s_sub_co_i32 s6, s6, s8
	v_ashrrev_i32_e32 v5, 31, v4
	s_wait_alu 0xfffe
	s_mul_i32 s8, s6, s13
	v_ashrrev_i32_e32 v7, 31, v6
	v_dual_mov_b32 v66, 0 :: v_dual_add_nc_u32 v53, 0x4000, v11
	v_ashrrev_i32_e32 v9, 31, v8
	v_dual_mov_b32 v73, 0 :: v_dual_add_nc_u32 v54, 0x5000, v11
	v_ashrrev_i32_e32 v11, 31, v10
	v_lshl_add_u32 v52, v1, 10, 0x6400
	v_or_b32_e32 v55, 0x4000, v3
	s_add_nc_u64 s[2:3], s[14:15], s[2:3]
	s_wait_alu 0xfffe
	s_ashr_i32 s9, s8, 31
	s_mul_u64 s[4:5], s[46:47], s[36:37]
	s_wait_alu 0xfffe
	s_add_nc_u64 s[46:47], s[2:3], s[8:9]
	s_movk_i32 s2, 0x4000
	s_mul_i32 s6, s6, s7
	v_lshlrev_b64_e32 v[12:13], 2, v[4:5]
	v_dual_mov_b32 v75, 0 :: v_dual_lshlrev_b32 v56, 2, v14
	v_lshlrev_b64_e32 v[14:15], 2, v[6:7]
	v_lshlrev_b64_e32 v[16:17], 2, v[8:9]
	v_dual_mov_b32 v77, 0 :: v_dual_lshlrev_b32 v58, 2, v18
	v_lshlrev_b64_e32 v[18:19], 2, v[10:11]
	s_wait_alu 0xfffe
	v_mad_u32_u24 v49, 0x90, v35, s2
	v_xor_b32_e32 v39, 16, v36
	v_xor_b32_e32 v37, 8, v36
	;; [unrolled: 1-line block ×5, first 2 shown]
	v_dual_mov_b32 v68, 0 :: v_dual_add_nc_u32 v57, v52, v2
	v_dual_mov_b32 v70, 0 :: v_dual_add_nc_u32 v59, 0x800, v55
	;; [unrolled: 1-line block ×4, first 2 shown]
	v_dual_mov_b32 v74, 0 :: v_dual_mov_b32 v1, 0xfeffffff
	v_dual_mov_b32 v76, 0 :: v_dual_mov_b32 v3, 0xfeffffff
	;; [unrolled: 1-line block ×6, first 2 shown]
	v_mov_b32_e32 v44, 0
	v_mov_b32_e32 v42, 0
	v_mov_b32_e32 v40, 0
	v_mov_b32_e32 v38, 0
	s_add_nc_u64 s[4:5], s[16:17], s[4:5]
	s_ashr_i32 s7, s6, 31
	s_ashr_i32 s45, s44, 31
	s_wait_alu 0xfffe
	s_add_nc_u64 s[48:49], s[4:5], s[6:7]
	s_ashr_i32 s43, s42, 31
	s_add_nc_u64 s[28:29], s[0:1], 0xd0
.LBB17_9:                               ; =>This Inner Loop Header: Depth=1
	s_ashr_i32 s23, s22, 31
	v_mov_b32_e32 v92, 0
	s_wait_alu 0xfffe
	s_mul_u64 s[2:3], s[22:23], s[44:45]
	v_mov_b32_e32 v88, 0
	s_wait_alu 0xfffe
	s_lshl_b64 s[2:3], s[2:3], 2
	v_dual_mov_b32 v86, 0 :: v_dual_mov_b32 v91, 0
	s_wait_alu 0xfffe
	s_add_nc_u64 s[2:3], s[46:47], s[2:3]
	v_dual_mov_b32 v84, 0 :: v_dual_mov_b32 v89, 0
	s_wait_alu 0xfffe
	v_add_co_u32 v8, vcc_lo, s2, v12
	s_wait_alu 0xfffd
	v_add_co_ci_u32_e64 v9, null, s3, v13, vcc_lo
	v_dual_mov_b32 v82, 0 :: v_dual_mov_b32 v87, 0
	s_delay_alu instid0(VALU_DEP_3) | instskip(SKIP_1) | instid1(VALU_DEP_3)
	v_add_co_u32 v8, vcc_lo, v8, v56
	s_wait_alu 0xfffd
	v_add_co_ci_u32_e64 v9, null, 0, v9, vcc_lo
	v_add_co_u32 v10, vcc_lo, s2, v14
	s_wait_alu 0xfffd
	v_add_co_ci_u32_e64 v11, null, s3, v15, vcc_lo
	global_load_b128 v[78:81], v[8:9], off
	v_add_co_u32 v10, vcc_lo, v10, v56
	s_wait_alu 0xfffd
	v_add_co_ci_u32_e64 v11, null, 0, v11, vcc_lo
	v_dual_mov_b32 v90, 0 :: v_dual_mov_b32 v85, 0
	v_mov_b32_e32 v83, 0
	s_wait_loadcnt 0x0
	ds_store_b128 v47, v[78:81]
	global_load_b128 v[78:81], v[10:11], off
	s_wait_loadcnt 0x0
	ds_store_b128 v48, v[78:81]
	s_wait_dscnt 0x0
	s_barrier_signal -1
	s_barrier_wait -1
	global_inv scope:SCOPE_SE
	ds_load_b128 v[93:96], v49
	ds_load_b128 v[97:100], v20
	ds_load_b128 v[101:104], v20 offset:256
	ds_load_b128 v[105:108], v20 offset:512
	;; [unrolled: 1-line block ×8, first 2 shown]
	v_mov_b32_e32 v79, 0
	s_wait_dscnt 0x8
	;;#ASMSTART
	v_dot2_f32_f16 v92, v93, v97, v92
	;;#ASMEND
	;;#ASMSTART
	v_dot2_f32_f16 v92, v94, v98, v92
	;;#ASMEND
	;;#ASMSTART
	v_dot2_f32_f16 v92, v95, v99, v92
	;;#ASMEND
	;;#ASMSTART
	v_dot2_f32_f16 v92, v96, v100, v92
	;;#ASMEND
	s_wait_dscnt 0x7
	;;#ASMSTART
	v_dot2_f32_f16 v88, v93, v101, v88
	;;#ASMEND
	;;#ASMSTART
	v_dot2_f32_f16 v88, v94, v102, v88
	;;#ASMEND
	;;#ASMSTART
	v_dot2_f32_f16 v88, v95, v103, v88
	;;#ASMEND
	;;#ASMSTART
	v_dot2_f32_f16 v88, v96, v104, v88
	;;#ASMEND
	s_wait_dscnt 0x6
	;;#ASMSTART
	v_dot2_f32_f16 v86, v93, v105, v86
	;;#ASMEND
	;;#ASMSTART
	v_dot2_f32_f16 v86, v94, v106, v86
	;;#ASMEND
	;;#ASMSTART
	v_dot2_f32_f16 v86, v95, v107, v86
	;;#ASMEND
	;;#ASMSTART
	v_dot2_f32_f16 v86, v96, v108, v86
	;;#ASMEND
	s_wait_dscnt 0x5
	;;#ASMSTART
	v_dot2_f32_f16 v84, v93, v109, v84
	;;#ASMEND
	;;#ASMSTART
	v_dot2_f32_f16 v84, v94, v110, v84
	;;#ASMEND
	;;#ASMSTART
	v_dot2_f32_f16 v84, v95, v111, v84
	;;#ASMEND
	;;#ASMSTART
	v_dot2_f32_f16 v84, v96, v112, v84
	;;#ASMEND
	s_wait_dscnt 0x3
	;;#ASMSTART
	v_dot2_f32_f16 v82, v93, v117, v82
	;;#ASMEND
	;;#ASMSTART
	v_dot2_f32_f16 v82, v94, v118, v82
	;;#ASMEND
	;; [unrolled: 3-line block ×3, first 2 shown]
	v_mov_b32_e32 v80, 0
	;;#ASMSTART
	v_dot2_f32_f16 v82, v96, v120, v82
	;;#ASMEND
	s_wait_dscnt 0x2
	;;#ASMSTART
	v_dot2_f32_f16 v80, v93, v121, v80
	;;#ASMEND
	;;#ASMSTART
	v_dot2_f32_f16 v80, v94, v122, v80
	;;#ASMEND
	;; [unrolled: 3-line block ×4, first 2 shown]
	s_wait_dscnt 0x1
	;;#ASMSTART
	v_dot2_f32_f16 v79, v93, v125, v79
	;;#ASMEND
	;;#ASMSTART
	v_dot2_f32_f16 v79, v94, v126, v79
	;;#ASMEND
	;;#ASMSTART
	v_dot2_f32_f16 v79, v95, v127, v79
	;;#ASMEND
	v_mov_b32_e32 v78, 0
	;;#ASMSTART
	v_dot2_f32_f16 v79, v96, v128, v79
	;;#ASMEND
	s_wait_dscnt 0x0
	;;#ASMSTART
	v_dot2_f32_f16 v78, v93, v129, v78
	;;#ASMEND
	;;#ASMSTART
	v_dot2_f32_f16 v78, v94, v130, v78
	;;#ASMEND
	;; [unrolled: 3-line block ×3, first 2 shown]
	v_mov_b32_e32 v93, 0
	;;#ASMSTART
	v_dot2_f32_f16 v78, v96, v132, v78
	;;#ASMEND
	;;#ASMSTART
	v_dot2_f32_f16 v93, v113, v97, v93
	;;#ASMEND
	;; [unrolled: 3-line block ×9, first 2 shown]
	v_mov_b32_e32 v81, 0
	;;#ASMSTART
	v_dot2_f32_f16 v90, v113, v105, v90
	;;#ASMEND
	;;#ASMSTART
	v_dot2_f32_f16 v90, v114, v106, v90
	;;#ASMEND
	;; [unrolled: 3-line block ×24, first 2 shown]
	ds_load_b128 v[94:97], v49 offset:16
	ds_load_b128 v[98:101], v20 offset:16
	;; [unrolled: 1-line block ×10, first 2 shown]
	s_wait_dscnt 0x8
	;;#ASMSTART
	v_dot2_f32_f16 v92, v94, v98, v92
	;;#ASMEND
	;;#ASMSTART
	v_dot2_f32_f16 v92, v95, v99, v92
	;;#ASMEND
	;;#ASMSTART
	v_dot2_f32_f16 v92, v96, v100, v92
	;;#ASMEND
	;;#ASMSTART
	v_dot2_f32_f16 v92, v97, v101, v92
	;;#ASMEND
	s_wait_dscnt 0x7
	;;#ASMSTART
	v_dot2_f32_f16 v88, v94, v102, v88
	;;#ASMEND
	;;#ASMSTART
	v_dot2_f32_f16 v88, v95, v103, v88
	;;#ASMEND
	;;#ASMSTART
	v_dot2_f32_f16 v88, v96, v104, v88
	;;#ASMEND
	;;#ASMSTART
	v_dot2_f32_f16 v88, v97, v105, v88
	;;#ASMEND
	;; [unrolled: 13-line block ×8, first 2 shown]
	;;#ASMSTART
	v_dot2_f32_f16 v93, v114, v98, v93
	;;#ASMEND
	;;#ASMSTART
	v_dot2_f32_f16 v93, v115, v99, v93
	;;#ASMEND
	;; [unrolled: 3-line block ×32, first 2 shown]
	ds_load_b128 v[94:97], v49 offset:32
	ds_load_b128 v[98:101], v20 offset:32
	;; [unrolled: 1-line block ×10, first 2 shown]
	s_wait_dscnt 0x8
	;;#ASMSTART
	v_dot2_f32_f16 v92, v94, v98, v92
	;;#ASMEND
	;;#ASMSTART
	v_dot2_f32_f16 v92, v95, v99, v92
	;;#ASMEND
	;;#ASMSTART
	v_dot2_f32_f16 v92, v96, v100, v92
	;;#ASMEND
	;;#ASMSTART
	v_dot2_f32_f16 v92, v97, v101, v92
	;;#ASMEND
	s_wait_dscnt 0x7
	;;#ASMSTART
	v_dot2_f32_f16 v88, v94, v102, v88
	;;#ASMEND
	;;#ASMSTART
	v_dot2_f32_f16 v88, v95, v103, v88
	;;#ASMEND
	;;#ASMSTART
	v_dot2_f32_f16 v88, v96, v104, v88
	;;#ASMEND
	;;#ASMSTART
	v_dot2_f32_f16 v88, v97, v105, v88
	;;#ASMEND
	;; [unrolled: 13-line block ×8, first 2 shown]
	;;#ASMSTART
	v_dot2_f32_f16 v93, v114, v98, v93
	;;#ASMEND
	;;#ASMSTART
	v_dot2_f32_f16 v93, v115, v99, v93
	;;#ASMEND
	;; [unrolled: 3-line block ×32, first 2 shown]
	ds_load_b128 v[94:97], v49 offset:48
	ds_load_b128 v[98:101], v20 offset:48
	;; [unrolled: 1-line block ×10, first 2 shown]
	s_wait_dscnt 0x8
	;;#ASMSTART
	v_dot2_f32_f16 v92, v94, v98, v92
	;;#ASMEND
	;;#ASMSTART
	v_dot2_f32_f16 v92, v95, v99, v92
	;;#ASMEND
	;;#ASMSTART
	v_dot2_f32_f16 v92, v96, v100, v92
	;;#ASMEND
	;;#ASMSTART
	v_dot2_f32_f16 v92, v97, v101, v92
	;;#ASMEND
	s_wait_dscnt 0x7
	;;#ASMSTART
	v_dot2_f32_f16 v88, v94, v102, v88
	;;#ASMEND
	;;#ASMSTART
	v_dot2_f32_f16 v88, v95, v103, v88
	;;#ASMEND
	;;#ASMSTART
	v_dot2_f32_f16 v88, v96, v104, v88
	;;#ASMEND
	;;#ASMSTART
	v_dot2_f32_f16 v88, v97, v105, v88
	;;#ASMEND
	;; [unrolled: 13-line block ×8, first 2 shown]
	;;#ASMSTART
	v_dot2_f32_f16 v93, v114, v98, v93
	;;#ASMEND
	;;#ASMSTART
	v_dot2_f32_f16 v93, v115, v99, v93
	;;#ASMEND
	;; [unrolled: 3-line block ×32, first 2 shown]
	ds_load_b128 v[94:97], v49 offset:64
	ds_load_b128 v[98:101], v20 offset:64
	;; [unrolled: 1-line block ×10, first 2 shown]
	s_wait_dscnt 0x8
	;;#ASMSTART
	v_dot2_f32_f16 v92, v94, v98, v92
	;;#ASMEND
	;;#ASMSTART
	v_dot2_f32_f16 v92, v95, v99, v92
	;;#ASMEND
	;;#ASMSTART
	v_dot2_f32_f16 v92, v96, v100, v92
	;;#ASMEND
	;;#ASMSTART
	v_dot2_f32_f16 v92, v97, v101, v92
	;;#ASMEND
	s_wait_dscnt 0x7
	;;#ASMSTART
	v_dot2_f32_f16 v88, v94, v102, v88
	;;#ASMEND
	;;#ASMSTART
	v_dot2_f32_f16 v88, v95, v103, v88
	;;#ASMEND
	;;#ASMSTART
	v_dot2_f32_f16 v88, v96, v104, v88
	;;#ASMEND
	;;#ASMSTART
	v_dot2_f32_f16 v88, v97, v105, v88
	;;#ASMEND
	s_wait_dscnt 0x6
	;;#ASMSTART
	v_dot2_f32_f16 v86, v94, v106, v86
	;;#ASMEND
	;;#ASMSTART
	v_dot2_f32_f16 v86, v95, v107, v86
	;;#ASMEND
	;;#ASMSTART
	v_dot2_f32_f16 v86, v96, v108, v86
	;;#ASMEND
	;;#ASMSTART
	v_dot2_f32_f16 v86, v97, v109, v86
	;;#ASMEND
	s_wait_dscnt 0x5
	;;#ASMSTART
	v_dot2_f32_f16 v84, v94, v110, v84
	;;#ASMEND
	;;#ASMSTART
	v_dot2_f32_f16 v84, v95, v111, v84
	;;#ASMEND
	;;#ASMSTART
	v_dot2_f32_f16 v84, v96, v112, v84
	;;#ASMEND
	;;#ASMSTART
	v_dot2_f32_f16 v84, v97, v113, v84
	;;#ASMEND
	s_wait_dscnt 0x3
	;;#ASMSTART
	v_dot2_f32_f16 v82, v94, v118, v82
	;;#ASMEND
	;;#ASMSTART
	v_dot2_f32_f16 v82, v95, v119, v82
	;;#ASMEND
	;;#ASMSTART
	v_dot2_f32_f16 v82, v96, v120, v82
	;;#ASMEND
	;;#ASMSTART
	v_dot2_f32_f16 v82, v97, v121, v82
	;;#ASMEND
	s_wait_dscnt 0x2
	;;#ASMSTART
	v_dot2_f32_f16 v80, v94, v122, v80
	;;#ASMEND
	;;#ASMSTART
	v_dot2_f32_f16 v80, v95, v123, v80
	;;#ASMEND
	;;#ASMSTART
	v_dot2_f32_f16 v80, v96, v124, v80
	;;#ASMEND
	;;#ASMSTART
	v_dot2_f32_f16 v80, v97, v125, v80
	;;#ASMEND
	s_wait_dscnt 0x1
	;;#ASMSTART
	v_dot2_f32_f16 v79, v94, v126, v79
	;;#ASMEND
	;;#ASMSTART
	v_dot2_f32_f16 v79, v95, v127, v79
	;;#ASMEND
	;;#ASMSTART
	v_dot2_f32_f16 v79, v96, v128, v79
	;;#ASMEND
	;;#ASMSTART
	v_dot2_f32_f16 v79, v97, v129, v79
	;;#ASMEND
	s_wait_dscnt 0x0
	;;#ASMSTART
	v_dot2_f32_f16 v78, v94, v130, v78
	;;#ASMEND
	;;#ASMSTART
	v_dot2_f32_f16 v78, v95, v131, v78
	;;#ASMEND
	;;#ASMSTART
	v_dot2_f32_f16 v78, v96, v132, v78
	;;#ASMEND
	;;#ASMSTART
	v_dot2_f32_f16 v78, v97, v133, v78
	;;#ASMEND
	;;#ASMSTART
	v_dot2_f32_f16 v93, v114, v98, v93
	;;#ASMEND
	;;#ASMSTART
	v_dot2_f32_f16 v93, v115, v99, v93
	;;#ASMEND
	;; [unrolled: 3-line block ×32, first 2 shown]
	ds_load_b128 v[94:97], v49 offset:80
	ds_load_b128 v[98:101], v20 offset:80
	;; [unrolled: 1-line block ×10, first 2 shown]
	s_wait_dscnt 0x8
	;;#ASMSTART
	v_dot2_f32_f16 v92, v94, v98, v92
	;;#ASMEND
	;;#ASMSTART
	v_dot2_f32_f16 v92, v95, v99, v92
	;;#ASMEND
	;;#ASMSTART
	v_dot2_f32_f16 v92, v96, v100, v92
	;;#ASMEND
	;;#ASMSTART
	v_dot2_f32_f16 v92, v97, v101, v92
	;;#ASMEND
	s_wait_dscnt 0x7
	;;#ASMSTART
	v_dot2_f32_f16 v88, v94, v102, v88
	;;#ASMEND
	;;#ASMSTART
	v_dot2_f32_f16 v88, v95, v103, v88
	;;#ASMEND
	;;#ASMSTART
	v_dot2_f32_f16 v88, v96, v104, v88
	;;#ASMEND
	;;#ASMSTART
	v_dot2_f32_f16 v88, v97, v105, v88
	;;#ASMEND
	;; [unrolled: 13-line block ×8, first 2 shown]
	;;#ASMSTART
	v_dot2_f32_f16 v93, v114, v98, v93
	;;#ASMEND
	;;#ASMSTART
	v_dot2_f32_f16 v93, v115, v99, v93
	;;#ASMEND
	;; [unrolled: 3-line block ×32, first 2 shown]
	ds_load_b128 v[94:97], v49 offset:96
	ds_load_b128 v[98:101], v20 offset:96
	;; [unrolled: 1-line block ×10, first 2 shown]
	s_wait_dscnt 0x8
	;;#ASMSTART
	v_dot2_f32_f16 v92, v94, v98, v92
	;;#ASMEND
	;;#ASMSTART
	v_dot2_f32_f16 v92, v95, v99, v92
	;;#ASMEND
	;;#ASMSTART
	v_dot2_f32_f16 v92, v96, v100, v92
	;;#ASMEND
	;;#ASMSTART
	v_dot2_f32_f16 v92, v97, v101, v92
	;;#ASMEND
	s_wait_dscnt 0x7
	;;#ASMSTART
	v_dot2_f32_f16 v88, v94, v102, v88
	;;#ASMEND
	;;#ASMSTART
	v_dot2_f32_f16 v88, v95, v103, v88
	;;#ASMEND
	;;#ASMSTART
	v_dot2_f32_f16 v88, v96, v104, v88
	;;#ASMEND
	;;#ASMSTART
	v_dot2_f32_f16 v88, v97, v105, v88
	;;#ASMEND
	;; [unrolled: 13-line block ×8, first 2 shown]
	;;#ASMSTART
	v_dot2_f32_f16 v93, v114, v98, v93
	;;#ASMEND
	;;#ASMSTART
	v_dot2_f32_f16 v93, v115, v99, v93
	;;#ASMEND
	;; [unrolled: 3-line block ×32, first 2 shown]
	ds_load_b128 v[94:97], v49 offset:112
	ds_load_b128 v[98:101], v20 offset:112
	;; [unrolled: 1-line block ×10, first 2 shown]
	s_wait_dscnt 0x8
	;;#ASMSTART
	v_dot2_f32_f16 v92, v94, v98, v92
	;;#ASMEND
	;;#ASMSTART
	v_dot2_f32_f16 v92, v95, v99, v92
	;;#ASMEND
	;;#ASMSTART
	v_dot2_f32_f16 v92, v96, v100, v92
	;;#ASMEND
	;;#ASMSTART
	v_dot2_f32_f16 v92, v97, v101, v92
	;;#ASMEND
	s_wait_dscnt 0x7
	;;#ASMSTART
	v_dot2_f32_f16 v88, v94, v102, v88
	;;#ASMEND
	;;#ASMSTART
	v_dot2_f32_f16 v88, v95, v103, v88
	;;#ASMEND
	;;#ASMSTART
	v_dot2_f32_f16 v88, v96, v104, v88
	;;#ASMEND
	;;#ASMSTART
	v_dot2_f32_f16 v88, v97, v105, v88
	;;#ASMEND
	;; [unrolled: 13-line block ×8, first 2 shown]
	;;#ASMSTART
	v_dot2_f32_f16 v93, v114, v98, v93
	;;#ASMEND
	;;#ASMSTART
	v_dot2_f32_f16 v93, v115, v99, v93
	;;#ASMEND
	;; [unrolled: 3-line block ×32, first 2 shown]
	s_wait_loadcnt 0x0
	s_barrier_signal -1
	s_barrier_wait -1
	global_inv scope:SCOPE_SE
	s_clause 0x1
	global_load_b128 v[94:97], v[8:9], off offset:128
	global_load_b128 v[8:11], v[10:11], off offset:128
	s_wait_loadcnt 0x1
	ds_store_b128 v47, v[94:97]
	s_wait_loadcnt 0x0
	ds_store_b128 v48, v[8:11]
	s_wait_dscnt 0x0
	s_barrier_signal -1
	s_barrier_wait -1
	global_inv scope:SCOPE_SE
	ds_load_b128 v[8:11], v49
	ds_load_b128 v[94:97], v20 offset:128
	ds_load_b128 v[98:101], v20 offset:384
	;; [unrolled: 1-line block ×9, first 2 shown]
	s_wait_dscnt 0x8
	;;#ASMSTART
	v_dot2_f32_f16 v92, v8, v94, v92
	;;#ASMEND
	;;#ASMSTART
	v_dot2_f32_f16 v92, v9, v95, v92
	;;#ASMEND
	;;#ASMSTART
	v_dot2_f32_f16 v92, v10, v96, v92
	;;#ASMEND
	;;#ASMSTART
	v_dot2_f32_f16 v92, v11, v97, v92
	;;#ASMEND
	s_wait_dscnt 0x7
	;;#ASMSTART
	v_dot2_f32_f16 v88, v8, v98, v88
	;;#ASMEND
	;;#ASMSTART
	v_dot2_f32_f16 v88, v9, v99, v88
	;;#ASMEND
	;;#ASMSTART
	v_dot2_f32_f16 v88, v10, v100, v88
	;;#ASMEND
	;;#ASMSTART
	v_dot2_f32_f16 v88, v11, v101, v88
	;;#ASMEND
	;; [unrolled: 13-line block ×8, first 2 shown]
	;;#ASMSTART
	v_dot2_f32_f16 v93, v110, v94, v93
	;;#ASMEND
	;;#ASMSTART
	v_dot2_f32_f16 v93, v111, v95, v93
	;;#ASMEND
	;; [unrolled: 3-line block ×32, first 2 shown]
	ds_load_b128 v[8:11], v49 offset:16
	ds_load_b128 v[94:97], v20 offset:144
	;; [unrolled: 1-line block ×10, first 2 shown]
	s_wait_dscnt 0x8
	;;#ASMSTART
	v_dot2_f32_f16 v92, v8, v94, v92
	;;#ASMEND
	;;#ASMSTART
	v_dot2_f32_f16 v92, v9, v95, v92
	;;#ASMEND
	;;#ASMSTART
	v_dot2_f32_f16 v92, v10, v96, v92
	;;#ASMEND
	;;#ASMSTART
	v_dot2_f32_f16 v92, v11, v97, v92
	;;#ASMEND
	s_wait_dscnt 0x7
	;;#ASMSTART
	v_dot2_f32_f16 v88, v8, v98, v88
	;;#ASMEND
	;;#ASMSTART
	v_dot2_f32_f16 v88, v9, v99, v88
	;;#ASMEND
	;;#ASMSTART
	v_dot2_f32_f16 v88, v10, v100, v88
	;;#ASMEND
	;;#ASMSTART
	v_dot2_f32_f16 v88, v11, v101, v88
	;;#ASMEND
	s_wait_dscnt 0x6
	;;#ASMSTART
	v_dot2_f32_f16 v86, v8, v102, v86
	;;#ASMEND
	;;#ASMSTART
	v_dot2_f32_f16 v86, v9, v103, v86
	;;#ASMEND
	;;#ASMSTART
	v_dot2_f32_f16 v86, v10, v104, v86
	;;#ASMEND
	;;#ASMSTART
	v_dot2_f32_f16 v86, v11, v105, v86
	;;#ASMEND
	s_wait_dscnt 0x5
	;;#ASMSTART
	v_dot2_f32_f16 v84, v8, v106, v84
	;;#ASMEND
	;;#ASMSTART
	v_dot2_f32_f16 v84, v9, v107, v84
	;;#ASMEND
	;;#ASMSTART
	v_dot2_f32_f16 v84, v10, v108, v84
	;;#ASMEND
	;;#ASMSTART
	v_dot2_f32_f16 v84, v11, v109, v84
	;;#ASMEND
	s_wait_dscnt 0x3
	;;#ASMSTART
	v_dot2_f32_f16 v82, v8, v114, v82
	;;#ASMEND
	;;#ASMSTART
	v_dot2_f32_f16 v82, v9, v115, v82
	;;#ASMEND
	;;#ASMSTART
	v_dot2_f32_f16 v82, v10, v116, v82
	;;#ASMEND
	;;#ASMSTART
	v_dot2_f32_f16 v82, v11, v117, v82
	;;#ASMEND
	s_wait_dscnt 0x2
	;;#ASMSTART
	v_dot2_f32_f16 v80, v8, v118, v80
	;;#ASMEND
	;;#ASMSTART
	v_dot2_f32_f16 v80, v9, v119, v80
	;;#ASMEND
	;;#ASMSTART
	v_dot2_f32_f16 v80, v10, v120, v80
	;;#ASMEND
	;;#ASMSTART
	v_dot2_f32_f16 v80, v11, v121, v80
	;;#ASMEND
	s_wait_dscnt 0x1
	;;#ASMSTART
	v_dot2_f32_f16 v79, v8, v122, v79
	;;#ASMEND
	;;#ASMSTART
	v_dot2_f32_f16 v79, v9, v123, v79
	;;#ASMEND
	;;#ASMSTART
	v_dot2_f32_f16 v79, v10, v124, v79
	;;#ASMEND
	;;#ASMSTART
	v_dot2_f32_f16 v79, v11, v125, v79
	;;#ASMEND
	s_wait_dscnt 0x0
	;;#ASMSTART
	v_dot2_f32_f16 v78, v8, v126, v78
	;;#ASMEND
	;;#ASMSTART
	v_dot2_f32_f16 v78, v9, v127, v78
	;;#ASMEND
	;;#ASMSTART
	v_dot2_f32_f16 v78, v10, v128, v78
	;;#ASMEND
	;;#ASMSTART
	v_dot2_f32_f16 v78, v11, v129, v78
	;;#ASMEND
	;;#ASMSTART
	v_dot2_f32_f16 v93, v110, v94, v93
	;;#ASMEND
	;;#ASMSTART
	v_dot2_f32_f16 v93, v111, v95, v93
	;;#ASMEND
	;;#ASMSTART
	v_dot2_f32_f16 v93, v112, v96, v93
	;;#ASMEND
	;;#ASMSTART
	v_dot2_f32_f16 v93, v113, v97, v93
	;;#ASMEND
	;;#ASMSTART
	v_dot2_f32_f16 v91, v110, v98, v91
	;;#ASMEND
	;;#ASMSTART
	v_dot2_f32_f16 v91, v111, v99, v91
	;;#ASMEND
	;;#ASMSTART
	v_dot2_f32_f16 v91, v112, v100, v91
	;;#ASMEND
	;;#ASMSTART
	v_dot2_f32_f16 v91, v113, v101, v91
	;;#ASMEND
	;;#ASMSTART
	v_dot2_f32_f16 v90, v110, v102, v90
	;;#ASMEND
	;;#ASMSTART
	v_dot2_f32_f16 v90, v111, v103, v90
	;;#ASMEND
	;;#ASMSTART
	v_dot2_f32_f16 v90, v112, v104, v90
	;;#ASMEND
	;;#ASMSTART
	v_dot2_f32_f16 v90, v113, v105, v90
	;;#ASMEND
	;;#ASMSTART
	v_dot2_f32_f16 v89, v110, v106, v89
	;;#ASMEND
	;;#ASMSTART
	v_dot2_f32_f16 v89, v111, v107, v89
	;;#ASMEND
	;;#ASMSTART
	v_dot2_f32_f16 v89, v112, v108, v89
	;;#ASMEND
	;;#ASMSTART
	v_dot2_f32_f16 v89, v113, v109, v89
	;;#ASMEND
	;;#ASMSTART
	v_dot2_f32_f16 v87, v110, v114, v87
	;;#ASMEND
	;;#ASMSTART
	v_dot2_f32_f16 v87, v111, v115, v87
	;;#ASMEND
	;;#ASMSTART
	v_dot2_f32_f16 v87, v112, v116, v87
	;;#ASMEND
	;;#ASMSTART
	v_dot2_f32_f16 v87, v113, v117, v87
	;;#ASMEND
	;;#ASMSTART
	v_dot2_f32_f16 v85, v110, v118, v85
	;;#ASMEND
	;;#ASMSTART
	v_dot2_f32_f16 v85, v111, v119, v85
	;;#ASMEND
	;;#ASMSTART
	v_dot2_f32_f16 v85, v112, v120, v85
	;;#ASMEND
	;;#ASMSTART
	v_dot2_f32_f16 v85, v113, v121, v85
	;;#ASMEND
	;;#ASMSTART
	v_dot2_f32_f16 v83, v110, v122, v83
	;;#ASMEND
	;;#ASMSTART
	v_dot2_f32_f16 v83, v111, v123, v83
	;;#ASMEND
	;;#ASMSTART
	v_dot2_f32_f16 v83, v112, v124, v83
	;;#ASMEND
	;;#ASMSTART
	v_dot2_f32_f16 v83, v113, v125, v83
	;;#ASMEND
	;;#ASMSTART
	v_dot2_f32_f16 v81, v110, v126, v81
	;;#ASMEND
	;;#ASMSTART
	v_dot2_f32_f16 v81, v111, v127, v81
	;;#ASMEND
	;;#ASMSTART
	v_dot2_f32_f16 v81, v112, v128, v81
	;;#ASMEND
	;;#ASMSTART
	v_dot2_f32_f16 v81, v113, v129, v81
	;;#ASMEND
	ds_load_b128 v[8:11], v49 offset:32
	ds_load_b128 v[94:97], v20 offset:160
	;; [unrolled: 1-line block ×10, first 2 shown]
	s_wait_dscnt 0x8
	;;#ASMSTART
	v_dot2_f32_f16 v92, v8, v94, v92
	;;#ASMEND
	;;#ASMSTART
	v_dot2_f32_f16 v92, v9, v95, v92
	;;#ASMEND
	;;#ASMSTART
	v_dot2_f32_f16 v92, v10, v96, v92
	;;#ASMEND
	;;#ASMSTART
	v_dot2_f32_f16 v92, v11, v97, v92
	;;#ASMEND
	s_wait_dscnt 0x7
	;;#ASMSTART
	v_dot2_f32_f16 v88, v8, v98, v88
	;;#ASMEND
	;;#ASMSTART
	v_dot2_f32_f16 v88, v9, v99, v88
	;;#ASMEND
	;;#ASMSTART
	v_dot2_f32_f16 v88, v10, v100, v88
	;;#ASMEND
	;;#ASMSTART
	v_dot2_f32_f16 v88, v11, v101, v88
	;;#ASMEND
	;; [unrolled: 13-line block ×8, first 2 shown]
	;;#ASMSTART
	v_dot2_f32_f16 v93, v110, v94, v93
	;;#ASMEND
	;;#ASMSTART
	v_dot2_f32_f16 v93, v111, v95, v93
	;;#ASMEND
	;; [unrolled: 3-line block ×32, first 2 shown]
	ds_load_b128 v[8:11], v49 offset:48
	ds_load_b128 v[94:97], v20 offset:176
	;; [unrolled: 1-line block ×10, first 2 shown]
	s_wait_dscnt 0x8
	;;#ASMSTART
	v_dot2_f32_f16 v92, v8, v94, v92
	;;#ASMEND
	;;#ASMSTART
	v_dot2_f32_f16 v92, v9, v95, v92
	;;#ASMEND
	;;#ASMSTART
	v_dot2_f32_f16 v92, v10, v96, v92
	;;#ASMEND
	;;#ASMSTART
	v_dot2_f32_f16 v92, v11, v97, v92
	;;#ASMEND
	s_wait_dscnt 0x7
	;;#ASMSTART
	v_dot2_f32_f16 v88, v8, v98, v88
	;;#ASMEND
	;;#ASMSTART
	v_dot2_f32_f16 v88, v9, v99, v88
	;;#ASMEND
	;;#ASMSTART
	v_dot2_f32_f16 v88, v10, v100, v88
	;;#ASMEND
	;;#ASMSTART
	v_dot2_f32_f16 v88, v11, v101, v88
	;;#ASMEND
	s_wait_dscnt 0x6
	;;#ASMSTART
	v_dot2_f32_f16 v86, v8, v102, v86
	;;#ASMEND
	;;#ASMSTART
	v_dot2_f32_f16 v86, v9, v103, v86
	;;#ASMEND
	;;#ASMSTART
	v_dot2_f32_f16 v86, v10, v104, v86
	;;#ASMEND
	;;#ASMSTART
	v_dot2_f32_f16 v86, v11, v105, v86
	;;#ASMEND
	s_wait_dscnt 0x5
	;;#ASMSTART
	v_dot2_f32_f16 v84, v8, v106, v84
	;;#ASMEND
	;;#ASMSTART
	v_dot2_f32_f16 v84, v9, v107, v84
	;;#ASMEND
	;;#ASMSTART
	v_dot2_f32_f16 v84, v10, v108, v84
	;;#ASMEND
	;;#ASMSTART
	v_dot2_f32_f16 v84, v11, v109, v84
	;;#ASMEND
	s_wait_dscnt 0x3
	;;#ASMSTART
	v_dot2_f32_f16 v82, v8, v114, v82
	;;#ASMEND
	;;#ASMSTART
	v_dot2_f32_f16 v82, v9, v115, v82
	;;#ASMEND
	;;#ASMSTART
	v_dot2_f32_f16 v82, v10, v116, v82
	;;#ASMEND
	;;#ASMSTART
	v_dot2_f32_f16 v82, v11, v117, v82
	;;#ASMEND
	s_wait_dscnt 0x2
	;;#ASMSTART
	v_dot2_f32_f16 v80, v8, v118, v80
	;;#ASMEND
	;;#ASMSTART
	v_dot2_f32_f16 v80, v9, v119, v80
	;;#ASMEND
	;;#ASMSTART
	v_dot2_f32_f16 v80, v10, v120, v80
	;;#ASMEND
	;;#ASMSTART
	v_dot2_f32_f16 v80, v11, v121, v80
	;;#ASMEND
	s_wait_dscnt 0x1
	;;#ASMSTART
	v_dot2_f32_f16 v79, v8, v122, v79
	;;#ASMEND
	;;#ASMSTART
	v_dot2_f32_f16 v79, v9, v123, v79
	;;#ASMEND
	;;#ASMSTART
	v_dot2_f32_f16 v79, v10, v124, v79
	;;#ASMEND
	;;#ASMSTART
	v_dot2_f32_f16 v79, v11, v125, v79
	;;#ASMEND
	s_wait_dscnt 0x0
	;;#ASMSTART
	v_dot2_f32_f16 v78, v8, v126, v78
	;;#ASMEND
	;;#ASMSTART
	v_dot2_f32_f16 v78, v9, v127, v78
	;;#ASMEND
	;;#ASMSTART
	v_dot2_f32_f16 v78, v10, v128, v78
	;;#ASMEND
	;;#ASMSTART
	v_dot2_f32_f16 v78, v11, v129, v78
	;;#ASMEND
	;;#ASMSTART
	v_dot2_f32_f16 v93, v110, v94, v93
	;;#ASMEND
	;;#ASMSTART
	v_dot2_f32_f16 v93, v111, v95, v93
	;;#ASMEND
	;; [unrolled: 3-line block ×32, first 2 shown]
	ds_load_b128 v[8:11], v49 offset:64
	ds_load_b128 v[94:97], v20 offset:192
	;; [unrolled: 1-line block ×10, first 2 shown]
	s_wait_dscnt 0x8
	;;#ASMSTART
	v_dot2_f32_f16 v92, v8, v94, v92
	;;#ASMEND
	;;#ASMSTART
	v_dot2_f32_f16 v92, v9, v95, v92
	;;#ASMEND
	;;#ASMSTART
	v_dot2_f32_f16 v92, v10, v96, v92
	;;#ASMEND
	;;#ASMSTART
	v_dot2_f32_f16 v92, v11, v97, v92
	;;#ASMEND
	s_wait_dscnt 0x7
	;;#ASMSTART
	v_dot2_f32_f16 v88, v8, v98, v88
	;;#ASMEND
	;;#ASMSTART
	v_dot2_f32_f16 v88, v9, v99, v88
	;;#ASMEND
	;;#ASMSTART
	v_dot2_f32_f16 v88, v10, v100, v88
	;;#ASMEND
	;;#ASMSTART
	v_dot2_f32_f16 v88, v11, v101, v88
	;;#ASMEND
	;; [unrolled: 13-line block ×8, first 2 shown]
	;;#ASMSTART
	v_dot2_f32_f16 v93, v110, v94, v93
	;;#ASMEND
	;;#ASMSTART
	v_dot2_f32_f16 v93, v111, v95, v93
	;;#ASMEND
	;; [unrolled: 3-line block ×32, first 2 shown]
	ds_load_b128 v[8:11], v49 offset:80
	ds_load_b128 v[94:97], v20 offset:208
	;; [unrolled: 1-line block ×10, first 2 shown]
	s_wait_dscnt 0x8
	;;#ASMSTART
	v_dot2_f32_f16 v92, v8, v94, v92
	;;#ASMEND
	;;#ASMSTART
	v_dot2_f32_f16 v92, v9, v95, v92
	;;#ASMEND
	;;#ASMSTART
	v_dot2_f32_f16 v92, v10, v96, v92
	;;#ASMEND
	;;#ASMSTART
	v_dot2_f32_f16 v92, v11, v97, v92
	;;#ASMEND
	s_wait_dscnt 0x7
	;;#ASMSTART
	v_dot2_f32_f16 v88, v8, v98, v88
	;;#ASMEND
	;;#ASMSTART
	v_dot2_f32_f16 v88, v9, v99, v88
	;;#ASMEND
	;;#ASMSTART
	v_dot2_f32_f16 v88, v10, v100, v88
	;;#ASMEND
	;;#ASMSTART
	v_dot2_f32_f16 v88, v11, v101, v88
	;;#ASMEND
	;; [unrolled: 13-line block ×8, first 2 shown]
	;;#ASMSTART
	v_dot2_f32_f16 v93, v110, v94, v93
	;;#ASMEND
	;;#ASMSTART
	v_dot2_f32_f16 v93, v111, v95, v93
	;;#ASMEND
	;; [unrolled: 3-line block ×32, first 2 shown]
	ds_load_b128 v[8:11], v49 offset:96
	ds_load_b128 v[94:97], v20 offset:224
	ds_load_b128 v[98:101], v20 offset:480
	ds_load_b128 v[102:105], v20 offset:736
	ds_load_b128 v[106:109], v20 offset:992
	ds_load_b128 v[110:113], v49 offset:4704
	ds_load_b128 v[114:117], v20 offset:1248
	ds_load_b128 v[118:121], v20 offset:1504
	ds_load_b128 v[122:125], v20 offset:1760
	ds_load_b128 v[126:129], v20 offset:2016
	s_wait_dscnt 0x8
	;;#ASMSTART
	v_dot2_f32_f16 v92, v8, v94, v92
	;;#ASMEND
	;;#ASMSTART
	v_dot2_f32_f16 v92, v9, v95, v92
	;;#ASMEND
	;;#ASMSTART
	v_dot2_f32_f16 v92, v10, v96, v92
	;;#ASMEND
	;;#ASMSTART
	v_dot2_f32_f16 v92, v11, v97, v92
	;;#ASMEND
	s_wait_dscnt 0x7
	;;#ASMSTART
	v_dot2_f32_f16 v88, v8, v98, v88
	;;#ASMEND
	;;#ASMSTART
	v_dot2_f32_f16 v88, v9, v99, v88
	;;#ASMEND
	;;#ASMSTART
	v_dot2_f32_f16 v88, v10, v100, v88
	;;#ASMEND
	;;#ASMSTART
	v_dot2_f32_f16 v88, v11, v101, v88
	;;#ASMEND
	;; [unrolled: 13-line block ×8, first 2 shown]
	;;#ASMSTART
	v_dot2_f32_f16 v93, v110, v94, v93
	;;#ASMEND
	;;#ASMSTART
	v_dot2_f32_f16 v93, v111, v95, v93
	;;#ASMEND
	;; [unrolled: 3-line block ×32, first 2 shown]
	ds_load_b128 v[8:11], v49 offset:112
	ds_load_b128 v[94:97], v20 offset:240
	;; [unrolled: 1-line block ×10, first 2 shown]
	s_wait_dscnt 0x8
	;;#ASMSTART
	v_dot2_f32_f16 v92, v8, v94, v92
	;;#ASMEND
	;;#ASMSTART
	v_dot2_f32_f16 v92, v9, v95, v92
	;;#ASMEND
	;;#ASMSTART
	v_dot2_f32_f16 v92, v10, v96, v92
	;;#ASMEND
	;;#ASMSTART
	v_dot2_f32_f16 v92, v11, v97, v92
	;;#ASMEND
	s_wait_dscnt 0x7
	;;#ASMSTART
	v_dot2_f32_f16 v88, v8, v98, v88
	;;#ASMEND
	;;#ASMSTART
	v_dot2_f32_f16 v88, v9, v99, v88
	;;#ASMEND
	;;#ASMSTART
	v_dot2_f32_f16 v88, v10, v100, v88
	;;#ASMEND
	;;#ASMSTART
	v_dot2_f32_f16 v88, v11, v101, v88
	;;#ASMEND
	;; [unrolled: 13-line block ×7, first 2 shown]
	s_wait_dscnt 0x0
	;;#ASMSTART
	v_dot2_f32_f16 v78, v8, v126, v78
	;;#ASMEND
	;;#ASMSTART
	v_dot2_f32_f16 v78, v9, v127, v78
	;;#ASMEND
	;;#ASMSTART
	v_dot2_f32_f16 v78, v10, v128, v78
	;;#ASMEND
	v_add_nc_u32_e32 v10, s22, v35
	;;#ASMSTART
	v_dot2_f32_f16 v78, v11, v129, v78
	;;#ASMEND
	;;#ASMSTART
	v_dot2_f32_f16 v93, v110, v94, v93
	;;#ASMEND
	;; [unrolled: 3-line block ×4, first 2 shown]
	v_add_nc_u32_e32 v8, v10, v50
	;;#ASMSTART
	v_dot2_f32_f16 v93, v113, v97, v93
	;;#ASMEND
	;;#ASMSTART
	v_dot2_f32_f16 v91, v110, v98, v91
	;;#ASMEND
	;; [unrolled: 3-line block ×6, first 2 shown]
	v_ashrrev_i32_e32 v9, 31, v8
	;;#ASMSTART
	v_dot2_f32_f16 v90, v111, v103, v90
	;;#ASMEND
	;;#ASMSTART
	v_dot2_f32_f16 v90, v112, v104, v90
	;;#ASMEND
	v_dual_mov_b32 v95, v1 :: v_dual_add_nc_u32 v10, v10, v51
	;;#ASMSTART
	v_dot2_f32_f16 v90, v113, v105, v90
	;;#ASMEND
	;;#ASMSTART
	v_dot2_f32_f16 v89, v110, v106, v89
	;;#ASMEND
	;; [unrolled: 3-line block ×4, first 2 shown]
	v_lshlrev_b64_e32 v[8:9], 1, v[8:9]
	;;#ASMSTART
	v_dot2_f32_f16 v89, v113, v109, v89
	;;#ASMEND
	;;#ASMSTART
	v_dot2_f32_f16 v87, v110, v114, v87
	;;#ASMEND
	;; [unrolled: 3-line block ×3, first 2 shown]
	v_ashrrev_i32_e32 v11, 31, v10
	;;#ASMSTART
	v_dot2_f32_f16 v87, v112, v116, v87
	;;#ASMEND
	;;#ASMSTART
	v_dot2_f32_f16 v87, v113, v117, v87
	;;#ASMEND
	;; [unrolled: 3-line block ×5, first 2 shown]
	v_add_co_u32 v8, vcc_lo, s40, v8
	;;#ASMSTART
	v_dot2_f32_f16 v85, v113, v121, v85
	;;#ASMEND
	;;#ASMSTART
	v_dot2_f32_f16 v83, v110, v122, v83
	;;#ASMEND
	v_lshlrev_b64_e32 v[10:11], 1, v[10:11]
	;;#ASMSTART
	v_dot2_f32_f16 v83, v111, v123, v83
	;;#ASMEND
	s_wait_alu 0xfffd
	v_add_co_ci_u32_e64 v9, null, s41, v9, vcc_lo
	;;#ASMSTART
	v_dot2_f32_f16 v83, v112, v124, v83
	;;#ASMEND
	;;#ASMSTART
	v_dot2_f32_f16 v83, v113, v125, v83
	;;#ASMEND
	;; [unrolled: 3-line block ×6, first 2 shown]
	v_add_co_u32 v98, vcc_lo, s40, v10
	s_clause 0x1
	global_load_u16 v10, v[8:9], off
	global_load_u16 v8, v[8:9], off offset:64
	s_wait_alu 0xfffd
	v_add_co_ci_u32_e64 v99, null, s41, v11, vcc_lo
	v_mov_b32_e32 v94, v0
	v_cmp_gt_i32_e32 vcc_lo, 32, v39
	v_dual_mov_b32 v96, v2 :: v_dual_mov_b32 v101, v7
	s_wait_loadcnt 0x1
	v_cvt_f32_f16_e32 v97, v10
	s_wait_loadcnt 0x0
	v_cvt_f32_f16_e32 v100, v8
	s_delay_alu instid0(VALU_DEP_1) | instskip(SKIP_3) | instid1(VALU_DEP_4)
	v_dual_add_f32 v9, v92, v97 :: v_dual_add_f32 v8, v93, v100
	v_add_f32_e32 v105, v88, v97
	v_add_f32_e32 v86, v86, v97
	;; [unrolled: 1-line block ×4, first 2 shown]
	s_delay_alu instid0(VALU_DEP_4) | instskip(SKIP_1) | instid1(VALU_DEP_4)
	v_dual_add_f32 v10, 0x40051340, v8 :: v_dual_add_f32 v1, 0x40051340, v105
	v_mov_b32_e32 v97, v3
	v_dual_add_f32 v3, 0x40051340, v84 :: v_dual_add_f32 v2, 0x40051340, v86
	s_delay_alu instid0(VALU_DEP_3) | instskip(SKIP_3) | instid1(VALU_DEP_2)
	v_max3_num_f32 v0, v94, v0, v10
	s_wait_alu 0xfffd
	v_cndmask_b32_e32 v10, v36, v39, vcc_lo
	v_cmp_gt_i32_e32 vcc_lo, 32, v37
	v_lshlrev_b32_e32 v92, 2, v10
	ds_bpermute_b32 v10, v92, v0
	s_wait_dscnt 0x0
	v_max_num_f32_e32 v10, v10, v10
	s_delay_alu instid0(VALU_DEP_1) | instskip(SKIP_3) | instid1(VALU_DEP_2)
	v_max_num_f32_e32 v0, v0, v10
	s_wait_alu 0xfffd
	v_cndmask_b32_e32 v10, v36, v37, vcc_lo
	v_cmp_gt_i32_e32 vcc_lo, 32, v23
	v_lshlrev_b32_e32 v93, 2, v10
	ds_bpermute_b32 v10, v93, v0
	s_wait_dscnt 0x0
	v_max_num_f32_e32 v10, v10, v10
	s_delay_alu instid0(VALU_DEP_1) | instskip(SKIP_3) | instid1(VALU_DEP_2)
	v_max_num_f32_e32 v0, v0, v10
	;; [unrolled: 9-line block ×3, first 2 shown]
	s_wait_alu 0xfffd
	v_cndmask_b32_e32 v10, v36, v22, vcc_lo
	v_cmp_gt_i32_e32 vcc_lo, 32, v21
	v_lshlrev_b32_e32 v103, 2, v10
	ds_bpermute_b32 v10, v103, v0
	s_wait_dscnt 0x0
	v_max_num_f32_e32 v10, v10, v10
	s_delay_alu instid0(VALU_DEP_1) | instskip(SKIP_2) | instid1(VALU_DEP_1)
	v_max_num_f32_e32 v0, v0, v10
	s_wait_alu 0xfffd
	v_cndmask_b32_e32 v10, v36, v21, vcc_lo
	v_lshlrev_b32_e32 v104, 2, v10
	ds_bpermute_b32 v10, v104, v0
	s_wait_dscnt 0x0
	v_max_num_f32_e32 v10, v10, v10
	s_delay_alu instid0(VALU_DEP_1) | instskip(SKIP_1) | instid1(VALU_DEP_1)
	v_max_num_f32_e32 v0, v0, v10
	v_add_f32_e32 v10, v91, v100
	v_add_f32_e32 v11, 0x40051340, v10
	s_delay_alu instid0(VALU_DEP_1) | instskip(SKIP_3) | instid1(VALU_DEP_1)
	v_max3_num_f32 v1, v95, v1, v11
	ds_bpermute_b32 v11, v92, v1
	s_wait_dscnt 0x0
	v_max_num_f32_e32 v11, v11, v11
	v_max_num_f32_e32 v1, v1, v11
	ds_bpermute_b32 v11, v93, v1
	s_wait_dscnt 0x0
	v_max_num_f32_e32 v11, v11, v11
	s_delay_alu instid0(VALU_DEP_1) | instskip(SKIP_3) | instid1(VALU_DEP_1)
	v_max_num_f32_e32 v1, v1, v11
	ds_bpermute_b32 v11, v102, v1
	s_wait_dscnt 0x0
	v_max_num_f32_e32 v11, v11, v11
	v_max_num_f32_e32 v1, v1, v11
	ds_bpermute_b32 v11, v103, v1
	s_wait_dscnt 0x0
	v_max_num_f32_e32 v11, v11, v11
	s_delay_alu instid0(VALU_DEP_1) | instskip(SKIP_3) | instid1(VALU_DEP_1)
	v_max_num_f32_e32 v1, v1, v11
	ds_bpermute_b32 v11, v104, v1
	s_wait_dscnt 0x0
	v_max_num_f32_e32 v11, v11, v11
	v_max_num_f32_e32 v1, v1, v11
	v_add_f32_e32 v11, v90, v100
	v_add_f32_e32 v90, v89, v100
	v_mov_b32_e32 v100, v6
	s_delay_alu instid0(VALU_DEP_3) | instskip(NEXT) | instid1(VALU_DEP_1)
	v_add_f32_e32 v88, 0x40051340, v11
	v_max3_num_f32 v2, v96, v2, v88
	ds_bpermute_b32 v88, v92, v2
	s_wait_dscnt 0x0
	v_max_num_f32_e32 v88, v88, v88
	s_delay_alu instid0(VALU_DEP_1) | instskip(SKIP_3) | instid1(VALU_DEP_1)
	v_max_num_f32_e32 v2, v2, v88
	ds_bpermute_b32 v88, v93, v2
	s_wait_dscnt 0x0
	v_max_num_f32_e32 v88, v88, v88
	v_max_num_f32_e32 v2, v2, v88
	ds_bpermute_b32 v88, v102, v2
	s_wait_dscnt 0x0
	v_max_num_f32_e32 v88, v88, v88
	s_delay_alu instid0(VALU_DEP_1) | instskip(SKIP_3) | instid1(VALU_DEP_1)
	v_max_num_f32_e32 v2, v2, v88
	ds_bpermute_b32 v88, v103, v2
	s_wait_dscnt 0x0
	v_max_num_f32_e32 v88, v88, v88
	v_max_num_f32_e32 v2, v2, v88
	ds_bpermute_b32 v88, v104, v2
	s_wait_dscnt 0x0
	v_max_num_f32_e32 v88, v88, v88
	s_delay_alu instid0(VALU_DEP_1) | instskip(SKIP_1) | instid1(VALU_DEP_1)
	v_max_num_f32_e32 v2, v2, v88
	v_add_f32_e32 v88, 0x40051340, v90
	v_max3_num_f32 v3, v97, v3, v88
	ds_bpermute_b32 v88, v92, v3
	s_wait_dscnt 0x0
	v_max_num_f32_e32 v88, v88, v88
	s_delay_alu instid0(VALU_DEP_1) | instskip(SKIP_3) | instid1(VALU_DEP_1)
	v_max_num_f32_e32 v3, v3, v88
	ds_bpermute_b32 v88, v93, v3
	s_wait_dscnt 0x0
	v_max_num_f32_e32 v88, v88, v88
	v_max_num_f32_e32 v3, v3, v88
	ds_bpermute_b32 v88, v102, v3
	s_wait_dscnt 0x0
	v_max_num_f32_e32 v88, v88, v88
	s_delay_alu instid0(VALU_DEP_1) | instskip(SKIP_3) | instid1(VALU_DEP_1)
	v_max_num_f32_e32 v3, v3, v88
	ds_bpermute_b32 v88, v103, v3
	s_wait_dscnt 0x0
	v_max_num_f32_e32 v88, v88, v88
	v_max_num_f32_e32 v3, v3, v88
	ds_bpermute_b32 v88, v104, v3
	s_wait_dscnt 0x0
	v_max_num_f32_e32 v88, v88, v88
	s_delay_alu instid0(VALU_DEP_1)
	v_max_num_f32_e32 v3, v3, v88
	s_clause 0x1
	global_load_u16 v88, v[98:99], off
	global_load_u16 v89, v[98:99], off offset:64
	v_mov_b32_e32 v99, v5
	s_wait_loadcnt 0x0
	s_barrier_signal -1
	s_barrier_wait -1
	global_inv scope:SCOPE_SE
	v_sub_f32_e32 v8, v8, v0
	v_sub_f32_e32 v9, v9, v0
	v_sub_f32_e32 v94, v94, v0
	s_delay_alu instid0(VALU_DEP_1) | instskip(NEXT) | instid1(VALU_DEP_1)
	v_mul_f32_e32 v114, 0x3fb8aa3b, v94
	v_fma_f32 v115, 0x3fb8aa3b, v94, -v114
	s_delay_alu instid0(VALU_DEP_1) | instskip(SKIP_2) | instid1(VALU_DEP_2)
	v_fmac_f32_e32 v115, 0x32a5705f, v94
	v_cvt_f32_f16_e32 v88, v88
	v_cvt_f32_f16_e32 v89, v89
	v_dual_mov_b32 v98, v4 :: v_dual_add_f32 v79, v79, v88
	s_delay_alu instid0(VALU_DEP_2) | instskip(SKIP_1) | instid1(VALU_DEP_3)
	v_add_f32_e32 v107, v83, v89
	v_dual_add_f32 v91, v87, v89 :: v_dual_add_f32 v78, v78, v88
	v_add_f32_e32 v6, 0x40051340, v79
	s_delay_alu instid0(VALU_DEP_3) | instskip(NEXT) | instid1(VALU_DEP_3)
	v_add_f32_e32 v83, 0x40051340, v107
	v_add_f32_e32 v87, 0x40051340, v91
	s_delay_alu instid0(VALU_DEP_4) | instskip(NEXT) | instid1(VALU_DEP_3)
	v_add_f32_e32 v7, 0x40051340, v78
	v_max3_num_f32 v6, v100, v6, v83
	ds_bpermute_b32 v83, v92, v6
	s_wait_dscnt 0x0
	v_max_num_f32_e32 v83, v83, v83
	s_delay_alu instid0(VALU_DEP_1) | instskip(SKIP_4) | instid1(VALU_DEP_1)
	v_max_num_f32_e32 v6, v6, v83
	ds_bpermute_b32 v83, v93, v6
	s_wait_dscnt 0x0
	v_dual_add_f32 v82, v82, v88 :: v_dual_max_num_f32 v83, v83, v83
	v_add_f32_e32 v108, v81, v89
	v_dual_max_num_f32 v6, v6, v83 :: v_dual_add_f32 v81, 0x40051340, v108
	ds_bpermute_b32 v83, v102, v6
	v_add_f32_e32 v4, 0x40051340, v82
	v_max3_num_f32 v7, v101, v7, v81
	ds_bpermute_b32 v81, v92, v7
	s_wait_dscnt 0x1
	v_max_num_f32_e32 v83, v83, v83
	v_max3_num_f32 v4, v98, v4, v87
	ds_bpermute_b32 v87, v92, v4
	s_wait_dscnt 0x1
	v_max_num_f32_e32 v81, v81, v81
	s_delay_alu instid0(VALU_DEP_1) | instskip(SKIP_3) | instid1(VALU_DEP_1)
	v_max_num_f32_e32 v7, v7, v81
	ds_bpermute_b32 v81, v93, v7
	s_wait_dscnt 0x1
	v_max_num_f32_e32 v87, v87, v87
	v_max_num_f32_e32 v4, v4, v87
	ds_bpermute_b32 v87, v93, v4
	s_wait_dscnt 0x1
	v_max_num_f32_e32 v81, v81, v81
	s_delay_alu instid0(VALU_DEP_1) | instskip(SKIP_3) | instid1(VALU_DEP_1)
	v_max_num_f32_e32 v7, v7, v81
	ds_bpermute_b32 v81, v102, v7
	s_wait_dscnt 0x1
	v_max_num_f32_e32 v87, v87, v87
	v_max_num_f32_e32 v4, v4, v87
	ds_bpermute_b32 v87, v102, v4
	s_wait_dscnt 0x1
	v_max_num_f32_e32 v81, v81, v81
	s_delay_alu instid0(VALU_DEP_1) | instskip(SKIP_4) | instid1(VALU_DEP_1)
	v_max_num_f32_e32 v7, v7, v81
	ds_bpermute_b32 v81, v103, v7
	v_max_num_f32_e32 v6, v6, v83
	s_wait_dscnt 0x1
	v_max_num_f32_e32 v87, v87, v87
	v_max_num_f32_e32 v4, v4, v87
	ds_bpermute_b32 v87, v103, v4
	s_wait_dscnt 0x1
	v_max_num_f32_e32 v81, v81, v81
	ds_bpermute_b32 v83, v103, v6
	v_dual_add_f32 v80, v80, v88 :: v_dual_max_num_f32 v7, v7, v81
	ds_bpermute_b32 v81, v104, v7
	s_wait_dscnt 0x2
	v_max_num_f32_e32 v87, v87, v87
	s_wait_dscnt 0x1
	v_max_num_f32_e32 v83, v83, v83
	s_delay_alu instid0(VALU_DEP_2) | instskip(NEXT) | instid1(VALU_DEP_2)
	v_dual_add_f32 v5, 0x40051340, v80 :: v_dual_max_num_f32 v4, v4, v87
	v_max_num_f32_e32 v6, v6, v83
	ds_bpermute_b32 v87, v104, v4
	s_wait_dscnt 0x1
	v_max_num_f32_e32 v81, v81, v81
	ds_bpermute_b32 v83, v104, v6
	v_add_f32_e32 v106, v85, v89
	v_max_num_f32_e32 v7, v7, v81
	s_delay_alu instid0(VALU_DEP_1) | instskip(NEXT) | instid1(VALU_DEP_1)
	v_sub_f32_e32 v78, v78, v7
	v_cmp_ngt_f32_e64 s7, 0xc2ce8ed0, v78
	v_cmp_nlt_f32_e64 s8, 0x42b17218, v78
	s_wait_dscnt 0x1
	v_max_num_f32_e32 v87, v87, v87
	s_wait_dscnt 0x0
	v_max_num_f32_e32 v83, v83, v83
	s_delay_alu instid0(VALU_DEP_2) | instskip(NEXT) | instid1(VALU_DEP_2)
	v_dual_add_f32 v85, 0x40051340, v106 :: v_dual_max_num_f32 v4, v4, v87
	v_max_num_f32_e32 v6, v6, v83
	s_delay_alu instid0(VALU_DEP_2) | instskip(NEXT) | instid1(VALU_DEP_3)
	v_max3_num_f32 v5, v99, v5, v85
	v_sub_f32_e32 v81, v82, v4
	s_delay_alu instid0(VALU_DEP_3)
	v_sub_f32_e32 v79, v79, v6
	ds_bpermute_b32 v85, v92, v5
	v_cmp_ngt_f32_e32 vcc_lo, 0xc2ce8ed0, v81
	v_cmp_nlt_f32_e64 s2, 0x42b17218, v81
	v_cmp_ngt_f32_e64 s5, 0xc2ce8ed0, v79
	v_cmp_nlt_f32_e64 s6, 0x42b17218, v79
	s_wait_dscnt 0x0
	v_max_num_f32_e32 v85, v85, v85
	s_delay_alu instid0(VALU_DEP_1) | instskip(SKIP_3) | instid1(VALU_DEP_1)
	v_max_num_f32_e32 v5, v5, v85
	ds_bpermute_b32 v85, v93, v5
	s_wait_dscnt 0x0
	v_max_num_f32_e32 v85, v85, v85
	v_max_num_f32_e32 v5, v5, v85
	ds_bpermute_b32 v85, v102, v5
	s_wait_dscnt 0x0
	v_max_num_f32_e32 v85, v85, v85
	s_delay_alu instid0(VALU_DEP_1) | instskip(SKIP_3) | instid1(VALU_DEP_1)
	v_max_num_f32_e32 v5, v5, v85
	ds_bpermute_b32 v85, v103, v5
	s_wait_dscnt 0x0
	v_max_num_f32_e32 v85, v85, v85
	v_max_num_f32_e32 v5, v5, v85
	ds_bpermute_b32 v85, v104, v5
	s_wait_dscnt 0x0
	v_max_num_f32_e32 v85, v85, v85
	s_delay_alu instid0(VALU_DEP_1) | instskip(NEXT) | instid1(VALU_DEP_1)
	v_max_num_f32_e32 v5, v5, v85
	v_sub_f32_e32 v80, v80, v5
	v_mul_f32_e32 v82, 0x3fb8aa3b, v81
	s_delay_alu instid0(VALU_DEP_2) | instskip(NEXT) | instid1(VALU_DEP_2)
	v_cmp_ngt_f32_e64 s3, 0xc2ce8ed0, v80
	v_fma_f32 v83, 0x3fb8aa3b, v81, -v82
	v_cmp_nlt_f32_e64 s4, 0x42b17218, v80
	s_delay_alu instid0(VALU_DEP_2) | instskip(SKIP_1) | instid1(VALU_DEP_1)
	v_fmac_f32_e32 v83, 0x32a5705f, v81
	v_mul_f32_e32 v81, 0x3fb8aa3b, v80
	v_fma_f32 v85, 0x3fb8aa3b, v80, -v81
	s_delay_alu instid0(VALU_DEP_1) | instskip(SKIP_1) | instid1(VALU_DEP_1)
	v_fmac_f32_e32 v85, 0x32a5705f, v80
	v_mul_f32_e32 v80, 0x3fb8aa3b, v79
	v_fma_f32 v87, 0x3fb8aa3b, v79, -v80
	s_delay_alu instid0(VALU_DEP_1) | instskip(SKIP_1) | instid1(VALU_DEP_1)
	;; [unrolled: 4-line block ×3, first 2 shown]
	v_fmac_f32_e32 v88, 0x32a5705f, v78
	v_rndne_f32_e32 v78, v82
	v_sub_f32_e32 v82, v82, v78
	v_cvt_i32_f32_e32 v78, v78
	s_delay_alu instid0(VALU_DEP_2) | instskip(SKIP_1) | instid1(VALU_DEP_1)
	v_add_f32_e32 v82, v82, v83
	v_rndne_f32_e32 v83, v81
	v_sub_f32_e32 v81, v81, v83
	s_delay_alu instid0(VALU_DEP_1) | instskip(SKIP_2) | instid1(VALU_DEP_2)
	v_add_f32_e32 v81, v81, v85
	v_rndne_f32_e32 v85, v80
	v_exp_f32_e32 v82, v82
	v_exp_f32_e32 v81, v81
	s_delay_alu instid0(VALU_DEP_1) | instskip(NEXT) | instid1(VALU_DEP_1)
	v_sub_f32_e32 v80, v80, v85
	v_add_f32_e32 v80, v80, v87
	v_rndne_f32_e32 v87, v79
	s_delay_alu instid0(TRANS32_DEP_2) | instskip(SKIP_2) | instid1(VALU_DEP_2)
	v_ldexp_f32 v78, v82, v78
	v_cvt_i32_f32_e32 v82, v85
	s_wait_alu 0xfffd
	v_dual_sub_f32 v79, v79, v87 :: v_dual_cndmask_b32 v78, 0, v78
	s_delay_alu instid0(VALU_DEP_1) | instskip(SKIP_1) | instid1(VALU_DEP_1)
	v_add_f32_e32 v79, v79, v88
	v_exp_f32_e32 v80, v80
	v_exp_f32_e32 v79, v79
	s_delay_alu instid0(TRANS32_DEP_2)
	v_ldexp_f32 v80, v80, v82
	v_cvt_i32_f32_e32 v82, v87
	s_delay_alu instid0(TRANS32_DEP_1) | instid1(VALU_DEP_1)
	v_ldexp_f32 v79, v79, v82
	v_cvt_i32_f32_e32 v82, v83
	s_wait_alu 0xf1ff
	s_delay_alu instid0(VALU_DEP_2) | instskip(NEXT) | instid1(VALU_DEP_2)
	v_cndmask_b32_e64 v79, 0, v79, s7
	v_ldexp_f32 v81, v81, v82
	v_cndmask_b32_e64 v82, 0, v80, s5
	v_cndmask_b32_e64 v80, 0x7f800000, v78, s2
	s_delay_alu instid0(VALU_DEP_4) | instskip(NEXT) | instid1(VALU_DEP_4)
	v_cndmask_b32_e64 v79, 0x7f800000, v79, s8
	v_cndmask_b32_e64 v81, 0, v81, s3
	s_delay_alu instid0(VALU_DEP_4) | instskip(NEXT) | instid1(VALU_DEP_4)
	v_cndmask_b32_e64 v78, 0x7f800000, v82, s6
	v_cvt_f16_f32_e32 v82, v80
	s_delay_alu instid0(VALU_DEP_4) | instskip(NEXT) | instid1(VALU_DEP_4)
	v_cvt_f16_f32_e32 v85, v79
	v_cndmask_b32_e64 v81, 0x7f800000, v81, s4
	s_delay_alu instid0(VALU_DEP_4) | instskip(NEXT) | instid1(VALU_DEP_2)
	v_cvt_f16_f32_e32 v83, v78
	v_cvt_f16_f32_e32 v87, v81
	s_delay_alu instid0(VALU_DEP_2) | instskip(NEXT) | instid1(VALU_DEP_2)
	v_pack_b32_f16 v89, v83, v85
	v_pack_b32_f16 v88, v82, v87
	v_sub_f32_e32 v82, v86, v2
	s_delay_alu instid0(VALU_DEP_1) | instskip(SKIP_2) | instid1(VALU_DEP_3)
	v_mul_f32_e32 v83, 0x3fb8aa3b, v82
	v_cmp_ngt_f32_e32 vcc_lo, 0xc2ce8ed0, v82
	v_cmp_nlt_f32_e64 s2, 0x42b17218, v82
	v_fma_f32 v85, 0x3fb8aa3b, v82, -v83
	s_delay_alu instid0(VALU_DEP_1) | instskip(NEXT) | instid1(VALU_DEP_1)
	v_dual_fmac_f32 v85, 0x32a5705f, v82 :: v_dual_sub_f32 v82, v84, v3
	v_mul_f32_e32 v84, 0x3fb8aa3b, v82
	v_cmp_ngt_f32_e64 s3, 0xc2ce8ed0, v82
	v_cmp_nlt_f32_e64 s4, 0x42b17218, v82
	s_delay_alu instid0(VALU_DEP_3) | instskip(NEXT) | instid1(VALU_DEP_1)
	v_fma_f32 v86, 0x3fb8aa3b, v82, -v84
	v_fmac_f32_e32 v86, 0x32a5705f, v82
	v_rndne_f32_e32 v82, v83
	s_delay_alu instid0(VALU_DEP_1) | instskip(SKIP_1) | instid1(VALU_DEP_2)
	v_sub_f32_e32 v83, v83, v82
	v_cvt_i32_f32_e32 v82, v82
	v_add_f32_e32 v83, v83, v85
	v_rndne_f32_e32 v85, v84
	s_delay_alu instid0(VALU_DEP_2) | instskip(NEXT) | instid1(VALU_DEP_1)
	v_exp_f32_e32 v83, v83
	v_sub_f32_e32 v84, v84, v85
	s_delay_alu instid0(VALU_DEP_1) | instskip(NEXT) | instid1(TRANS32_DEP_1)
	v_add_f32_e32 v84, v84, v86
	v_ldexp_f32 v82, v83, v82
	s_delay_alu instid0(VALU_DEP_2) | instskip(SKIP_2) | instid1(VALU_DEP_2)
	v_exp_f32_e32 v84, v84
	v_cvt_i32_f32_e32 v83, v85
	s_wait_alu 0xfffd
	v_cndmask_b32_e32 v82, 0, v82, vcc_lo
	v_cmp_ngt_f32_e32 vcc_lo, 0xc2ce8ed0, v9
	s_delay_alu instid0(TRANS32_DEP_1) | instid1(VALU_DEP_3)
	v_ldexp_f32 v83, v84, v83
	s_wait_alu 0xf1ff
	s_delay_alu instid0(VALU_DEP_1) | instskip(SKIP_2) | instid1(VALU_DEP_3)
	v_cndmask_b32_e64 v84, 0, v83, s3
	v_cndmask_b32_e64 v83, 0x7f800000, v82, s2
	v_cmp_nlt_f32_e64 s2, 0x42b17218, v9
	v_cndmask_b32_e64 v82, 0x7f800000, v84, s4
	s_delay_alu instid0(VALU_DEP_3) | instskip(NEXT) | instid1(VALU_DEP_2)
	v_cvt_f16_f32_e32 v84, v83
	v_cvt_f16_f32_e32 v85, v82
	s_delay_alu instid0(VALU_DEP_1) | instskip(SKIP_1) | instid1(VALU_DEP_1)
	v_pack_b32_f16 v87, v84, v85
	v_mul_f32_e32 v84, 0x3fb8aa3b, v9
	v_fma_f32 v85, 0x3fb8aa3b, v9, -v84
	s_delay_alu instid0(VALU_DEP_1) | instskip(SKIP_1) | instid1(VALU_DEP_1)
	v_fmac_f32_e32 v85, 0x32a5705f, v9
	v_sub_f32_e32 v9, v105, v1
	v_mul_f32_e32 v86, 0x3fb8aa3b, v9
	v_cmp_ngt_f32_e64 s3, 0xc2ce8ed0, v9
	v_cmp_nlt_f32_e64 s4, 0x42b17218, v9
	s_delay_alu instid0(VALU_DEP_3) | instskip(NEXT) | instid1(VALU_DEP_1)
	v_fma_f32 v92, 0x3fb8aa3b, v9, -v86
	v_fmac_f32_e32 v92, 0x32a5705f, v9
	v_rndne_f32_e32 v9, v84
	s_delay_alu instid0(VALU_DEP_1) | instskip(SKIP_1) | instid1(VALU_DEP_2)
	v_sub_f32_e32 v84, v84, v9
	v_cvt_i32_f32_e32 v9, v9
	v_add_f32_e32 v84, v84, v85
	v_rndne_f32_e32 v85, v86
	s_delay_alu instid0(VALU_DEP_2) | instskip(NEXT) | instid1(VALU_DEP_1)
	v_exp_f32_e32 v84, v84
	v_sub_f32_e32 v86, v86, v85
	s_delay_alu instid0(VALU_DEP_1) | instskip(NEXT) | instid1(TRANS32_DEP_1)
	v_add_f32_e32 v86, v86, v92
	v_ldexp_f32 v9, v84, v9
	v_cvt_i32_f32_e32 v84, v85
	s_delay_alu instid0(VALU_DEP_3) | instskip(SKIP_1) | instid1(VALU_DEP_2)
	v_exp_f32_e32 v85, v86
	s_wait_alu 0xfffd
	v_cndmask_b32_e32 v9, 0, v9, vcc_lo
	s_delay_alu instid0(TRANS32_DEP_1) | instskip(SKIP_1) | instid1(VALU_DEP_2)
	v_ldexp_f32 v84, v85, v84
	s_wait_alu 0xf1ff
	v_cndmask_b32_e64 v85, 0x7f800000, v9, s2
	s_delay_alu instid0(VALU_DEP_2) | instskip(NEXT) | instid1(VALU_DEP_2)
	v_cndmask_b32_e64 v84, 0, v84, s3
	v_cvt_f16_f32_e32 v9, v85
	s_delay_alu instid0(VALU_DEP_2) | instskip(NEXT) | instid1(VALU_DEP_1)
	v_cndmask_b32_e64 v84, 0x7f800000, v84, s4
	v_cvt_f16_f32_e32 v86, v84
	s_delay_alu instid0(VALU_DEP_1)
	v_pack_b32_f16 v86, v9, v86
	v_sub_f32_e32 v9, v91, v4
	ds_store_b128 v57, v[86:89]
	v_mul_f32_e32 v86, 0x3fb8aa3b, v9
	v_cmp_ngt_f32_e32 vcc_lo, 0xc2ce8ed0, v9
	v_cmp_nlt_f32_e64 s2, 0x42b17218, v9
	s_delay_alu instid0(VALU_DEP_3) | instskip(NEXT) | instid1(VALU_DEP_1)
	v_fma_f32 v87, 0x3fb8aa3b, v9, -v86
	v_fmac_f32_e32 v87, 0x32a5705f, v9
	v_sub_f32_e32 v9, v106, v5
	s_delay_alu instid0(VALU_DEP_1) | instskip(SKIP_2) | instid1(VALU_DEP_3)
	v_mul_f32_e32 v88, 0x3fb8aa3b, v9
	v_cmp_ngt_f32_e64 s3, 0xc2ce8ed0, v9
	v_cmp_nlt_f32_e64 s4, 0x42b17218, v9
	v_fma_f32 v89, 0x3fb8aa3b, v9, -v88
	s_delay_alu instid0(VALU_DEP_1) | instskip(SKIP_1) | instid1(VALU_DEP_1)
	v_fmac_f32_e32 v89, 0x32a5705f, v9
	v_sub_f32_e32 v9, v107, v6
	v_mul_f32_e32 v91, 0x3fb8aa3b, v9
	v_cmp_ngt_f32_e64 s5, 0xc2ce8ed0, v9
	v_cmp_nlt_f32_e64 s6, 0x42b17218, v9
	s_delay_alu instid0(VALU_DEP_3) | instskip(NEXT) | instid1(VALU_DEP_1)
	v_fma_f32 v92, 0x3fb8aa3b, v9, -v91
	v_dual_fmac_f32 v92, 0x32a5705f, v9 :: v_dual_sub_f32 v9, v108, v7
	s_delay_alu instid0(VALU_DEP_1) | instskip(SKIP_2) | instid1(VALU_DEP_3)
	v_mul_f32_e32 v93, 0x3fb8aa3b, v9
	v_cmp_ngt_f32_e64 s7, 0xc2ce8ed0, v9
	v_cmp_nlt_f32_e64 s8, 0x42b17218, v9
	v_fma_f32 v102, 0x3fb8aa3b, v9, -v93
	s_delay_alu instid0(VALU_DEP_1) | instskip(SKIP_1) | instid1(VALU_DEP_1)
	v_fmac_f32_e32 v102, 0x32a5705f, v9
	v_rndne_f32_e32 v9, v86
	v_sub_f32_e32 v86, v86, v9
	v_cvt_i32_f32_e32 v9, v9
	s_delay_alu instid0(VALU_DEP_2) | instskip(SKIP_1) | instid1(VALU_DEP_2)
	v_add_f32_e32 v86, v86, v87
	v_rndne_f32_e32 v87, v88
	v_exp_f32_e32 v86, v86
	s_delay_alu instid0(VALU_DEP_1) | instskip(SKIP_1) | instid1(VALU_DEP_2)
	v_sub_f32_e32 v88, v88, v87
	v_cvt_i32_f32_e32 v87, v87
	v_add_f32_e32 v88, v88, v89
	v_rndne_f32_e32 v89, v91
	s_delay_alu instid0(TRANS32_DEP_1) | instskip(NEXT) | instid1(VALU_DEP_3)
	v_ldexp_f32 v9, v86, v9
	v_exp_f32_e32 v88, v88
	s_delay_alu instid0(VALU_DEP_2) | instskip(SKIP_3) | instid1(VALU_DEP_3)
	v_sub_f32_e32 v91, v91, v89
	v_cvt_i32_f32_e32 v86, v89
	s_wait_alu 0xfffd
	v_cndmask_b32_e32 v9, 0, v9, vcc_lo
	v_add_f32_e32 v91, v91, v92
	v_rndne_f32_e32 v92, v93
	s_delay_alu instid0(TRANS32_DEP_1) | instskip(NEXT) | instid1(VALU_DEP_3)
	v_ldexp_f32 v87, v88, v87
	v_exp_f32_e32 v89, v91
	s_delay_alu instid0(VALU_DEP_2) | instskip(SKIP_2) | instid1(VALU_DEP_2)
	v_sub_f32_e32 v93, v93, v92
	s_wait_alu 0xf1ff
	v_cndmask_b32_e64 v88, 0x7f800000, v9, s2
	v_add_f32_e32 v93, v93, v102
	s_delay_alu instid0(VALU_DEP_2) | instskip(NEXT) | instid1(TRANS32_DEP_1)
	v_cvt_f16_f32_e32 v9, v88
	v_ldexp_f32 v86, v89, v86
	s_delay_alu instid0(VALU_DEP_3) | instskip(SKIP_1) | instid1(VALU_DEP_2)
	v_exp_f32_e32 v91, v93
	v_cvt_i32_f32_e32 v89, v92
	v_cndmask_b32_e64 v86, 0, v86, s5
	s_delay_alu instid0(TRANS32_DEP_1) | instid1(VALU_DEP_2)
	v_ldexp_f32 v89, v91, v89
	v_cndmask_b32_e64 v91, 0, v87, s3
	s_delay_alu instid0(VALU_DEP_3) | instskip(NEXT) | instid1(VALU_DEP_3)
	v_cndmask_b32_e64 v87, 0x7f800000, v86, s6
	v_cndmask_b32_e64 v89, 0, v89, s7
	s_delay_alu instid0(VALU_DEP_1) | instskip(NEXT) | instid1(VALU_DEP_4)
	v_cndmask_b32_e64 v86, 0x7f800000, v89, s8
	v_cndmask_b32_e64 v89, 0x7f800000, v91, s4
	s_delay_alu instid0(VALU_DEP_4) | instskip(NEXT) | instid1(VALU_DEP_3)
	v_cvt_f16_f32_e32 v91, v87
	v_cvt_f16_f32_e32 v92, v86
	s_delay_alu instid0(VALU_DEP_3) | instskip(NEXT) | instid1(VALU_DEP_2)
	v_cvt_f16_f32_e32 v93, v89
	v_pack_b32_f16 v105, v91, v92
	s_delay_alu instid0(VALU_DEP_2) | instskip(SKIP_1) | instid1(VALU_DEP_1)
	v_pack_b32_f16 v104, v9, v93
	v_sub_f32_e32 v9, v11, v2
	v_mul_f32_e32 v11, 0x3fb8aa3b, v9
	v_cmp_ngt_f32_e32 vcc_lo, 0xc2ce8ed0, v9
	v_cmp_nlt_f32_e64 s2, 0x42b17218, v9
	s_delay_alu instid0(VALU_DEP_3) | instskip(NEXT) | instid1(VALU_DEP_1)
	v_fma_f32 v91, 0x3fb8aa3b, v9, -v11
	v_fmac_f32_e32 v91, 0x32a5705f, v9
	v_sub_f32_e32 v9, v90, v3
	s_delay_alu instid0(VALU_DEP_1) | instskip(SKIP_2) | instid1(VALU_DEP_3)
	v_mul_f32_e32 v90, 0x3fb8aa3b, v9
	v_cmp_ngt_f32_e64 s3, 0xc2ce8ed0, v9
	v_cmp_nlt_f32_e64 s4, 0x42b17218, v9
	v_fma_f32 v92, 0x3fb8aa3b, v9, -v90
	s_delay_alu instid0(VALU_DEP_1) | instskip(SKIP_1) | instid1(VALU_DEP_1)
	v_fmac_f32_e32 v92, 0x32a5705f, v9
	v_rndne_f32_e32 v9, v11
	v_sub_f32_e32 v11, v11, v9
	v_cvt_i32_f32_e32 v9, v9
	s_delay_alu instid0(VALU_DEP_2) | instskip(SKIP_1) | instid1(VALU_DEP_2)
	v_add_f32_e32 v11, v11, v91
	v_rndne_f32_e32 v91, v90
	v_exp_f32_e32 v11, v11
	s_delay_alu instid0(VALU_DEP_1) | instskip(NEXT) | instid1(VALU_DEP_1)
	v_sub_f32_e32 v90, v90, v91
	v_add_f32_e32 v90, v90, v92
	s_delay_alu instid0(TRANS32_DEP_1) | instskip(NEXT) | instid1(VALU_DEP_2)
	v_ldexp_f32 v9, v11, v9
	v_exp_f32_e32 v90, v90
	v_cvt_i32_f32_e32 v11, v91
	s_wait_alu 0xfffd
	s_delay_alu instid0(VALU_DEP_2) | instskip(SKIP_2) | instid1(VALU_DEP_2)
	v_cndmask_b32_e32 v9, 0, v9, vcc_lo
	v_cmp_ngt_f32_e32 vcc_lo, 0xc2ce8ed0, v8
	s_wait_alu 0xf1ff
	v_cndmask_b32_e64 v91, 0x7f800000, v9, s2
	s_delay_alu instid0(TRANS32_DEP_1) | instskip(SKIP_1) | instid1(VALU_DEP_3)
	v_ldexp_f32 v11, v90, v11
	v_cmp_nlt_f32_e64 s2, 0x42b17218, v8
	v_cvt_f16_f32_e32 v9, v91
	s_delay_alu instid0(VALU_DEP_3) | instskip(NEXT) | instid1(VALU_DEP_1)
	v_cndmask_b32_e64 v11, 0, v11, s3
	v_cndmask_b32_e64 v90, 0x7f800000, v11, s4
	s_delay_alu instid0(VALU_DEP_1) | instskip(NEXT) | instid1(VALU_DEP_1)
	v_cvt_f16_f32_e32 v11, v90
	v_pack_b32_f16 v103, v9, v11
	v_mul_f32_e32 v9, 0x3fb8aa3b, v8
	s_delay_alu instid0(VALU_DEP_1) | instskip(NEXT) | instid1(VALU_DEP_1)
	v_fma_f32 v11, 0x3fb8aa3b, v8, -v9
	v_dual_fmac_f32 v11, 0x32a5705f, v8 :: v_dual_sub_f32 v8, v10, v1
	s_delay_alu instid0(VALU_DEP_1) | instskip(SKIP_2) | instid1(VALU_DEP_3)
	v_mul_f32_e32 v10, 0x3fb8aa3b, v8
	v_cmp_ngt_f32_e64 s3, 0xc2ce8ed0, v8
	v_cmp_nlt_f32_e64 s4, 0x42b17218, v8
	v_fma_f32 v92, 0x3fb8aa3b, v8, -v10
	s_delay_alu instid0(VALU_DEP_1) | instskip(SKIP_1) | instid1(VALU_DEP_1)
	v_fmac_f32_e32 v92, 0x32a5705f, v8
	v_rndne_f32_e32 v8, v9
	v_sub_f32_e32 v9, v9, v8
	v_cvt_i32_f32_e32 v8, v8
	s_delay_alu instid0(VALU_DEP_2) | instskip(SKIP_1) | instid1(VALU_DEP_2)
	v_add_f32_e32 v9, v9, v11
	v_rndne_f32_e32 v11, v10
	v_exp_f32_e32 v9, v9
	s_delay_alu instid0(VALU_DEP_1) | instskip(NEXT) | instid1(VALU_DEP_1)
	v_sub_f32_e32 v10, v10, v11
	v_add_f32_e32 v10, v10, v92
	s_delay_alu instid0(TRANS32_DEP_1) | instskip(NEXT) | instid1(VALU_DEP_2)
	v_ldexp_f32 v8, v9, v8
	v_exp_f32_e32 v10, v10
	v_cvt_i32_f32_e32 v9, v11
	s_wait_alu 0xfffd
	s_delay_alu instid0(VALU_DEP_2) | instskip(SKIP_1) | instid1(VALU_DEP_1)
	v_cndmask_b32_e32 v8, 0, v8, vcc_lo
	s_wait_alu 0xf1ff
	v_cndmask_b32_e64 v93, 0x7f800000, v8, s2
	s_delay_alu instid0(TRANS32_DEP_1) | instskip(NEXT) | instid1(VALU_DEP_2)
	v_ldexp_f32 v9, v10, v9
	v_cvt_f16_f32_e32 v8, v93
	s_delay_alu instid0(VALU_DEP_2) | instskip(SKIP_3) | instid1(VALU_DEP_1)
	v_cndmask_b32_e64 v9, 0, v9, s3
	s_mul_u64 s[2:3], s[22:23], s[42:43]
	s_wait_alu 0xfffe
	s_lshl_b64 s[2:3], s[2:3], 2
	v_cndmask_b32_e64 v92, 0x7f800000, v9, s4
	s_wait_alu 0xfffe
	s_add_nc_u64 s[2:3], s[48:49], s[2:3]
	s_delay_alu instid0(VALU_DEP_1) | instskip(NEXT) | instid1(VALU_DEP_1)
	v_cvt_f16_f32_e32 v9, v92
	v_pack_b32_f16 v102, v8, v9
	s_wait_alu 0xfffe
	v_add_co_u32 v8, vcc_lo, s2, v16
	s_wait_alu 0xfffd
	v_add_co_ci_u32_e64 v9, null, s3, v17, vcc_lo
	ds_store_b128 v57, v[102:105] offset:512
	v_add_co_u32 v8, vcc_lo, v8, v58
	s_wait_alu 0xfffd
	v_add_co_ci_u32_e64 v9, null, 0, v9, vcc_lo
	global_load_b128 v[8:11], v[8:9], off
	s_wait_loadcnt 0x0
	ds_store_b128 v53, v[8:11]
	v_add_co_u32 v8, vcc_lo, s2, v18
	s_wait_alu 0xfffd
	v_add_co_ci_u32_e64 v9, null, s3, v19, vcc_lo
	v_cmp_nlt_f32_e64 s2, 0x42b17218, v94
	s_delay_alu instid0(VALU_DEP_3) | instskip(SKIP_1) | instid1(VALU_DEP_3)
	v_add_co_u32 v8, vcc_lo, v8, v58
	s_wait_alu 0xfffd
	v_add_co_ci_u32_e64 v9, null, 0, v9, vcc_lo
	v_cmp_ngt_f32_e32 vcc_lo, 0xc2ce8ed0, v94
	v_sub_f32_e32 v94, v95, v1
	global_load_b128 v[8:11], v[8:9], off
	v_mul_f32_e32 v95, 0x3fb8aa3b, v94
	v_cmp_ngt_f32_e64 s3, 0xc2ce8ed0, v94
	v_cmp_nlt_f32_e64 s4, 0x42b17218, v94
	s_delay_alu instid0(VALU_DEP_3) | instskip(NEXT) | instid1(VALU_DEP_1)
	v_fma_f32 v116, 0x3fb8aa3b, v94, -v95
	v_fmac_f32_e32 v116, 0x32a5705f, v94
	v_sub_f32_e32 v94, v96, v2
	s_delay_alu instid0(VALU_DEP_1) | instskip(SKIP_2) | instid1(VALU_DEP_3)
	v_mul_f32_e32 v96, 0x3fb8aa3b, v94
	v_cmp_ngt_f32_e64 s5, 0xc2ce8ed0, v94
	v_cmp_nlt_f32_e64 s6, 0x42b17218, v94
	v_fma_f32 v117, 0x3fb8aa3b, v94, -v96
	s_delay_alu instid0(VALU_DEP_1) | instskip(NEXT) | instid1(VALU_DEP_1)
	v_dual_fmac_f32 v117, 0x32a5705f, v94 :: v_dual_sub_f32 v94, v97, v3
	v_mul_f32_e32 v97, 0x3fb8aa3b, v94
	v_cmp_ngt_f32_e64 s7, 0xc2ce8ed0, v94
	v_cmp_nlt_f32_e64 s8, 0x42b17218, v94
	s_delay_alu instid0(VALU_DEP_3) | instskip(NEXT) | instid1(VALU_DEP_1)
	v_fma_f32 v118, 0x3fb8aa3b, v94, -v97
	v_fmac_f32_e32 v118, 0x32a5705f, v94
	v_sub_f32_e32 v94, v98, v4
	s_delay_alu instid0(VALU_DEP_1) | instskip(SKIP_2) | instid1(VALU_DEP_3)
	v_mul_f32_e32 v98, 0x3fb8aa3b, v94
	v_cmp_ngt_f32_e64 s9, 0xc2ce8ed0, v94
	v_cmp_nlt_f32_e64 s10, 0x42b17218, v94
	v_fma_f32 v119, 0x3fb8aa3b, v94, -v98
	s_delay_alu instid0(VALU_DEP_1) | instskip(NEXT) | instid1(VALU_DEP_1)
	v_dual_fmac_f32 v119, 0x32a5705f, v94 :: v_dual_sub_f32 v94, v99, v5
	;; [unrolled: 14-line block ×3, first 2 shown]
	v_mul_f32_e32 v101, 0x3fb8aa3b, v94
	v_cmp_ngt_f32_e64 s15, 0xc2ce8ed0, v94
	v_cmp_nlt_f32_e64 s16, 0x42b17218, v94
	s_delay_alu instid0(VALU_DEP_3) | instskip(NEXT) | instid1(VALU_DEP_1)
	v_fma_f32 v122, 0x3fb8aa3b, v94, -v101
	v_fmac_f32_e32 v122, 0x32a5705f, v94
	v_rndne_f32_e32 v94, v114
	s_delay_alu instid0(VALU_DEP_1) | instskip(SKIP_1) | instid1(VALU_DEP_2)
	v_sub_f32_e32 v114, v114, v94
	v_cvt_i32_f32_e32 v94, v94
	v_add_f32_e32 v114, v114, v115
	v_rndne_f32_e32 v115, v95
	s_delay_alu instid0(VALU_DEP_2) | instskip(NEXT) | instid1(VALU_DEP_1)
	v_exp_f32_e32 v114, v114
	v_sub_f32_e32 v95, v95, v115
	s_delay_alu instid0(VALU_DEP_1) | instskip(SKIP_1) | instid1(TRANS32_DEP_1)
	v_add_f32_e32 v95, v95, v116
	v_rndne_f32_e32 v116, v96
	v_ldexp_f32 v94, v114, v94
	s_delay_alu instid0(VALU_DEP_3) | instskip(NEXT) | instid1(VALU_DEP_2)
	v_exp_f32_e32 v95, v95
	v_sub_f32_e32 v96, v96, v116
	v_cvt_i32_f32_e32 v114, v115
	s_wait_alu 0xfffd
	v_cndmask_b32_e32 v94, 0, v94, vcc_lo
	s_delay_alu instid0(VALU_DEP_3) | instskip(SKIP_2) | instid1(VALU_DEP_3)
	v_add_f32_e32 v96, v96, v117
	v_rndne_f32_e32 v117, v97
	s_wait_alu 0xf1ff
	v_cndmask_b32_e64 v94, 0x7f800000, v94, s2
	s_delay_alu instid0(TRANS32_DEP_1)
	v_ldexp_f32 v95, v95, v114
	v_exp_f32_e32 v96, v96
	v_sub_f32_e32 v97, v97, v117
	v_cvt_i32_f32_e32 v114, v116
	s_or_b32 s2, s22, 32
	v_cndmask_b32_e64 v95, 0, v95, s3
	s_wait_alu 0xfffe
	s_ashr_i32 s3, s2, 31
	v_add_f32_e32 v97, v97, v118
	v_rndne_f32_e32 v118, v98
	s_wait_alu 0xfffe
	s_mul_u64 s[2:3], s[2:3], s[42:43]
	v_cndmask_b32_e64 v95, 0x7f800000, v95, s4
	v_ldexp_f32 v96, v96, v114
	v_cvt_i32_f32_e32 v114, v117
	v_sub_f32_e32 v98, v98, v118
	s_wait_alu 0xfffe
	s_lshl_b64 s[2:3], s[2:3], 2
	s_wait_alu 0xfffe
	s_add_nc_u64 s[2:3], s[48:49], s[2:3]
	v_cndmask_b32_e64 v96, 0, v96, s5
	v_add_f32_e32 v98, v98, v119
	v_rndne_f32_e32 v119, v99
	v_exp_f32_e32 v97, v97
	s_delay_alu instid0(VALU_DEP_3) | instskip(NEXT) | instid1(VALU_DEP_3)
	v_cndmask_b32_e64 v96, 0x7f800000, v96, s6
	v_exp_f32_e32 v98, v98
	s_delay_alu instid0(VALU_DEP_2) | instskip(NEXT) | instid1(VALU_DEP_1)
	v_sub_f32_e32 v99, v99, v119
	v_add_f32_e32 v99, v99, v120
	v_rndne_f32_e32 v120, v100
	s_delay_alu instid0(TRANS32_DEP_2) | instskip(SKIP_1) | instid1(VALU_DEP_4)
	v_ldexp_f32 v97, v97, v114
	v_cvt_i32_f32_e32 v114, v118
	v_exp_f32_e32 v99, v99
	s_delay_alu instid0(VALU_DEP_3) | instskip(NEXT) | instid1(VALU_DEP_3)
	v_sub_f32_e32 v100, v100, v120
	v_cndmask_b32_e64 v97, 0, v97, s7
	s_delay_alu instid0(TRANS32_DEP_2) | instid1(VALU_DEP_3)
	v_ldexp_f32 v98, v98, v114
	v_cvt_i32_f32_e32 v114, v119
	s_delay_alu instid0(VALU_DEP_4) | instskip(SKIP_3) | instid1(TRANS32_DEP_1)
	v_add_f32_e32 v100, v100, v121
	v_rndne_f32_e32 v121, v101
	v_cndmask_b32_e64 v97, 0x7f800000, v97, s8
	v_cndmask_b32_e64 v98, 0, v98, s9
	v_ldexp_f32 v99, v99, v114
	v_exp_f32_e32 v100, v100
	v_sub_f32_e32 v101, v101, v121
	v_cvt_i32_f32_e32 v114, v120
	v_cndmask_b32_e64 v98, 0x7f800000, v98, s10
	v_cndmask_b32_e64 v99, 0, v99, s11
	s_delay_alu instid0(VALU_DEP_4) | instskip(NEXT) | instid1(VALU_DEP_2)
	v_add_f32_e32 v101, v101, v122
	v_cndmask_b32_e64 v99, 0x7f800000, v99, s12
	s_delay_alu instid0(TRANS32_DEP_1) | instskip(NEXT) | instid1(VALU_DEP_3)
	v_ldexp_f32 v100, v100, v114
	v_exp_f32_e32 v101, v101
	v_cvt_i32_f32_e32 v114, v121
	s_delay_alu instid0(VALU_DEP_2) | instskip(NEXT) | instid1(VALU_DEP_1)
	v_cndmask_b32_e64 v100, 0, v100, s13
	v_cndmask_b32_e64 v100, 0x7f800000, v100, s14
	s_delay_alu instid0(TRANS32_DEP_1) | instid1(VALU_DEP_3)
	v_ldexp_f32 v101, v101, v114
	v_cvt_f16_f32_e32 v114, v94
	s_delay_alu instid0(VALU_DEP_1) | instskip(NEXT) | instid1(VALU_DEP_1)
	v_and_b32_e32 v114, 0xffff, v114
	v_mul_u32_u24_e32 v114, 0x10001, v114
	s_delay_alu instid0(VALU_DEP_1) | instskip(SKIP_2) | instid1(VALU_DEP_1)
	v_pk_mul_f16 v76, v76, v114
	v_pk_mul_f16 v77, v77, v114
	v_cvt_f16_f32_e32 v114, v95
	v_and_b32_e32 v114, 0xffff, v114
	s_delay_alu instid0(VALU_DEP_1) | instskip(NEXT) | instid1(VALU_DEP_1)
	v_mul_u32_u24_e32 v114, 0x10001, v114
	v_pk_mul_f16 v75, v75, v114
	v_pk_mul_f16 v74, v74, v114
	v_cvt_f16_f32_e32 v114, v96
	s_delay_alu instid0(VALU_DEP_1) | instskip(NEXT) | instid1(VALU_DEP_1)
	v_and_b32_e32 v114, 0xffff, v114
	v_mul_u32_u24_e32 v114, 0x10001, v114
	s_delay_alu instid0(VALU_DEP_1) | instskip(SKIP_2) | instid1(VALU_DEP_1)
	v_pk_mul_f16 v73, v73, v114
	v_pk_mul_f16 v72, v72, v114
	v_cvt_f16_f32_e32 v114, v97
	v_and_b32_e32 v114, 0xffff, v114
	s_delay_alu instid0(VALU_DEP_1) | instskip(NEXT) | instid1(VALU_DEP_1)
	v_mul_u32_u24_e32 v114, 0x10001, v114
	v_pk_mul_f16 v71, v71, v114
	v_pk_mul_f16 v70, v70, v114
	;; [unrolled: 13-line block ×3, first 2 shown]
	v_cvt_f16_f32_e32 v114, v100
	s_wait_loadcnt 0x0
	ds_store_b128 v54, v[8:11]
	s_wait_dscnt 0x0
	s_barrier_signal -1
	s_barrier_wait -1
	global_inv scope:SCOPE_SE
	ds_load_b128 v[8:11], v52
	ds_load_b128 v[102:105], v52 offset:16
	v_and_b32_e32 v114, 0xffff, v114
	s_delay_alu instid0(VALU_DEP_1) | instskip(NEXT) | instid1(VALU_DEP_1)
	v_mul_u32_u24_e32 v114, 0x10001, v114
	v_pk_mul_f16 v115, v65, v114
	v_pk_mul_f16 v114, v64, v114
	v_cndmask_b32_e64 v64, 0, v101, s15
	s_delay_alu instid0(VALU_DEP_1)
	v_cndmask_b32_e64 v101, 0x7f800000, v64, s16
	s_wait_dscnt 0x1
	v_lshrrev_b32_e32 v106, 16, v8
	s_wait_dscnt 0x0
	v_lshrrev_b32_e32 v112, 16, v103
	v_and_b32_e32 v103, 0xffff, v103
	v_and_b32_e32 v110, 0xffff, v8
	v_lshrrev_b32_e32 v8, 16, v105
	v_and_b32_e32 v105, 0xffff, v105
	v_lshrrev_b32_e32 v108, 16, v10
	;; [unrolled: 2-line block ×6, first 2 shown]
	v_and_b32_e32 v11, 0xffff, v11
	v_mul_u32_u24_e32 v10, 0x10001, v10
	v_mul_u32_u24_e32 v110, 0x10001, v110
	;; [unrolled: 1-line block ×6, first 2 shown]
	v_cvt_f16_f32_e32 v64, v101
	s_delay_alu instid0(VALU_DEP_1) | instskip(NEXT) | instid1(VALU_DEP_1)
	v_and_b32_e32 v64, 0xffff, v64
	v_mul_u32_u24_e32 v64, 0x10001, v64
	s_delay_alu instid0(VALU_DEP_1)
	v_pk_mul_f16 v116, v63, v64
	v_pk_mul_f16 v117, v62, v64
	ds_load_2addr_b64 v[62:65], v55 offset1:32
	s_wait_dscnt 0x0
	v_pk_fma_f16 v73, v62, v9, v73
	v_pk_fma_f16 v9, v63, v9, v72
	v_mul_u32_u24_e32 v72, 0x10001, v107
	v_pk_fma_f16 v69, v62, v10, v69
	v_pk_fma_f16 v10, v63, v10, v68
	v_mul_u32_u24_e32 v68, 0x10001, v108
	v_pk_fma_f16 v76, v62, v110, v76
	v_pk_fma_f16 v77, v63, v110, v77
	;; [unrolled: 1-line block ×6, first 2 shown]
	v_mul_u32_u24_e32 v72, 0x10001, v109
	v_pk_fma_f16 v67, v62, v68, v67
	v_pk_fma_f16 v66, v63, v68, v66
	;; [unrolled: 1-line block ×6, first 2 shown]
	v_mul_u32_u24_e32 v72, 0x10001, v102
	s_delay_alu instid0(VALU_DEP_3) | instskip(NEXT) | instid1(VALU_DEP_3)
	v_pk_fma_f16 v62, v64, v8, v62
	v_pk_fma_f16 v63, v65, v8, v63
	s_delay_alu instid0(VALU_DEP_3) | instskip(SKIP_2) | instid1(VALU_DEP_1)
	v_pk_fma_f16 v76, v64, v72, v76
	v_pk_fma_f16 v72, v65, v72, v77
	v_mul_u32_u24_e32 v77, 0x10001, v111
	v_pk_fma_f16 v75, v64, v77, v75
	v_pk_fma_f16 v74, v65, v77, v74
	v_mul_u32_u24_e32 v77, 0x10001, v103
	s_delay_alu instid0(VALU_DEP_1) | instskip(SKIP_2) | instid1(VALU_DEP_1)
	v_pk_fma_f16 v73, v64, v77, v73
	v_pk_fma_f16 v77, v65, v77, v9
	v_mul_u32_u24_e32 v9, 0x10001, v112
	v_pk_fma_f16 v71, v64, v9, v71
	v_pk_fma_f16 v70, v65, v9, v70
	v_mul_u32_u24_e32 v9, 0x10001, v104
	s_delay_alu instid0(VALU_DEP_1) | instskip(SKIP_2) | instid1(VALU_DEP_1)
	v_pk_fma_f16 v69, v64, v9, v69
	v_pk_fma_f16 v102, v65, v9, v10
	v_mul_u32_u24_e32 v9, 0x10001, v113
	v_pk_fma_f16 v67, v64, v9, v67
	v_pk_fma_f16 v66, v65, v9, v66
	v_mul_u32_u24_e32 v9, 0x10001, v105
	s_delay_alu instid0(VALU_DEP_1)
	v_pk_fma_f16 v68, v64, v9, v68
	v_pk_fma_f16 v103, v65, v9, v11
	ds_load_b128 v[8:11], v52 offset:32
	s_wait_dscnt 0x0
	v_lshrrev_b32_e32 v64, 16, v8
	v_lshrrev_b32_e32 v65, 16, v9
	;; [unrolled: 1-line block ×4, first 2 shown]
	v_and_b32_e32 v106, 0xffff, v8
	v_and_b32_e32 v107, 0xffff, v9
	;; [unrolled: 1-line block ×4, first 2 shown]
	ds_load_b128 v[8:11], v52 offset:48
	v_mul_u32_u24_e32 v64, 0x10001, v64
	v_mul_u32_u24_e32 v65, 0x10001, v65
	v_mul_u32_u24_e32 v106, 0x10001, v106
	s_wait_dscnt 0x0
	v_lshrrev_b32_e32 v110, 16, v8
	v_lshrrev_b32_e32 v111, 16, v9
	;; [unrolled: 1-line block ×4, first 2 shown]
	v_and_b32_e32 v114, 0xffff, v8
	v_and_b32_e32 v115, 0xffff, v9
	;; [unrolled: 1-line block ×4, first 2 shown]
	ds_load_2addr_b64 v[8:11], v55 offset0:64 offset1:96
	s_wait_dscnt 0x0
	v_pk_fma_f16 v75, v8, v64, v75
	v_pk_fma_f16 v64, v9, v64, v74
	v_mul_u32_u24_e32 v74, 0x10001, v107
	v_pk_fma_f16 v71, v8, v65, v71
	v_pk_fma_f16 v65, v9, v65, v70
	v_mul_u32_u24_e32 v70, 0x10001, v108
	v_pk_fma_f16 v76, v8, v106, v76
	v_pk_fma_f16 v72, v9, v106, v72
	;; [unrolled: 1-line block ×4, first 2 shown]
	v_mul_u32_u24_e32 v77, 0x10001, v104
	v_pk_fma_f16 v69, v8, v70, v69
	v_pk_fma_f16 v70, v9, v70, v102
	v_mul_u32_u24_e32 v102, 0x10001, v105
	s_delay_alu instid0(VALU_DEP_4) | instskip(SKIP_2) | instid1(VALU_DEP_1)
	v_pk_fma_f16 v67, v8, v77, v67
	v_pk_fma_f16 v66, v9, v77, v66
	v_mul_u32_u24_e32 v77, 0x10001, v109
	v_pk_fma_f16 v68, v8, v77, v68
	v_pk_fma_f16 v8, v8, v102, v62
	v_mul_u32_u24_e32 v62, 0x10001, v114
	v_pk_fma_f16 v77, v9, v77, v103
	v_pk_fma_f16 v9, v9, v102, v63
	s_delay_alu instid0(VALU_DEP_3) | instskip(SKIP_3) | instid1(VALU_DEP_2)
	v_pk_fma_f16 v63, v10, v62, v76
	v_pk_fma_f16 v62, v11, v62, v72
	v_mul_u32_u24_e32 v72, 0x10001, v110
	v_mul_u32_u24_e32 v76, 0x10001, v113
	v_pk_fma_f16 v75, v10, v72, v75
	v_pk_fma_f16 v64, v11, v72, v64
	v_mul_u32_u24_e32 v72, 0x10001, v115
	s_delay_alu instid0(VALU_DEP_1) | instskip(SKIP_2) | instid1(VALU_DEP_1)
	v_pk_fma_f16 v73, v10, v72, v73
	v_pk_fma_f16 v72, v11, v72, v74
	v_mul_u32_u24_e32 v74, 0x10001, v111
	v_pk_fma_f16 v71, v10, v74, v71
	v_pk_fma_f16 v65, v11, v74, v65
	v_mul_u32_u24_e32 v74, 0x10001, v116
	s_delay_alu instid0(VALU_DEP_1) | instskip(SKIP_2) | instid1(VALU_DEP_1)
	v_pk_fma_f16 v69, v10, v74, v69
	v_pk_fma_f16 v70, v11, v74, v70
	v_mul_u32_u24_e32 v74, 0x10001, v112
	v_pk_fma_f16 v67, v10, v74, v67
	v_pk_fma_f16 v66, v11, v74, v66
	v_mul_u32_u24_e32 v74, 0x10001, v117
	s_delay_alu instid0(VALU_DEP_1)
	v_pk_fma_f16 v68, v10, v74, v68
	v_pk_fma_f16 v74, v11, v74, v77
	;; [unrolled: 1-line block ×4, first 2 shown]
	ds_load_b128 v[8:11], v52 offset:64
	s_wait_dscnt 0x0
	v_lshrrev_b32_e32 v102, 16, v8
	v_lshrrev_b32_e32 v103, 16, v9
	;; [unrolled: 1-line block ×4, first 2 shown]
	v_and_b32_e32 v106, 0xffff, v8
	v_and_b32_e32 v107, 0xffff, v9
	;; [unrolled: 1-line block ×4, first 2 shown]
	ds_load_b128 v[8:11], v52 offset:80
	v_mul_u32_u24_e32 v102, 0x10001, v102
	v_mul_u32_u24_e32 v106, 0x10001, v106
	s_wait_dscnt 0x0
	v_lshrrev_b32_e32 v110, 16, v8
	v_lshrrev_b32_e32 v111, 16, v9
	;; [unrolled: 1-line block ×4, first 2 shown]
	v_and_b32_e32 v114, 0xffff, v8
	v_and_b32_e32 v115, 0xffff, v9
	;; [unrolled: 1-line block ×4, first 2 shown]
	ds_load_2addr_b64 v[8:11], v55 offset0:128 offset1:160
	s_wait_dscnt 0x0
	v_pk_fma_f16 v75, v8, v102, v75
	v_pk_fma_f16 v64, v9, v102, v64
	v_mul_u32_u24_e32 v102, 0x10001, v107
	v_pk_fma_f16 v63, v8, v106, v63
	v_pk_fma_f16 v62, v9, v106, v62
	s_delay_alu instid0(VALU_DEP_3) | instskip(SKIP_2) | instid1(VALU_DEP_1)
	v_pk_fma_f16 v73, v8, v102, v73
	v_pk_fma_f16 v72, v9, v102, v72
	v_mul_u32_u24_e32 v102, 0x10001, v103
	v_pk_fma_f16 v71, v8, v102, v71
	v_pk_fma_f16 v65, v9, v102, v65
	v_mul_u32_u24_e32 v102, 0x10001, v108
	s_delay_alu instid0(VALU_DEP_1) | instskip(SKIP_2) | instid1(VALU_DEP_1)
	v_pk_fma_f16 v69, v8, v102, v69
	v_pk_fma_f16 v70, v9, v102, v70
	v_mul_u32_u24_e32 v102, 0x10001, v104
	v_pk_fma_f16 v67, v8, v102, v67
	v_pk_fma_f16 v66, v9, v102, v66
	v_mul_u32_u24_e32 v102, 0x10001, v109
	s_delay_alu instid0(VALU_DEP_1) | instskip(SKIP_2) | instid1(VALU_DEP_1)
	v_pk_fma_f16 v68, v8, v102, v68
	v_pk_fma_f16 v74, v9, v102, v74
	v_mul_u32_u24_e32 v102, 0x10001, v105
	v_pk_fma_f16 v9, v9, v102, v76
	v_mul_u32_u24_e32 v76, 0x10001, v114
	v_pk_fma_f16 v8, v8, v102, v77
	s_delay_alu instid0(VALU_DEP_2) | instskip(SKIP_2) | instid1(VALU_DEP_1)
	v_pk_fma_f16 v63, v10, v76, v63
	v_pk_fma_f16 v62, v11, v76, v62
	v_mul_u32_u24_e32 v76, 0x10001, v110
	v_pk_fma_f16 v75, v10, v76, v75
	v_pk_fma_f16 v64, v11, v76, v64
	v_mul_u32_u24_e32 v76, 0x10001, v115
	s_delay_alu instid0(VALU_DEP_1) | instskip(SKIP_2) | instid1(VALU_DEP_1)
	v_pk_fma_f16 v73, v10, v76, v73
	v_pk_fma_f16 v72, v11, v76, v72
	v_mul_u32_u24_e32 v76, 0x10001, v111
	v_pk_fma_f16 v71, v10, v76, v71
	v_pk_fma_f16 v65, v11, v76, v65
	v_mul_u32_u24_e32 v76, 0x10001, v116
	s_delay_alu instid0(VALU_DEP_1) | instskip(SKIP_2) | instid1(VALU_DEP_1)
	;; [unrolled: 7-line block ×3, first 2 shown]
	v_pk_fma_f16 v68, v10, v76, v68
	v_pk_fma_f16 v74, v11, v76, v74
	v_mul_u32_u24_e32 v76, 0x10001, v113
	v_pk_fma_f16 v77, v10, v76, v8
	v_pk_fma_f16 v76, v11, v76, v9
	ds_load_b128 v[8:11], v52 offset:96
	s_wait_dscnt 0x0
	v_lshrrev_b32_e32 v102, 16, v8
	v_lshrrev_b32_e32 v103, 16, v9
	;; [unrolled: 1-line block ×4, first 2 shown]
	v_and_b32_e32 v106, 0xffff, v8
	v_and_b32_e32 v107, 0xffff, v9
	;; [unrolled: 1-line block ×4, first 2 shown]
	ds_load_b128 v[8:11], v52 offset:112
	v_mul_u32_u24_e32 v102, 0x10001, v102
	v_mul_u32_u24_e32 v106, 0x10001, v106
	s_wait_dscnt 0x0
	v_lshrrev_b32_e32 v110, 16, v8
	v_lshrrev_b32_e32 v111, 16, v9
	;; [unrolled: 1-line block ×4, first 2 shown]
	v_and_b32_e32 v114, 0xffff, v8
	v_and_b32_e32 v115, 0xffff, v9
	;; [unrolled: 1-line block ×4, first 2 shown]
	ds_load_2addr_b64 v[8:11], v55 offset0:192 offset1:224
	s_wait_dscnt 0x0
	v_pk_fma_f16 v75, v8, v102, v75
	v_pk_fma_f16 v64, v9, v102, v64
	v_mul_u32_u24_e32 v102, 0x10001, v107
	v_pk_fma_f16 v63, v8, v106, v63
	v_pk_fma_f16 v62, v9, v106, v62
	s_delay_alu instid0(VALU_DEP_3) | instskip(SKIP_2) | instid1(VALU_DEP_1)
	v_pk_fma_f16 v73, v8, v102, v73
	v_pk_fma_f16 v72, v9, v102, v72
	v_mul_u32_u24_e32 v102, 0x10001, v103
	v_pk_fma_f16 v71, v8, v102, v71
	v_pk_fma_f16 v65, v9, v102, v65
	v_mul_u32_u24_e32 v102, 0x10001, v108
	s_delay_alu instid0(VALU_DEP_1) | instskip(SKIP_2) | instid1(VALU_DEP_1)
	v_pk_fma_f16 v69, v8, v102, v69
	v_pk_fma_f16 v70, v9, v102, v70
	v_mul_u32_u24_e32 v102, 0x10001, v104
	v_pk_fma_f16 v67, v8, v102, v67
	v_pk_fma_f16 v66, v9, v102, v66
	v_mul_u32_u24_e32 v102, 0x10001, v109
	s_delay_alu instid0(VALU_DEP_1) | instskip(SKIP_2) | instid1(VALU_DEP_1)
	v_pk_fma_f16 v68, v8, v102, v68
	v_pk_fma_f16 v74, v9, v102, v74
	v_mul_u32_u24_e32 v102, 0x10001, v105
	v_pk_fma_f16 v9, v9, v102, v76
	v_mul_u32_u24_e32 v76, 0x10001, v114
	v_pk_fma_f16 v8, v8, v102, v77
	s_delay_alu instid0(VALU_DEP_2) | instskip(SKIP_2) | instid1(VALU_DEP_1)
	v_pk_fma_f16 v63, v10, v76, v63
	v_pk_fma_f16 v62, v11, v76, v62
	v_mul_u32_u24_e32 v76, 0x10001, v110
	v_pk_fma_f16 v75, v10, v76, v75
	v_pk_fma_f16 v64, v11, v76, v64
	v_mul_u32_u24_e32 v76, 0x10001, v115
	s_delay_alu instid0(VALU_DEP_1) | instskip(SKIP_2) | instid1(VALU_DEP_1)
	v_pk_fma_f16 v73, v10, v76, v73
	v_pk_fma_f16 v72, v11, v76, v72
	v_mul_u32_u24_e32 v76, 0x10001, v111
	v_pk_fma_f16 v71, v10, v76, v71
	v_pk_fma_f16 v65, v11, v76, v65
	v_mul_u32_u24_e32 v76, 0x10001, v116
	s_delay_alu instid0(VALU_DEP_1) | instskip(SKIP_2) | instid1(VALU_DEP_1)
	;; [unrolled: 7-line block ×3, first 2 shown]
	v_pk_fma_f16 v68, v10, v76, v68
	v_pk_fma_f16 v74, v11, v76, v74
	v_mul_u32_u24_e32 v76, 0x10001, v113
	v_pk_fma_f16 v77, v10, v76, v8
	v_pk_fma_f16 v76, v11, v76, v9
	ds_load_b128 v[8:11], v52 offset:128
	s_wait_dscnt 0x0
	v_lshrrev_b32_e32 v102, 16, v8
	v_lshrrev_b32_e32 v103, 16, v9
	;; [unrolled: 1-line block ×4, first 2 shown]
	v_and_b32_e32 v106, 0xffff, v8
	v_and_b32_e32 v107, 0xffff, v9
	;; [unrolled: 1-line block ×4, first 2 shown]
	ds_load_b128 v[8:11], v52 offset:144
	v_mul_u32_u24_e32 v102, 0x10001, v102
	v_mul_u32_u24_e32 v106, 0x10001, v106
	s_wait_dscnt 0x0
	v_lshrrev_b32_e32 v110, 16, v8
	v_lshrrev_b32_e32 v111, 16, v9
	;; [unrolled: 1-line block ×4, first 2 shown]
	v_and_b32_e32 v114, 0xffff, v8
	v_and_b32_e32 v115, 0xffff, v9
	;; [unrolled: 1-line block ×4, first 2 shown]
	ds_load_2addr_b64 v[8:11], v59 offset1:32
	s_wait_dscnt 0x0
	v_pk_fma_f16 v75, v8, v102, v75
	v_pk_fma_f16 v64, v9, v102, v64
	v_mul_u32_u24_e32 v102, 0x10001, v107
	v_pk_fma_f16 v63, v8, v106, v63
	v_pk_fma_f16 v62, v9, v106, v62
	s_delay_alu instid0(VALU_DEP_3) | instskip(SKIP_2) | instid1(VALU_DEP_1)
	v_pk_fma_f16 v73, v8, v102, v73
	v_pk_fma_f16 v72, v9, v102, v72
	v_mul_u32_u24_e32 v102, 0x10001, v103
	v_pk_fma_f16 v71, v8, v102, v71
	v_pk_fma_f16 v65, v9, v102, v65
	v_mul_u32_u24_e32 v102, 0x10001, v108
	s_delay_alu instid0(VALU_DEP_1) | instskip(SKIP_2) | instid1(VALU_DEP_1)
	v_pk_fma_f16 v69, v8, v102, v69
	v_pk_fma_f16 v70, v9, v102, v70
	v_mul_u32_u24_e32 v102, 0x10001, v104
	v_pk_fma_f16 v67, v8, v102, v67
	v_pk_fma_f16 v66, v9, v102, v66
	v_mul_u32_u24_e32 v102, 0x10001, v109
	s_delay_alu instid0(VALU_DEP_1) | instskip(SKIP_2) | instid1(VALU_DEP_1)
	v_pk_fma_f16 v68, v8, v102, v68
	v_pk_fma_f16 v74, v9, v102, v74
	v_mul_u32_u24_e32 v102, 0x10001, v105
	v_pk_fma_f16 v9, v9, v102, v76
	v_mul_u32_u24_e32 v76, 0x10001, v114
	v_pk_fma_f16 v8, v8, v102, v77
	s_delay_alu instid0(VALU_DEP_2) | instskip(SKIP_2) | instid1(VALU_DEP_1)
	v_pk_fma_f16 v63, v10, v76, v63
	v_pk_fma_f16 v62, v11, v76, v62
	v_mul_u32_u24_e32 v76, 0x10001, v110
	v_pk_fma_f16 v75, v10, v76, v75
	v_pk_fma_f16 v64, v11, v76, v64
	v_mul_u32_u24_e32 v76, 0x10001, v115
	s_delay_alu instid0(VALU_DEP_1) | instskip(SKIP_2) | instid1(VALU_DEP_1)
	v_pk_fma_f16 v73, v10, v76, v73
	v_pk_fma_f16 v72, v11, v76, v72
	v_mul_u32_u24_e32 v76, 0x10001, v111
	v_pk_fma_f16 v71, v10, v76, v71
	v_pk_fma_f16 v65, v11, v76, v65
	v_mul_u32_u24_e32 v76, 0x10001, v116
	s_delay_alu instid0(VALU_DEP_1) | instskip(SKIP_2) | instid1(VALU_DEP_1)
	;; [unrolled: 7-line block ×3, first 2 shown]
	v_pk_fma_f16 v68, v10, v76, v68
	v_pk_fma_f16 v74, v11, v76, v74
	v_mul_u32_u24_e32 v76, 0x10001, v113
	v_pk_fma_f16 v77, v10, v76, v8
	v_pk_fma_f16 v76, v11, v76, v9
	ds_load_b128 v[8:11], v52 offset:160
	s_wait_dscnt 0x0
	v_lshrrev_b32_e32 v102, 16, v8
	v_lshrrev_b32_e32 v103, 16, v9
	;; [unrolled: 1-line block ×4, first 2 shown]
	v_and_b32_e32 v106, 0xffff, v8
	v_and_b32_e32 v107, 0xffff, v9
	;; [unrolled: 1-line block ×4, first 2 shown]
	ds_load_b128 v[8:11], v52 offset:176
	v_mul_u32_u24_e32 v102, 0x10001, v102
	v_mul_u32_u24_e32 v106, 0x10001, v106
	s_wait_dscnt 0x0
	v_lshrrev_b32_e32 v110, 16, v8
	v_lshrrev_b32_e32 v111, 16, v9
	;; [unrolled: 1-line block ×4, first 2 shown]
	v_and_b32_e32 v114, 0xffff, v8
	v_and_b32_e32 v115, 0xffff, v9
	;; [unrolled: 1-line block ×4, first 2 shown]
	ds_load_2addr_b64 v[8:11], v59 offset0:64 offset1:96
	s_wait_dscnt 0x0
	v_pk_fma_f16 v75, v8, v102, v75
	v_pk_fma_f16 v64, v9, v102, v64
	v_mul_u32_u24_e32 v102, 0x10001, v107
	v_pk_fma_f16 v63, v8, v106, v63
	v_pk_fma_f16 v62, v9, v106, v62
	s_delay_alu instid0(VALU_DEP_3) | instskip(SKIP_2) | instid1(VALU_DEP_1)
	v_pk_fma_f16 v73, v8, v102, v73
	v_pk_fma_f16 v72, v9, v102, v72
	v_mul_u32_u24_e32 v102, 0x10001, v103
	v_pk_fma_f16 v71, v8, v102, v71
	v_pk_fma_f16 v65, v9, v102, v65
	v_mul_u32_u24_e32 v102, 0x10001, v108
	s_delay_alu instid0(VALU_DEP_1) | instskip(SKIP_2) | instid1(VALU_DEP_1)
	v_pk_fma_f16 v69, v8, v102, v69
	v_pk_fma_f16 v70, v9, v102, v70
	v_mul_u32_u24_e32 v102, 0x10001, v104
	v_pk_fma_f16 v67, v8, v102, v67
	v_pk_fma_f16 v66, v9, v102, v66
	v_mul_u32_u24_e32 v102, 0x10001, v109
	s_delay_alu instid0(VALU_DEP_1) | instskip(SKIP_2) | instid1(VALU_DEP_1)
	v_pk_fma_f16 v68, v8, v102, v68
	v_pk_fma_f16 v74, v9, v102, v74
	v_mul_u32_u24_e32 v102, 0x10001, v105
	v_pk_fma_f16 v9, v9, v102, v76
	v_mul_u32_u24_e32 v76, 0x10001, v114
	v_pk_fma_f16 v8, v8, v102, v77
	s_delay_alu instid0(VALU_DEP_2) | instskip(SKIP_2) | instid1(VALU_DEP_1)
	v_pk_fma_f16 v63, v10, v76, v63
	v_pk_fma_f16 v62, v11, v76, v62
	v_mul_u32_u24_e32 v76, 0x10001, v110
	v_pk_fma_f16 v75, v10, v76, v75
	v_pk_fma_f16 v64, v11, v76, v64
	v_mul_u32_u24_e32 v76, 0x10001, v115
	s_delay_alu instid0(VALU_DEP_1) | instskip(SKIP_2) | instid1(VALU_DEP_1)
	v_pk_fma_f16 v73, v10, v76, v73
	v_pk_fma_f16 v72, v11, v76, v72
	v_mul_u32_u24_e32 v76, 0x10001, v111
	v_pk_fma_f16 v71, v10, v76, v71
	v_pk_fma_f16 v65, v11, v76, v65
	v_mul_u32_u24_e32 v76, 0x10001, v116
	s_delay_alu instid0(VALU_DEP_1) | instskip(SKIP_2) | instid1(VALU_DEP_1)
	;; [unrolled: 7-line block ×3, first 2 shown]
	v_pk_fma_f16 v68, v10, v76, v68
	v_pk_fma_f16 v74, v11, v76, v74
	v_mul_u32_u24_e32 v76, 0x10001, v113
	v_pk_fma_f16 v77, v10, v76, v8
	v_pk_fma_f16 v76, v11, v76, v9
	ds_load_b128 v[8:11], v52 offset:192
	s_wait_dscnt 0x0
	v_lshrrev_b32_e32 v102, 16, v8
	v_lshrrev_b32_e32 v103, 16, v9
	;; [unrolled: 1-line block ×4, first 2 shown]
	v_and_b32_e32 v106, 0xffff, v8
	v_and_b32_e32 v107, 0xffff, v9
	;; [unrolled: 1-line block ×4, first 2 shown]
	ds_load_b128 v[8:11], v52 offset:208
	v_mul_u32_u24_e32 v102, 0x10001, v102
	v_mul_u32_u24_e32 v106, 0x10001, v106
	s_wait_dscnt 0x0
	v_lshrrev_b32_e32 v110, 16, v8
	v_lshrrev_b32_e32 v111, 16, v9
	v_lshrrev_b32_e32 v112, 16, v10
	v_lshrrev_b32_e32 v113, 16, v11
	v_and_b32_e32 v114, 0xffff, v8
	v_and_b32_e32 v115, 0xffff, v9
	;; [unrolled: 1-line block ×4, first 2 shown]
	ds_load_2addr_b64 v[8:11], v59 offset0:128 offset1:160
	s_wait_dscnt 0x0
	v_pk_fma_f16 v75, v8, v102, v75
	v_pk_fma_f16 v64, v9, v102, v64
	v_mul_u32_u24_e32 v102, 0x10001, v107
	v_pk_fma_f16 v63, v8, v106, v63
	v_pk_fma_f16 v62, v9, v106, v62
	s_delay_alu instid0(VALU_DEP_3) | instskip(SKIP_2) | instid1(VALU_DEP_1)
	v_pk_fma_f16 v73, v8, v102, v73
	v_pk_fma_f16 v72, v9, v102, v72
	v_mul_u32_u24_e32 v102, 0x10001, v103
	v_pk_fma_f16 v71, v8, v102, v71
	v_pk_fma_f16 v65, v9, v102, v65
	v_mul_u32_u24_e32 v102, 0x10001, v108
	s_delay_alu instid0(VALU_DEP_1) | instskip(SKIP_2) | instid1(VALU_DEP_1)
	v_pk_fma_f16 v69, v8, v102, v69
	v_pk_fma_f16 v70, v9, v102, v70
	v_mul_u32_u24_e32 v102, 0x10001, v104
	v_pk_fma_f16 v67, v8, v102, v67
	v_pk_fma_f16 v66, v9, v102, v66
	v_mul_u32_u24_e32 v102, 0x10001, v109
	s_delay_alu instid0(VALU_DEP_1) | instskip(SKIP_2) | instid1(VALU_DEP_1)
	v_pk_fma_f16 v68, v8, v102, v68
	v_pk_fma_f16 v74, v9, v102, v74
	v_mul_u32_u24_e32 v102, 0x10001, v105
	v_pk_fma_f16 v9, v9, v102, v76
	v_mul_u32_u24_e32 v76, 0x10001, v114
	v_pk_fma_f16 v8, v8, v102, v77
	s_delay_alu instid0(VALU_DEP_2) | instskip(SKIP_2) | instid1(VALU_DEP_1)
	v_pk_fma_f16 v63, v10, v76, v63
	v_pk_fma_f16 v62, v11, v76, v62
	v_mul_u32_u24_e32 v76, 0x10001, v110
	v_pk_fma_f16 v75, v10, v76, v75
	v_pk_fma_f16 v64, v11, v76, v64
	v_mul_u32_u24_e32 v76, 0x10001, v115
	s_delay_alu instid0(VALU_DEP_1) | instskip(SKIP_2) | instid1(VALU_DEP_1)
	v_pk_fma_f16 v73, v10, v76, v73
	v_pk_fma_f16 v72, v11, v76, v72
	v_mul_u32_u24_e32 v76, 0x10001, v111
	v_pk_fma_f16 v71, v10, v76, v71
	v_pk_fma_f16 v65, v11, v76, v65
	v_mul_u32_u24_e32 v76, 0x10001, v116
	s_delay_alu instid0(VALU_DEP_1) | instskip(SKIP_2) | instid1(VALU_DEP_1)
	;; [unrolled: 7-line block ×3, first 2 shown]
	v_pk_fma_f16 v68, v10, v76, v68
	v_pk_fma_f16 v74, v11, v76, v74
	v_mul_u32_u24_e32 v76, 0x10001, v113
	v_pk_fma_f16 v77, v10, v76, v8
	v_pk_fma_f16 v76, v11, v76, v9
	ds_load_b128 v[8:11], v52 offset:224
	s_wait_dscnt 0x0
	v_lshrrev_b32_e32 v102, 16, v8
	v_lshrrev_b32_e32 v103, 16, v9
	;; [unrolled: 1-line block ×4, first 2 shown]
	v_and_b32_e32 v106, 0xffff, v8
	v_and_b32_e32 v107, 0xffff, v9
	v_and_b32_e32 v108, 0xffff, v10
	v_and_b32_e32 v109, 0xffff, v11
	ds_load_b128 v[8:11], v52 offset:240
	v_mul_u32_u24_e32 v102, 0x10001, v102
	v_mul_u32_u24_e32 v106, 0x10001, v106
	s_wait_dscnt 0x0
	v_lshrrev_b32_e32 v110, 16, v8
	v_lshrrev_b32_e32 v111, 16, v9
	;; [unrolled: 1-line block ×4, first 2 shown]
	v_and_b32_e32 v114, 0xffff, v8
	v_and_b32_e32 v115, 0xffff, v9
	;; [unrolled: 1-line block ×4, first 2 shown]
	ds_load_2addr_b64 v[8:11], v59 offset0:192 offset1:224
	s_wait_dscnt 0x0
	v_pk_fma_f16 v75, v8, v102, v75
	v_pk_fma_f16 v64, v9, v102, v64
	v_mul_u32_u24_e32 v102, 0x10001, v107
	v_pk_fma_f16 v63, v8, v106, v63
	v_pk_fma_f16 v62, v9, v106, v62
	s_delay_alu instid0(VALU_DEP_3) | instskip(SKIP_2) | instid1(VALU_DEP_1)
	v_pk_fma_f16 v73, v8, v102, v73
	v_pk_fma_f16 v72, v9, v102, v72
	v_mul_u32_u24_e32 v102, 0x10001, v103
	v_pk_fma_f16 v71, v8, v102, v71
	v_pk_fma_f16 v65, v9, v102, v65
	v_mul_u32_u24_e32 v102, 0x10001, v108
	s_delay_alu instid0(VALU_DEP_1) | instskip(SKIP_2) | instid1(VALU_DEP_1)
	v_pk_fma_f16 v69, v8, v102, v69
	v_pk_fma_f16 v70, v9, v102, v70
	v_mul_u32_u24_e32 v102, 0x10001, v104
	v_pk_fma_f16 v67, v8, v102, v67
	v_pk_fma_f16 v66, v9, v102, v66
	v_mul_u32_u24_e32 v102, 0x10001, v109
	s_delay_alu instid0(VALU_DEP_1) | instskip(SKIP_2) | instid1(VALU_DEP_1)
	v_pk_fma_f16 v68, v8, v102, v68
	v_pk_fma_f16 v74, v9, v102, v74
	v_mul_u32_u24_e32 v102, 0x10001, v105
	v_pk_fma_f16 v9, v9, v102, v76
	v_mul_u32_u24_e32 v76, 0x10001, v114
	v_pk_fma_f16 v8, v8, v102, v77
	s_delay_alu instid0(VALU_DEP_2) | instskip(SKIP_2) | instid1(VALU_DEP_1)
	v_pk_fma_f16 v63, v10, v76, v63
	v_pk_fma_f16 v62, v11, v76, v62
	v_mul_u32_u24_e32 v76, 0x10001, v110
	v_pk_fma_f16 v75, v10, v76, v75
	v_pk_fma_f16 v64, v11, v76, v64
	v_mul_u32_u24_e32 v76, 0x10001, v115
	s_delay_alu instid0(VALU_DEP_1) | instskip(SKIP_2) | instid1(VALU_DEP_1)
	v_pk_fma_f16 v73, v10, v76, v73
	v_pk_fma_f16 v72, v11, v76, v72
	v_mul_u32_u24_e32 v76, 0x10001, v111
	v_pk_fma_f16 v71, v10, v76, v71
	v_pk_fma_f16 v65, v11, v76, v65
	v_mul_u32_u24_e32 v76, 0x10001, v116
	s_delay_alu instid0(VALU_DEP_1) | instskip(SKIP_2) | instid1(VALU_DEP_1)
	;; [unrolled: 7-line block ×3, first 2 shown]
	v_pk_fma_f16 v68, v10, v76, v68
	v_pk_fma_f16 v74, v11, v76, v74
	v_mul_u32_u24_e32 v76, 0x10001, v113
	v_pk_fma_f16 v77, v10, v76, v8
	v_pk_fma_f16 v76, v11, v76, v9
	ds_load_b128 v[8:11], v52 offset:256
	s_wait_dscnt 0x0
	v_lshrrev_b32_e32 v102, 16, v8
	v_lshrrev_b32_e32 v103, 16, v9
	;; [unrolled: 1-line block ×4, first 2 shown]
	v_and_b32_e32 v106, 0xffff, v8
	v_and_b32_e32 v107, 0xffff, v9
	;; [unrolled: 1-line block ×4, first 2 shown]
	ds_load_b128 v[8:11], v52 offset:272
	v_mul_u32_u24_e32 v102, 0x10001, v102
	v_mul_u32_u24_e32 v106, 0x10001, v106
	s_wait_dscnt 0x0
	v_lshrrev_b32_e32 v110, 16, v8
	v_lshrrev_b32_e32 v111, 16, v9
	;; [unrolled: 1-line block ×4, first 2 shown]
	v_and_b32_e32 v114, 0xffff, v8
	v_and_b32_e32 v115, 0xffff, v9
	;; [unrolled: 1-line block ×4, first 2 shown]
	ds_load_2addr_b64 v[8:11], v60 offset1:32
	s_wait_dscnt 0x0
	v_pk_fma_f16 v75, v8, v102, v75
	v_pk_fma_f16 v64, v9, v102, v64
	v_mul_u32_u24_e32 v102, 0x10001, v107
	v_pk_fma_f16 v63, v8, v106, v63
	v_pk_fma_f16 v62, v9, v106, v62
	s_delay_alu instid0(VALU_DEP_3) | instskip(SKIP_2) | instid1(VALU_DEP_1)
	v_pk_fma_f16 v73, v8, v102, v73
	v_pk_fma_f16 v72, v9, v102, v72
	v_mul_u32_u24_e32 v102, 0x10001, v103
	v_pk_fma_f16 v71, v8, v102, v71
	v_pk_fma_f16 v65, v9, v102, v65
	v_mul_u32_u24_e32 v102, 0x10001, v108
	s_delay_alu instid0(VALU_DEP_1) | instskip(SKIP_2) | instid1(VALU_DEP_1)
	v_pk_fma_f16 v69, v8, v102, v69
	v_pk_fma_f16 v70, v9, v102, v70
	v_mul_u32_u24_e32 v102, 0x10001, v104
	v_pk_fma_f16 v67, v8, v102, v67
	v_pk_fma_f16 v66, v9, v102, v66
	v_mul_u32_u24_e32 v102, 0x10001, v109
	s_delay_alu instid0(VALU_DEP_1) | instskip(SKIP_2) | instid1(VALU_DEP_1)
	v_pk_fma_f16 v68, v8, v102, v68
	v_pk_fma_f16 v74, v9, v102, v74
	v_mul_u32_u24_e32 v102, 0x10001, v105
	v_pk_fma_f16 v9, v9, v102, v76
	v_mul_u32_u24_e32 v76, 0x10001, v114
	v_pk_fma_f16 v8, v8, v102, v77
	s_delay_alu instid0(VALU_DEP_2) | instskip(SKIP_2) | instid1(VALU_DEP_1)
	v_pk_fma_f16 v63, v10, v76, v63
	v_pk_fma_f16 v62, v11, v76, v62
	v_mul_u32_u24_e32 v76, 0x10001, v110
	v_pk_fma_f16 v75, v10, v76, v75
	v_pk_fma_f16 v64, v11, v76, v64
	v_mul_u32_u24_e32 v76, 0x10001, v115
	s_delay_alu instid0(VALU_DEP_1) | instskip(SKIP_2) | instid1(VALU_DEP_1)
	v_pk_fma_f16 v73, v10, v76, v73
	v_pk_fma_f16 v72, v11, v76, v72
	v_mul_u32_u24_e32 v76, 0x10001, v111
	v_pk_fma_f16 v71, v10, v76, v71
	v_pk_fma_f16 v65, v11, v76, v65
	v_mul_u32_u24_e32 v76, 0x10001, v116
	s_delay_alu instid0(VALU_DEP_1) | instskip(SKIP_2) | instid1(VALU_DEP_1)
	;; [unrolled: 7-line block ×3, first 2 shown]
	v_pk_fma_f16 v68, v10, v76, v68
	v_pk_fma_f16 v74, v11, v76, v74
	v_mul_u32_u24_e32 v76, 0x10001, v113
	v_pk_fma_f16 v77, v10, v76, v8
	v_pk_fma_f16 v76, v11, v76, v9
	ds_load_b128 v[8:11], v52 offset:288
	s_wait_dscnt 0x0
	v_lshrrev_b32_e32 v102, 16, v8
	v_lshrrev_b32_e32 v103, 16, v9
	;; [unrolled: 1-line block ×4, first 2 shown]
	v_and_b32_e32 v106, 0xffff, v8
	v_and_b32_e32 v107, 0xffff, v9
	;; [unrolled: 1-line block ×4, first 2 shown]
	ds_load_b128 v[8:11], v52 offset:304
	v_mul_u32_u24_e32 v102, 0x10001, v102
	v_mul_u32_u24_e32 v106, 0x10001, v106
	s_wait_dscnt 0x0
	v_lshrrev_b32_e32 v110, 16, v8
	v_lshrrev_b32_e32 v111, 16, v9
	;; [unrolled: 1-line block ×4, first 2 shown]
	v_and_b32_e32 v114, 0xffff, v8
	v_and_b32_e32 v115, 0xffff, v9
	;; [unrolled: 1-line block ×4, first 2 shown]
	ds_load_2addr_b64 v[8:11], v60 offset0:64 offset1:96
	s_wait_dscnt 0x0
	v_pk_fma_f16 v75, v8, v102, v75
	v_pk_fma_f16 v64, v9, v102, v64
	v_mul_u32_u24_e32 v102, 0x10001, v107
	v_pk_fma_f16 v63, v8, v106, v63
	v_pk_fma_f16 v62, v9, v106, v62
	s_delay_alu instid0(VALU_DEP_3) | instskip(SKIP_2) | instid1(VALU_DEP_1)
	v_pk_fma_f16 v73, v8, v102, v73
	v_pk_fma_f16 v72, v9, v102, v72
	v_mul_u32_u24_e32 v102, 0x10001, v103
	v_pk_fma_f16 v71, v8, v102, v71
	v_pk_fma_f16 v65, v9, v102, v65
	v_mul_u32_u24_e32 v102, 0x10001, v108
	s_delay_alu instid0(VALU_DEP_1) | instskip(SKIP_2) | instid1(VALU_DEP_1)
	v_pk_fma_f16 v69, v8, v102, v69
	v_pk_fma_f16 v70, v9, v102, v70
	v_mul_u32_u24_e32 v102, 0x10001, v104
	v_pk_fma_f16 v67, v8, v102, v67
	v_pk_fma_f16 v66, v9, v102, v66
	v_mul_u32_u24_e32 v102, 0x10001, v109
	s_delay_alu instid0(VALU_DEP_1) | instskip(SKIP_2) | instid1(VALU_DEP_1)
	v_pk_fma_f16 v68, v8, v102, v68
	v_pk_fma_f16 v74, v9, v102, v74
	v_mul_u32_u24_e32 v102, 0x10001, v105
	v_pk_fma_f16 v9, v9, v102, v76
	v_mul_u32_u24_e32 v76, 0x10001, v114
	v_pk_fma_f16 v8, v8, v102, v77
	s_delay_alu instid0(VALU_DEP_2) | instskip(SKIP_2) | instid1(VALU_DEP_1)
	v_pk_fma_f16 v63, v10, v76, v63
	v_pk_fma_f16 v62, v11, v76, v62
	v_mul_u32_u24_e32 v76, 0x10001, v110
	v_pk_fma_f16 v75, v10, v76, v75
	v_pk_fma_f16 v64, v11, v76, v64
	v_mul_u32_u24_e32 v76, 0x10001, v115
	s_delay_alu instid0(VALU_DEP_1) | instskip(SKIP_2) | instid1(VALU_DEP_1)
	v_pk_fma_f16 v73, v10, v76, v73
	v_pk_fma_f16 v72, v11, v76, v72
	v_mul_u32_u24_e32 v76, 0x10001, v111
	v_pk_fma_f16 v71, v10, v76, v71
	v_pk_fma_f16 v65, v11, v76, v65
	v_mul_u32_u24_e32 v76, 0x10001, v116
	s_delay_alu instid0(VALU_DEP_1) | instskip(SKIP_2) | instid1(VALU_DEP_1)
	;; [unrolled: 7-line block ×3, first 2 shown]
	v_pk_fma_f16 v68, v10, v76, v68
	v_pk_fma_f16 v74, v11, v76, v74
	v_mul_u32_u24_e32 v76, 0x10001, v113
	v_pk_fma_f16 v77, v10, v76, v8
	v_pk_fma_f16 v76, v11, v76, v9
	ds_load_b128 v[8:11], v52 offset:320
	s_wait_dscnt 0x0
	v_lshrrev_b32_e32 v102, 16, v8
	v_lshrrev_b32_e32 v103, 16, v9
	;; [unrolled: 1-line block ×4, first 2 shown]
	v_and_b32_e32 v106, 0xffff, v8
	v_and_b32_e32 v107, 0xffff, v9
	;; [unrolled: 1-line block ×4, first 2 shown]
	ds_load_b128 v[8:11], v52 offset:336
	v_mul_u32_u24_e32 v102, 0x10001, v102
	v_mul_u32_u24_e32 v106, 0x10001, v106
	s_wait_dscnt 0x0
	v_lshrrev_b32_e32 v110, 16, v8
	v_lshrrev_b32_e32 v111, 16, v9
	;; [unrolled: 1-line block ×4, first 2 shown]
	v_and_b32_e32 v114, 0xffff, v8
	v_and_b32_e32 v115, 0xffff, v9
	;; [unrolled: 1-line block ×4, first 2 shown]
	ds_load_2addr_b64 v[8:11], v60 offset0:128 offset1:160
	s_wait_dscnt 0x0
	v_pk_fma_f16 v75, v8, v102, v75
	v_pk_fma_f16 v64, v9, v102, v64
	v_mul_u32_u24_e32 v102, 0x10001, v107
	v_pk_fma_f16 v63, v8, v106, v63
	v_pk_fma_f16 v62, v9, v106, v62
	s_delay_alu instid0(VALU_DEP_3) | instskip(SKIP_2) | instid1(VALU_DEP_1)
	v_pk_fma_f16 v73, v8, v102, v73
	v_pk_fma_f16 v72, v9, v102, v72
	v_mul_u32_u24_e32 v102, 0x10001, v103
	v_pk_fma_f16 v71, v8, v102, v71
	v_pk_fma_f16 v65, v9, v102, v65
	v_mul_u32_u24_e32 v102, 0x10001, v108
	s_delay_alu instid0(VALU_DEP_1) | instskip(SKIP_2) | instid1(VALU_DEP_1)
	v_pk_fma_f16 v69, v8, v102, v69
	v_pk_fma_f16 v70, v9, v102, v70
	v_mul_u32_u24_e32 v102, 0x10001, v104
	v_pk_fma_f16 v67, v8, v102, v67
	v_pk_fma_f16 v66, v9, v102, v66
	v_mul_u32_u24_e32 v102, 0x10001, v109
	s_delay_alu instid0(VALU_DEP_1) | instskip(SKIP_2) | instid1(VALU_DEP_1)
	v_pk_fma_f16 v68, v8, v102, v68
	v_pk_fma_f16 v74, v9, v102, v74
	v_mul_u32_u24_e32 v102, 0x10001, v105
	v_pk_fma_f16 v9, v9, v102, v76
	v_mul_u32_u24_e32 v76, 0x10001, v114
	v_pk_fma_f16 v8, v8, v102, v77
	s_delay_alu instid0(VALU_DEP_2) | instskip(SKIP_2) | instid1(VALU_DEP_1)
	v_pk_fma_f16 v63, v10, v76, v63
	v_pk_fma_f16 v62, v11, v76, v62
	v_mul_u32_u24_e32 v76, 0x10001, v110
	v_pk_fma_f16 v75, v10, v76, v75
	v_pk_fma_f16 v64, v11, v76, v64
	v_mul_u32_u24_e32 v76, 0x10001, v115
	s_delay_alu instid0(VALU_DEP_1) | instskip(SKIP_2) | instid1(VALU_DEP_1)
	v_pk_fma_f16 v73, v10, v76, v73
	v_pk_fma_f16 v72, v11, v76, v72
	v_mul_u32_u24_e32 v76, 0x10001, v111
	v_pk_fma_f16 v71, v10, v76, v71
	v_pk_fma_f16 v65, v11, v76, v65
	v_mul_u32_u24_e32 v76, 0x10001, v116
	s_delay_alu instid0(VALU_DEP_1) | instskip(SKIP_2) | instid1(VALU_DEP_1)
	v_pk_fma_f16 v69, v10, v76, v69
	v_pk_fma_f16 v70, v11, v76, v70
	v_mul_u32_u24_e32 v76, 0x10001, v112
	v_pk_fma_f16 v67, v10, v76, v67
	v_pk_fma_f16 v66, v11, v76, v66
	v_mul_u32_u24_e32 v76, 0x10001, v117
	s_delay_alu instid0(VALU_DEP_1) | instskip(SKIP_2) | instid1(VALU_DEP_1)
	v_pk_fma_f16 v68, v10, v76, v68
	v_pk_fma_f16 v74, v11, v76, v74
	v_mul_u32_u24_e32 v76, 0x10001, v113
	v_pk_fma_f16 v77, v10, v76, v8
	v_pk_fma_f16 v76, v11, v76, v9
	ds_load_b128 v[8:11], v52 offset:352
	s_wait_dscnt 0x0
	v_lshrrev_b32_e32 v102, 16, v8
	v_lshrrev_b32_e32 v103, 16, v9
	;; [unrolled: 1-line block ×4, first 2 shown]
	v_and_b32_e32 v106, 0xffff, v8
	v_and_b32_e32 v107, 0xffff, v9
	;; [unrolled: 1-line block ×4, first 2 shown]
	ds_load_b128 v[8:11], v52 offset:368
	v_mul_u32_u24_e32 v102, 0x10001, v102
	v_mul_u32_u24_e32 v106, 0x10001, v106
	s_wait_dscnt 0x0
	v_lshrrev_b32_e32 v110, 16, v8
	v_lshrrev_b32_e32 v111, 16, v9
	v_lshrrev_b32_e32 v112, 16, v10
	v_lshrrev_b32_e32 v113, 16, v11
	v_and_b32_e32 v114, 0xffff, v8
	v_and_b32_e32 v115, 0xffff, v9
	;; [unrolled: 1-line block ×4, first 2 shown]
	ds_load_2addr_b64 v[8:11], v60 offset0:192 offset1:224
	s_wait_dscnt 0x0
	v_pk_fma_f16 v75, v8, v102, v75
	v_pk_fma_f16 v64, v9, v102, v64
	v_mul_u32_u24_e32 v102, 0x10001, v107
	v_pk_fma_f16 v63, v8, v106, v63
	v_pk_fma_f16 v62, v9, v106, v62
	s_delay_alu instid0(VALU_DEP_3) | instskip(SKIP_2) | instid1(VALU_DEP_1)
	v_pk_fma_f16 v73, v8, v102, v73
	v_pk_fma_f16 v72, v9, v102, v72
	v_mul_u32_u24_e32 v102, 0x10001, v103
	v_pk_fma_f16 v71, v8, v102, v71
	v_pk_fma_f16 v65, v9, v102, v65
	v_mul_u32_u24_e32 v102, 0x10001, v108
	s_delay_alu instid0(VALU_DEP_1) | instskip(SKIP_2) | instid1(VALU_DEP_1)
	v_pk_fma_f16 v69, v8, v102, v69
	v_pk_fma_f16 v70, v9, v102, v70
	v_mul_u32_u24_e32 v102, 0x10001, v104
	v_pk_fma_f16 v67, v8, v102, v67
	v_pk_fma_f16 v66, v9, v102, v66
	v_mul_u32_u24_e32 v102, 0x10001, v109
	s_delay_alu instid0(VALU_DEP_1) | instskip(SKIP_2) | instid1(VALU_DEP_1)
	v_pk_fma_f16 v68, v8, v102, v68
	v_pk_fma_f16 v74, v9, v102, v74
	v_mul_u32_u24_e32 v102, 0x10001, v105
	v_pk_fma_f16 v9, v9, v102, v76
	v_mul_u32_u24_e32 v76, 0x10001, v114
	v_pk_fma_f16 v8, v8, v102, v77
	s_delay_alu instid0(VALU_DEP_2) | instskip(SKIP_2) | instid1(VALU_DEP_1)
	v_pk_fma_f16 v63, v10, v76, v63
	v_pk_fma_f16 v62, v11, v76, v62
	v_mul_u32_u24_e32 v76, 0x10001, v110
	v_pk_fma_f16 v75, v10, v76, v75
	v_pk_fma_f16 v64, v11, v76, v64
	v_mul_u32_u24_e32 v76, 0x10001, v115
	s_delay_alu instid0(VALU_DEP_1) | instskip(SKIP_2) | instid1(VALU_DEP_1)
	v_pk_fma_f16 v73, v10, v76, v73
	v_pk_fma_f16 v72, v11, v76, v72
	v_mul_u32_u24_e32 v76, 0x10001, v111
	v_pk_fma_f16 v71, v10, v76, v71
	v_pk_fma_f16 v65, v11, v76, v65
	v_mul_u32_u24_e32 v76, 0x10001, v116
	s_delay_alu instid0(VALU_DEP_1) | instskip(SKIP_2) | instid1(VALU_DEP_1)
	;; [unrolled: 7-line block ×3, first 2 shown]
	v_pk_fma_f16 v68, v10, v76, v68
	v_pk_fma_f16 v74, v11, v76, v74
	v_mul_u32_u24_e32 v76, 0x10001, v113
	v_pk_fma_f16 v77, v10, v76, v8
	v_pk_fma_f16 v76, v11, v76, v9
	ds_load_b128 v[8:11], v52 offset:384
	s_wait_dscnt 0x0
	v_lshrrev_b32_e32 v102, 16, v8
	v_lshrrev_b32_e32 v103, 16, v9
	;; [unrolled: 1-line block ×4, first 2 shown]
	v_and_b32_e32 v106, 0xffff, v8
	v_and_b32_e32 v107, 0xffff, v9
	v_and_b32_e32 v108, 0xffff, v10
	v_and_b32_e32 v109, 0xffff, v11
	ds_load_b128 v[8:11], v52 offset:400
	v_mul_u32_u24_e32 v102, 0x10001, v102
	v_mul_u32_u24_e32 v106, 0x10001, v106
	s_wait_dscnt 0x0
	v_lshrrev_b32_e32 v110, 16, v8
	v_lshrrev_b32_e32 v111, 16, v9
	;; [unrolled: 1-line block ×4, first 2 shown]
	v_and_b32_e32 v114, 0xffff, v8
	v_and_b32_e32 v115, 0xffff, v9
	;; [unrolled: 1-line block ×4, first 2 shown]
	ds_load_2addr_b64 v[8:11], v61 offset1:32
	s_wait_dscnt 0x0
	v_pk_fma_f16 v75, v8, v102, v75
	v_pk_fma_f16 v64, v9, v102, v64
	v_mul_u32_u24_e32 v102, 0x10001, v107
	v_pk_fma_f16 v63, v8, v106, v63
	v_pk_fma_f16 v62, v9, v106, v62
	s_delay_alu instid0(VALU_DEP_3) | instskip(SKIP_2) | instid1(VALU_DEP_1)
	v_pk_fma_f16 v73, v8, v102, v73
	v_pk_fma_f16 v72, v9, v102, v72
	v_mul_u32_u24_e32 v102, 0x10001, v103
	v_pk_fma_f16 v71, v8, v102, v71
	v_pk_fma_f16 v65, v9, v102, v65
	v_mul_u32_u24_e32 v102, 0x10001, v108
	s_delay_alu instid0(VALU_DEP_1) | instskip(SKIP_2) | instid1(VALU_DEP_1)
	v_pk_fma_f16 v69, v8, v102, v69
	v_pk_fma_f16 v70, v9, v102, v70
	v_mul_u32_u24_e32 v102, 0x10001, v104
	v_pk_fma_f16 v67, v8, v102, v67
	v_pk_fma_f16 v66, v9, v102, v66
	v_mul_u32_u24_e32 v102, 0x10001, v109
	s_delay_alu instid0(VALU_DEP_1) | instskip(SKIP_2) | instid1(VALU_DEP_1)
	v_pk_fma_f16 v68, v8, v102, v68
	v_pk_fma_f16 v74, v9, v102, v74
	v_mul_u32_u24_e32 v102, 0x10001, v105
	v_pk_fma_f16 v9, v9, v102, v76
	v_mul_u32_u24_e32 v76, 0x10001, v114
	v_pk_fma_f16 v8, v8, v102, v77
	s_delay_alu instid0(VALU_DEP_2) | instskip(SKIP_2) | instid1(VALU_DEP_1)
	v_pk_fma_f16 v63, v10, v76, v63
	v_pk_fma_f16 v62, v11, v76, v62
	v_mul_u32_u24_e32 v76, 0x10001, v110
	v_pk_fma_f16 v75, v10, v76, v75
	v_pk_fma_f16 v64, v11, v76, v64
	v_mul_u32_u24_e32 v76, 0x10001, v115
	s_delay_alu instid0(VALU_DEP_1) | instskip(SKIP_2) | instid1(VALU_DEP_1)
	v_pk_fma_f16 v73, v10, v76, v73
	v_pk_fma_f16 v72, v11, v76, v72
	v_mul_u32_u24_e32 v76, 0x10001, v111
	v_pk_fma_f16 v71, v10, v76, v71
	v_pk_fma_f16 v65, v11, v76, v65
	v_mul_u32_u24_e32 v76, 0x10001, v116
	s_delay_alu instid0(VALU_DEP_1) | instskip(SKIP_2) | instid1(VALU_DEP_1)
	;; [unrolled: 7-line block ×3, first 2 shown]
	v_pk_fma_f16 v68, v10, v76, v68
	v_pk_fma_f16 v74, v11, v76, v74
	v_mul_u32_u24_e32 v76, 0x10001, v113
	v_pk_fma_f16 v77, v10, v76, v8
	v_pk_fma_f16 v76, v11, v76, v9
	ds_load_b128 v[8:11], v52 offset:416
	s_wait_dscnt 0x0
	v_lshrrev_b32_e32 v102, 16, v8
	v_lshrrev_b32_e32 v103, 16, v9
	;; [unrolled: 1-line block ×4, first 2 shown]
	v_and_b32_e32 v106, 0xffff, v8
	v_and_b32_e32 v107, 0xffff, v9
	;; [unrolled: 1-line block ×4, first 2 shown]
	ds_load_b128 v[8:11], v52 offset:432
	v_mul_u32_u24_e32 v102, 0x10001, v102
	v_mul_u32_u24_e32 v106, 0x10001, v106
	s_wait_dscnt 0x0
	v_lshrrev_b32_e32 v110, 16, v8
	v_lshrrev_b32_e32 v111, 16, v9
	;; [unrolled: 1-line block ×4, first 2 shown]
	v_and_b32_e32 v114, 0xffff, v8
	v_and_b32_e32 v115, 0xffff, v9
	;; [unrolled: 1-line block ×4, first 2 shown]
	ds_load_2addr_b64 v[8:11], v61 offset0:64 offset1:96
	s_wait_dscnt 0x0
	v_pk_fma_f16 v75, v8, v102, v75
	v_pk_fma_f16 v64, v9, v102, v64
	v_mul_u32_u24_e32 v102, 0x10001, v107
	v_pk_fma_f16 v63, v8, v106, v63
	v_pk_fma_f16 v62, v9, v106, v62
	s_delay_alu instid0(VALU_DEP_3) | instskip(SKIP_2) | instid1(VALU_DEP_1)
	v_pk_fma_f16 v73, v8, v102, v73
	v_pk_fma_f16 v72, v9, v102, v72
	v_mul_u32_u24_e32 v102, 0x10001, v103
	v_pk_fma_f16 v71, v8, v102, v71
	v_pk_fma_f16 v65, v9, v102, v65
	v_mul_u32_u24_e32 v102, 0x10001, v108
	s_delay_alu instid0(VALU_DEP_1) | instskip(SKIP_2) | instid1(VALU_DEP_1)
	v_pk_fma_f16 v69, v8, v102, v69
	v_pk_fma_f16 v70, v9, v102, v70
	v_mul_u32_u24_e32 v102, 0x10001, v104
	v_pk_fma_f16 v67, v8, v102, v67
	v_pk_fma_f16 v66, v9, v102, v66
	v_mul_u32_u24_e32 v102, 0x10001, v109
	s_delay_alu instid0(VALU_DEP_1) | instskip(SKIP_2) | instid1(VALU_DEP_1)
	v_pk_fma_f16 v68, v8, v102, v68
	v_pk_fma_f16 v74, v9, v102, v74
	v_mul_u32_u24_e32 v102, 0x10001, v105
	v_pk_fma_f16 v9, v9, v102, v76
	v_mul_u32_u24_e32 v76, 0x10001, v114
	v_pk_fma_f16 v8, v8, v102, v77
	s_delay_alu instid0(VALU_DEP_2) | instskip(SKIP_2) | instid1(VALU_DEP_1)
	v_pk_fma_f16 v63, v10, v76, v63
	v_pk_fma_f16 v62, v11, v76, v62
	v_mul_u32_u24_e32 v76, 0x10001, v110
	v_pk_fma_f16 v75, v10, v76, v75
	v_pk_fma_f16 v64, v11, v76, v64
	v_mul_u32_u24_e32 v76, 0x10001, v115
	s_delay_alu instid0(VALU_DEP_1) | instskip(SKIP_2) | instid1(VALU_DEP_1)
	v_pk_fma_f16 v73, v10, v76, v73
	v_pk_fma_f16 v72, v11, v76, v72
	v_mul_u32_u24_e32 v76, 0x10001, v111
	v_pk_fma_f16 v71, v10, v76, v71
	v_pk_fma_f16 v65, v11, v76, v65
	v_mul_u32_u24_e32 v76, 0x10001, v116
	s_delay_alu instid0(VALU_DEP_1) | instskip(SKIP_2) | instid1(VALU_DEP_1)
	;; [unrolled: 7-line block ×3, first 2 shown]
	v_pk_fma_f16 v68, v10, v76, v68
	v_pk_fma_f16 v74, v11, v76, v74
	v_mul_u32_u24_e32 v76, 0x10001, v113
	v_pk_fma_f16 v77, v10, v76, v8
	v_pk_fma_f16 v76, v11, v76, v9
	ds_load_b128 v[8:11], v52 offset:448
	s_wait_dscnt 0x0
	v_lshrrev_b32_e32 v102, 16, v8
	v_lshrrev_b32_e32 v103, 16, v9
	;; [unrolled: 1-line block ×4, first 2 shown]
	v_and_b32_e32 v106, 0xffff, v8
	v_and_b32_e32 v107, 0xffff, v9
	;; [unrolled: 1-line block ×4, first 2 shown]
	ds_load_b128 v[8:11], v52 offset:464
	v_mul_u32_u24_e32 v102, 0x10001, v102
	v_mul_u32_u24_e32 v106, 0x10001, v106
	s_wait_dscnt 0x0
	v_lshrrev_b32_e32 v110, 16, v8
	v_lshrrev_b32_e32 v111, 16, v9
	;; [unrolled: 1-line block ×4, first 2 shown]
	v_and_b32_e32 v114, 0xffff, v8
	v_and_b32_e32 v115, 0xffff, v9
	;; [unrolled: 1-line block ×4, first 2 shown]
	ds_load_2addr_b64 v[8:11], v61 offset0:128 offset1:160
	s_wait_dscnt 0x0
	v_pk_fma_f16 v75, v8, v102, v75
	v_pk_fma_f16 v64, v9, v102, v64
	v_mul_u32_u24_e32 v102, 0x10001, v107
	v_pk_fma_f16 v63, v8, v106, v63
	v_pk_fma_f16 v62, v9, v106, v62
	s_delay_alu instid0(VALU_DEP_3) | instskip(SKIP_2) | instid1(VALU_DEP_1)
	v_pk_fma_f16 v73, v8, v102, v73
	v_pk_fma_f16 v72, v9, v102, v72
	v_mul_u32_u24_e32 v102, 0x10001, v103
	v_pk_fma_f16 v71, v8, v102, v71
	v_pk_fma_f16 v65, v9, v102, v65
	v_mul_u32_u24_e32 v102, 0x10001, v108
	s_delay_alu instid0(VALU_DEP_1) | instskip(SKIP_2) | instid1(VALU_DEP_1)
	v_pk_fma_f16 v69, v8, v102, v69
	v_pk_fma_f16 v70, v9, v102, v70
	v_mul_u32_u24_e32 v102, 0x10001, v104
	v_pk_fma_f16 v67, v8, v102, v67
	v_pk_fma_f16 v66, v9, v102, v66
	v_mul_u32_u24_e32 v102, 0x10001, v109
	s_delay_alu instid0(VALU_DEP_1) | instskip(SKIP_2) | instid1(VALU_DEP_1)
	v_pk_fma_f16 v68, v8, v102, v68
	v_pk_fma_f16 v74, v9, v102, v74
	v_mul_u32_u24_e32 v102, 0x10001, v105
	v_pk_fma_f16 v9, v9, v102, v76
	v_mul_u32_u24_e32 v76, 0x10001, v114
	v_pk_fma_f16 v8, v8, v102, v77
	s_delay_alu instid0(VALU_DEP_2) | instskip(SKIP_2) | instid1(VALU_DEP_1)
	v_pk_fma_f16 v63, v10, v76, v63
	v_pk_fma_f16 v62, v11, v76, v62
	v_mul_u32_u24_e32 v76, 0x10001, v110
	v_pk_fma_f16 v75, v10, v76, v75
	v_pk_fma_f16 v64, v11, v76, v64
	v_mul_u32_u24_e32 v76, 0x10001, v115
	s_delay_alu instid0(VALU_DEP_1) | instskip(SKIP_2) | instid1(VALU_DEP_1)
	v_pk_fma_f16 v73, v10, v76, v73
	v_pk_fma_f16 v72, v11, v76, v72
	v_mul_u32_u24_e32 v76, 0x10001, v111
	v_pk_fma_f16 v71, v10, v76, v71
	v_pk_fma_f16 v65, v11, v76, v65
	v_mul_u32_u24_e32 v76, 0x10001, v116
	s_delay_alu instid0(VALU_DEP_1) | instskip(SKIP_2) | instid1(VALU_DEP_1)
	;; [unrolled: 7-line block ×3, first 2 shown]
	v_pk_fma_f16 v68, v10, v76, v68
	v_pk_fma_f16 v74, v11, v76, v74
	v_mul_u32_u24_e32 v76, 0x10001, v113
	v_pk_fma_f16 v77, v10, v76, v8
	v_pk_fma_f16 v76, v11, v76, v9
	ds_load_b128 v[8:11], v52 offset:480
	s_wait_dscnt 0x0
	v_lshrrev_b32_e32 v102, 16, v8
	v_lshrrev_b32_e32 v103, 16, v9
	v_lshrrev_b32_e32 v104, 16, v10
	v_lshrrev_b32_e32 v105, 16, v11
	v_and_b32_e32 v106, 0xffff, v8
	v_and_b32_e32 v107, 0xffff, v9
	;; [unrolled: 1-line block ×4, first 2 shown]
	ds_load_b128 v[8:11], v52 offset:496
	v_mul_u32_u24_e32 v106, 0x10001, v106
	s_wait_dscnt 0x0
	v_lshrrev_b32_e32 v110, 16, v8
	v_lshrrev_b32_e32 v111, 16, v9
	;; [unrolled: 1-line block ×4, first 2 shown]
	v_and_b32_e32 v114, 0xffff, v8
	v_and_b32_e32 v115, 0xffff, v9
	;; [unrolled: 1-line block ×4, first 2 shown]
	ds_load_2addr_b64 v[8:11], v61 offset0:192 offset1:224
	s_wait_loadcnt_dscnt 0x0
	s_barrier_signal -1
	s_barrier_wait -1
	global_inv scope:SCOPE_SE
	v_pk_fma_f16 v63, v8, v106, v63
	v_pk_fma_f16 v106, v9, v106, v62
	v_mul_u32_u24_e32 v62, 0x10001, v102
	s_delay_alu instid0(VALU_DEP_1) | instskip(SKIP_2) | instid1(VALU_DEP_1)
	v_pk_fma_f16 v75, v8, v62, v75
	v_pk_fma_f16 v64, v9, v62, v64
	v_mul_u32_u24_e32 v62, 0x10001, v107
	v_pk_fma_f16 v73, v8, v62, v73
	v_pk_fma_f16 v72, v9, v62, v72
	v_mul_u32_u24_e32 v62, 0x10001, v103
	s_delay_alu instid0(VALU_DEP_1) | instskip(SKIP_3) | instid1(VALU_DEP_2)
	v_pk_fma_f16 v102, v8, v62, v71
	v_pk_fma_f16 v103, v9, v62, v65
	v_mul_u32_u24_e32 v62, 0x10001, v108
	v_mul_u32_u24_e32 v65, 0x10001, v114
	v_pk_fma_f16 v69, v8, v62, v69
	v_pk_fma_f16 v107, v9, v62, v70
	v_mul_u32_u24_e32 v62, 0x10001, v104
	s_delay_alu instid0(VALU_DEP_4) | instskip(NEXT) | instid1(VALU_DEP_2)
	v_pk_fma_f16 v70, v11, v65, v106
	v_pk_fma_f16 v67, v8, v62, v67
	;; [unrolled: 1-line block ×3, first 2 shown]
	v_mul_u32_u24_e32 v62, 0x10001, v109
	v_mul_u32_u24_e32 v66, 0x10001, v111
	s_delay_alu instid0(VALU_DEP_2) | instskip(SKIP_3) | instid1(VALU_DEP_2)
	v_pk_fma_f16 v68, v8, v62, v68
	v_pk_fma_f16 v108, v9, v62, v74
	v_mul_u32_u24_e32 v62, 0x10001, v105
	v_mul_u32_u24_e32 v74, 0x10001, v116
	v_pk_fma_f16 v8, v8, v62, v77
	v_pk_fma_f16 v9, v9, v62, v76
	;; [unrolled: 1-line block ×3, first 2 shown]
	v_mul_u32_u24_e32 v65, 0x10001, v110
	v_mul_u32_u24_e32 v77, 0x10001, v113
	s_delay_alu instid0(VALU_DEP_2) | instskip(SKIP_2) | instid1(VALU_DEP_1)
	v_pk_fma_f16 v63, v10, v65, v75
	v_pk_fma_f16 v71, v11, v65, v64
	v_mul_u32_u24_e32 v65, 0x10001, v115
	v_pk_fma_f16 v64, v10, v65, v73
	v_pk_fma_f16 v72, v11, v65, v72
	;; [unrolled: 1-line block ×5, first 2 shown]
	v_mul_u32_u24_e32 v69, 0x10001, v112
	v_pk_fma_f16 v74, v11, v74, v107
	s_delay_alu instid0(VALU_DEP_2) | instskip(SKIP_2) | instid1(VALU_DEP_1)
	v_pk_fma_f16 v67, v10, v69, v67
	v_pk_fma_f16 v75, v11, v69, v104
	v_mul_u32_u24_e32 v69, 0x10001, v117
	v_pk_fma_f16 v68, v10, v69, v68
	v_pk_fma_f16 v76, v11, v69, v108
	;; [unrolled: 1-line block ×3, first 2 shown]
	s_wait_alu 0xfffe
	v_add_co_u32 v8, vcc_lo, s2, v16
	v_pk_fma_f16 v77, v11, v77, v9
	s_wait_alu 0xfffd
	v_add_co_ci_u32_e64 v9, null, s3, v17, vcc_lo
	s_delay_alu instid0(VALU_DEP_3) | instskip(SKIP_1) | instid1(VALU_DEP_2)
	v_add_co_u32 v8, vcc_lo, v8, v58
	s_wait_alu 0xfffd
	v_add_co_ci_u32_e64 v9, null, 0, v9, vcc_lo
	global_load_b128 v[8:11], v[8:9], off
	s_wait_loadcnt 0x0
	ds_store_b128 v53, v[8:11]
	v_add_co_u32 v8, vcc_lo, s2, v18
	s_wait_alu 0xfffd
	v_add_co_ci_u32_e64 v9, null, s3, v19, vcc_lo
	s_delay_alu instid0(VALU_DEP_2) | instskip(SKIP_1) | instid1(VALU_DEP_2)
	v_add_co_u32 v8, vcc_lo, v8, v58
	s_wait_alu 0xfffd
	v_add_co_ci_u32_e64 v9, null, 0, v9, vcc_lo
	global_load_b128 v[8:11], v[8:9], off
	s_wait_loadcnt 0x0
	ds_store_b128 v54, v[8:11]
	s_wait_dscnt 0x0
	s_barrier_signal -1
	s_barrier_wait -1
	global_inv scope:SCOPE_SE
	ds_load_b128 v[8:11], v52 offset:512
	s_wait_dscnt 0x0
	v_lshrrev_b32_e32 v102, 16, v8
	v_lshrrev_b32_e32 v103, 16, v9
	;; [unrolled: 1-line block ×4, first 2 shown]
	v_and_b32_e32 v106, 0xffff, v8
	v_and_b32_e32 v107, 0xffff, v9
	;; [unrolled: 1-line block ×4, first 2 shown]
	ds_load_b128 v[8:11], v52 offset:528
	v_mul_u32_u24_e32 v102, 0x10001, v102
	v_mul_u32_u24_e32 v106, 0x10001, v106
	s_wait_dscnt 0x0
	v_lshrrev_b32_e32 v110, 16, v8
	v_lshrrev_b32_e32 v111, 16, v9
	;; [unrolled: 1-line block ×4, first 2 shown]
	v_and_b32_e32 v114, 0xffff, v8
	v_and_b32_e32 v115, 0xffff, v9
	;; [unrolled: 1-line block ×4, first 2 shown]
	ds_load_2addr_b64 v[8:11], v55 offset1:32
	s_wait_dscnt 0x0
	v_pk_fma_f16 v63, v8, v102, v63
	v_pk_fma_f16 v71, v9, v102, v71
	v_mul_u32_u24_e32 v102, 0x10001, v107
	v_pk_fma_f16 v62, v8, v106, v62
	v_pk_fma_f16 v70, v9, v106, v70
	s_delay_alu instid0(VALU_DEP_3) | instskip(SKIP_2) | instid1(VALU_DEP_1)
	v_pk_fma_f16 v64, v8, v102, v64
	v_pk_fma_f16 v72, v9, v102, v72
	v_mul_u32_u24_e32 v102, 0x10001, v103
	v_pk_fma_f16 v65, v8, v102, v65
	v_pk_fma_f16 v73, v9, v102, v73
	v_mul_u32_u24_e32 v102, 0x10001, v108
	s_delay_alu instid0(VALU_DEP_1) | instskip(SKIP_2) | instid1(VALU_DEP_1)
	v_pk_fma_f16 v66, v8, v102, v66
	v_pk_fma_f16 v74, v9, v102, v74
	v_mul_u32_u24_e32 v102, 0x10001, v104
	v_pk_fma_f16 v67, v8, v102, v67
	v_pk_fma_f16 v75, v9, v102, v75
	v_mul_u32_u24_e32 v102, 0x10001, v109
	s_delay_alu instid0(VALU_DEP_1) | instskip(SKIP_2) | instid1(VALU_DEP_1)
	v_pk_fma_f16 v68, v8, v102, v68
	v_pk_fma_f16 v76, v9, v102, v76
	v_mul_u32_u24_e32 v102, 0x10001, v105
	v_pk_fma_f16 v8, v8, v102, v69
	v_mul_u32_u24_e32 v69, 0x10001, v114
	v_pk_fma_f16 v9, v9, v102, v77
	s_delay_alu instid0(VALU_DEP_2) | instskip(SKIP_2) | instid1(VALU_DEP_1)
	v_pk_fma_f16 v62, v10, v69, v62
	v_pk_fma_f16 v69, v11, v69, v70
	v_mul_u32_u24_e32 v70, 0x10001, v110
	v_pk_fma_f16 v63, v10, v70, v63
	v_pk_fma_f16 v70, v11, v70, v71
	v_mul_u32_u24_e32 v71, 0x10001, v115
	s_delay_alu instid0(VALU_DEP_1) | instskip(SKIP_2) | instid1(VALU_DEP_1)
	v_pk_fma_f16 v64, v10, v71, v64
	v_pk_fma_f16 v71, v11, v71, v72
	v_mul_u32_u24_e32 v72, 0x10001, v111
	v_pk_fma_f16 v65, v10, v72, v65
	v_pk_fma_f16 v72, v11, v72, v73
	v_mul_u32_u24_e32 v73, 0x10001, v116
	s_delay_alu instid0(VALU_DEP_1) | instskip(SKIP_2) | instid1(VALU_DEP_1)
	;; [unrolled: 7-line block ×3, first 2 shown]
	v_pk_fma_f16 v68, v10, v75, v68
	v_pk_fma_f16 v75, v11, v75, v76
	v_mul_u32_u24_e32 v76, 0x10001, v113
	v_pk_fma_f16 v77, v10, v76, v8
	v_pk_fma_f16 v76, v11, v76, v9
	ds_load_b128 v[8:11], v52 offset:544
	s_wait_dscnt 0x0
	v_lshrrev_b32_e32 v102, 16, v8
	v_lshrrev_b32_e32 v103, 16, v9
	v_lshrrev_b32_e32 v104, 16, v10
	v_lshrrev_b32_e32 v105, 16, v11
	v_and_b32_e32 v106, 0xffff, v8
	v_and_b32_e32 v107, 0xffff, v9
	;; [unrolled: 1-line block ×4, first 2 shown]
	ds_load_b128 v[8:11], v52 offset:560
	v_mul_u32_u24_e32 v102, 0x10001, v102
	v_mul_u32_u24_e32 v106, 0x10001, v106
	s_wait_dscnt 0x0
	v_lshrrev_b32_e32 v110, 16, v8
	v_lshrrev_b32_e32 v111, 16, v9
	;; [unrolled: 1-line block ×4, first 2 shown]
	v_and_b32_e32 v114, 0xffff, v8
	v_and_b32_e32 v115, 0xffff, v9
	;; [unrolled: 1-line block ×4, first 2 shown]
	ds_load_2addr_b64 v[8:11], v55 offset0:64 offset1:96
	s_wait_dscnt 0x0
	v_pk_fma_f16 v63, v8, v102, v63
	v_pk_fma_f16 v70, v9, v102, v70
	v_mul_u32_u24_e32 v102, 0x10001, v107
	v_pk_fma_f16 v62, v8, v106, v62
	v_pk_fma_f16 v69, v9, v106, v69
	s_delay_alu instid0(VALU_DEP_3) | instskip(SKIP_2) | instid1(VALU_DEP_1)
	v_pk_fma_f16 v64, v8, v102, v64
	v_pk_fma_f16 v71, v9, v102, v71
	v_mul_u32_u24_e32 v102, 0x10001, v103
	v_pk_fma_f16 v65, v8, v102, v65
	v_pk_fma_f16 v72, v9, v102, v72
	v_mul_u32_u24_e32 v102, 0x10001, v108
	s_delay_alu instid0(VALU_DEP_1) | instskip(SKIP_2) | instid1(VALU_DEP_1)
	v_pk_fma_f16 v66, v8, v102, v66
	v_pk_fma_f16 v73, v9, v102, v73
	v_mul_u32_u24_e32 v102, 0x10001, v104
	v_pk_fma_f16 v67, v8, v102, v67
	v_pk_fma_f16 v74, v9, v102, v74
	v_mul_u32_u24_e32 v102, 0x10001, v109
	s_delay_alu instid0(VALU_DEP_1) | instskip(SKIP_2) | instid1(VALU_DEP_1)
	v_pk_fma_f16 v68, v8, v102, v68
	v_pk_fma_f16 v75, v9, v102, v75
	v_mul_u32_u24_e32 v102, 0x10001, v105
	v_pk_fma_f16 v9, v9, v102, v76
	v_mul_u32_u24_e32 v76, 0x10001, v114
	v_pk_fma_f16 v8, v8, v102, v77
	s_delay_alu instid0(VALU_DEP_2) | instskip(SKIP_2) | instid1(VALU_DEP_1)
	v_pk_fma_f16 v62, v10, v76, v62
	v_pk_fma_f16 v69, v11, v76, v69
	v_mul_u32_u24_e32 v76, 0x10001, v110
	v_pk_fma_f16 v63, v10, v76, v63
	v_pk_fma_f16 v70, v11, v76, v70
	v_mul_u32_u24_e32 v76, 0x10001, v115
	s_delay_alu instid0(VALU_DEP_1) | instskip(SKIP_2) | instid1(VALU_DEP_1)
	v_pk_fma_f16 v64, v10, v76, v64
	v_pk_fma_f16 v71, v11, v76, v71
	v_mul_u32_u24_e32 v76, 0x10001, v111
	v_pk_fma_f16 v65, v10, v76, v65
	v_pk_fma_f16 v72, v11, v76, v72
	v_mul_u32_u24_e32 v76, 0x10001, v116
	s_delay_alu instid0(VALU_DEP_1) | instskip(SKIP_2) | instid1(VALU_DEP_1)
	;; [unrolled: 7-line block ×3, first 2 shown]
	v_pk_fma_f16 v68, v10, v76, v68
	v_pk_fma_f16 v75, v11, v76, v75
	v_mul_u32_u24_e32 v76, 0x10001, v113
	v_pk_fma_f16 v77, v10, v76, v8
	v_pk_fma_f16 v76, v11, v76, v9
	ds_load_b128 v[8:11], v52 offset:576
	s_wait_dscnt 0x0
	v_lshrrev_b32_e32 v102, 16, v8
	v_lshrrev_b32_e32 v103, 16, v9
	;; [unrolled: 1-line block ×4, first 2 shown]
	v_and_b32_e32 v106, 0xffff, v8
	v_and_b32_e32 v107, 0xffff, v9
	;; [unrolled: 1-line block ×4, first 2 shown]
	ds_load_b128 v[8:11], v52 offset:592
	v_mul_u32_u24_e32 v102, 0x10001, v102
	v_mul_u32_u24_e32 v106, 0x10001, v106
	s_wait_dscnt 0x0
	v_lshrrev_b32_e32 v110, 16, v8
	v_lshrrev_b32_e32 v111, 16, v9
	;; [unrolled: 1-line block ×4, first 2 shown]
	v_and_b32_e32 v114, 0xffff, v8
	v_and_b32_e32 v115, 0xffff, v9
	;; [unrolled: 1-line block ×4, first 2 shown]
	ds_load_2addr_b64 v[8:11], v55 offset0:128 offset1:160
	s_wait_dscnt 0x0
	v_pk_fma_f16 v63, v8, v102, v63
	v_pk_fma_f16 v70, v9, v102, v70
	v_mul_u32_u24_e32 v102, 0x10001, v107
	v_pk_fma_f16 v62, v8, v106, v62
	v_pk_fma_f16 v69, v9, v106, v69
	s_delay_alu instid0(VALU_DEP_3) | instskip(SKIP_2) | instid1(VALU_DEP_1)
	v_pk_fma_f16 v64, v8, v102, v64
	v_pk_fma_f16 v71, v9, v102, v71
	v_mul_u32_u24_e32 v102, 0x10001, v103
	v_pk_fma_f16 v65, v8, v102, v65
	v_pk_fma_f16 v72, v9, v102, v72
	v_mul_u32_u24_e32 v102, 0x10001, v108
	s_delay_alu instid0(VALU_DEP_1) | instskip(SKIP_2) | instid1(VALU_DEP_1)
	v_pk_fma_f16 v66, v8, v102, v66
	v_pk_fma_f16 v73, v9, v102, v73
	v_mul_u32_u24_e32 v102, 0x10001, v104
	v_pk_fma_f16 v67, v8, v102, v67
	v_pk_fma_f16 v74, v9, v102, v74
	v_mul_u32_u24_e32 v102, 0x10001, v109
	s_delay_alu instid0(VALU_DEP_1) | instskip(SKIP_2) | instid1(VALU_DEP_1)
	v_pk_fma_f16 v68, v8, v102, v68
	v_pk_fma_f16 v75, v9, v102, v75
	v_mul_u32_u24_e32 v102, 0x10001, v105
	v_pk_fma_f16 v9, v9, v102, v76
	v_mul_u32_u24_e32 v76, 0x10001, v114
	v_pk_fma_f16 v8, v8, v102, v77
	s_delay_alu instid0(VALU_DEP_2) | instskip(SKIP_2) | instid1(VALU_DEP_1)
	v_pk_fma_f16 v62, v10, v76, v62
	v_pk_fma_f16 v69, v11, v76, v69
	v_mul_u32_u24_e32 v76, 0x10001, v110
	v_pk_fma_f16 v63, v10, v76, v63
	v_pk_fma_f16 v70, v11, v76, v70
	v_mul_u32_u24_e32 v76, 0x10001, v115
	s_delay_alu instid0(VALU_DEP_1) | instskip(SKIP_2) | instid1(VALU_DEP_1)
	v_pk_fma_f16 v64, v10, v76, v64
	v_pk_fma_f16 v71, v11, v76, v71
	v_mul_u32_u24_e32 v76, 0x10001, v111
	v_pk_fma_f16 v65, v10, v76, v65
	v_pk_fma_f16 v72, v11, v76, v72
	v_mul_u32_u24_e32 v76, 0x10001, v116
	s_delay_alu instid0(VALU_DEP_1) | instskip(SKIP_2) | instid1(VALU_DEP_1)
	;; [unrolled: 7-line block ×3, first 2 shown]
	v_pk_fma_f16 v68, v10, v76, v68
	v_pk_fma_f16 v75, v11, v76, v75
	v_mul_u32_u24_e32 v76, 0x10001, v113
	v_pk_fma_f16 v77, v10, v76, v8
	v_pk_fma_f16 v76, v11, v76, v9
	ds_load_b128 v[8:11], v52 offset:608
	s_wait_dscnt 0x0
	v_lshrrev_b32_e32 v102, 16, v8
	v_lshrrev_b32_e32 v103, 16, v9
	;; [unrolled: 1-line block ×4, first 2 shown]
	v_and_b32_e32 v106, 0xffff, v8
	v_and_b32_e32 v107, 0xffff, v9
	;; [unrolled: 1-line block ×4, first 2 shown]
	ds_load_b128 v[8:11], v52 offset:624
	v_mul_u32_u24_e32 v102, 0x10001, v102
	v_mul_u32_u24_e32 v106, 0x10001, v106
	s_wait_dscnt 0x0
	v_lshrrev_b32_e32 v110, 16, v8
	v_lshrrev_b32_e32 v111, 16, v9
	v_lshrrev_b32_e32 v112, 16, v10
	v_lshrrev_b32_e32 v113, 16, v11
	v_and_b32_e32 v114, 0xffff, v8
	v_and_b32_e32 v115, 0xffff, v9
	;; [unrolled: 1-line block ×4, first 2 shown]
	ds_load_2addr_b64 v[8:11], v55 offset0:192 offset1:224
	s_wait_dscnt 0x0
	v_pk_fma_f16 v63, v8, v102, v63
	v_pk_fma_f16 v70, v9, v102, v70
	v_mul_u32_u24_e32 v102, 0x10001, v107
	v_pk_fma_f16 v62, v8, v106, v62
	v_pk_fma_f16 v69, v9, v106, v69
	s_delay_alu instid0(VALU_DEP_3) | instskip(SKIP_2) | instid1(VALU_DEP_1)
	v_pk_fma_f16 v64, v8, v102, v64
	v_pk_fma_f16 v71, v9, v102, v71
	v_mul_u32_u24_e32 v102, 0x10001, v103
	v_pk_fma_f16 v65, v8, v102, v65
	v_pk_fma_f16 v72, v9, v102, v72
	v_mul_u32_u24_e32 v102, 0x10001, v108
	s_delay_alu instid0(VALU_DEP_1) | instskip(SKIP_2) | instid1(VALU_DEP_1)
	v_pk_fma_f16 v66, v8, v102, v66
	v_pk_fma_f16 v73, v9, v102, v73
	v_mul_u32_u24_e32 v102, 0x10001, v104
	v_pk_fma_f16 v67, v8, v102, v67
	v_pk_fma_f16 v74, v9, v102, v74
	v_mul_u32_u24_e32 v102, 0x10001, v109
	s_delay_alu instid0(VALU_DEP_1) | instskip(SKIP_2) | instid1(VALU_DEP_1)
	v_pk_fma_f16 v68, v8, v102, v68
	v_pk_fma_f16 v75, v9, v102, v75
	v_mul_u32_u24_e32 v102, 0x10001, v105
	v_pk_fma_f16 v9, v9, v102, v76
	v_mul_u32_u24_e32 v76, 0x10001, v114
	v_pk_fma_f16 v8, v8, v102, v77
	s_delay_alu instid0(VALU_DEP_2) | instskip(SKIP_2) | instid1(VALU_DEP_1)
	v_pk_fma_f16 v62, v10, v76, v62
	v_pk_fma_f16 v69, v11, v76, v69
	v_mul_u32_u24_e32 v76, 0x10001, v110
	v_pk_fma_f16 v63, v10, v76, v63
	v_pk_fma_f16 v70, v11, v76, v70
	v_mul_u32_u24_e32 v76, 0x10001, v115
	s_delay_alu instid0(VALU_DEP_1) | instskip(SKIP_2) | instid1(VALU_DEP_1)
	v_pk_fma_f16 v64, v10, v76, v64
	v_pk_fma_f16 v71, v11, v76, v71
	v_mul_u32_u24_e32 v76, 0x10001, v111
	v_pk_fma_f16 v65, v10, v76, v65
	v_pk_fma_f16 v72, v11, v76, v72
	v_mul_u32_u24_e32 v76, 0x10001, v116
	s_delay_alu instid0(VALU_DEP_1) | instskip(SKIP_2) | instid1(VALU_DEP_1)
	;; [unrolled: 7-line block ×3, first 2 shown]
	v_pk_fma_f16 v68, v10, v76, v68
	v_pk_fma_f16 v75, v11, v76, v75
	v_mul_u32_u24_e32 v76, 0x10001, v113
	v_pk_fma_f16 v77, v10, v76, v8
	v_pk_fma_f16 v76, v11, v76, v9
	ds_load_b128 v[8:11], v52 offset:640
	s_wait_dscnt 0x0
	v_lshrrev_b32_e32 v102, 16, v8
	v_lshrrev_b32_e32 v103, 16, v9
	;; [unrolled: 1-line block ×4, first 2 shown]
	v_and_b32_e32 v106, 0xffff, v8
	v_and_b32_e32 v107, 0xffff, v9
	;; [unrolled: 1-line block ×4, first 2 shown]
	ds_load_b128 v[8:11], v52 offset:656
	v_mul_u32_u24_e32 v102, 0x10001, v102
	v_mul_u32_u24_e32 v106, 0x10001, v106
	s_wait_dscnt 0x0
	v_lshrrev_b32_e32 v110, 16, v8
	v_lshrrev_b32_e32 v111, 16, v9
	;; [unrolled: 1-line block ×4, first 2 shown]
	v_and_b32_e32 v114, 0xffff, v8
	v_and_b32_e32 v115, 0xffff, v9
	;; [unrolled: 1-line block ×4, first 2 shown]
	ds_load_2addr_b64 v[8:11], v59 offset1:32
	s_wait_dscnt 0x0
	v_pk_fma_f16 v63, v8, v102, v63
	v_pk_fma_f16 v70, v9, v102, v70
	v_mul_u32_u24_e32 v102, 0x10001, v107
	v_pk_fma_f16 v62, v8, v106, v62
	v_pk_fma_f16 v69, v9, v106, v69
	s_delay_alu instid0(VALU_DEP_3) | instskip(SKIP_2) | instid1(VALU_DEP_1)
	v_pk_fma_f16 v64, v8, v102, v64
	v_pk_fma_f16 v71, v9, v102, v71
	v_mul_u32_u24_e32 v102, 0x10001, v103
	v_pk_fma_f16 v65, v8, v102, v65
	v_pk_fma_f16 v72, v9, v102, v72
	v_mul_u32_u24_e32 v102, 0x10001, v108
	s_delay_alu instid0(VALU_DEP_1) | instskip(SKIP_2) | instid1(VALU_DEP_1)
	v_pk_fma_f16 v66, v8, v102, v66
	v_pk_fma_f16 v73, v9, v102, v73
	v_mul_u32_u24_e32 v102, 0x10001, v104
	v_pk_fma_f16 v67, v8, v102, v67
	v_pk_fma_f16 v74, v9, v102, v74
	v_mul_u32_u24_e32 v102, 0x10001, v109
	s_delay_alu instid0(VALU_DEP_1) | instskip(SKIP_2) | instid1(VALU_DEP_1)
	v_pk_fma_f16 v68, v8, v102, v68
	v_pk_fma_f16 v75, v9, v102, v75
	v_mul_u32_u24_e32 v102, 0x10001, v105
	v_pk_fma_f16 v9, v9, v102, v76
	v_mul_u32_u24_e32 v76, 0x10001, v114
	v_pk_fma_f16 v8, v8, v102, v77
	s_delay_alu instid0(VALU_DEP_2) | instskip(SKIP_2) | instid1(VALU_DEP_1)
	v_pk_fma_f16 v62, v10, v76, v62
	v_pk_fma_f16 v69, v11, v76, v69
	v_mul_u32_u24_e32 v76, 0x10001, v110
	v_pk_fma_f16 v63, v10, v76, v63
	v_pk_fma_f16 v70, v11, v76, v70
	v_mul_u32_u24_e32 v76, 0x10001, v115
	s_delay_alu instid0(VALU_DEP_1) | instskip(SKIP_2) | instid1(VALU_DEP_1)
	v_pk_fma_f16 v64, v10, v76, v64
	v_pk_fma_f16 v71, v11, v76, v71
	v_mul_u32_u24_e32 v76, 0x10001, v111
	v_pk_fma_f16 v65, v10, v76, v65
	v_pk_fma_f16 v72, v11, v76, v72
	v_mul_u32_u24_e32 v76, 0x10001, v116
	s_delay_alu instid0(VALU_DEP_1) | instskip(SKIP_2) | instid1(VALU_DEP_1)
	;; [unrolled: 7-line block ×3, first 2 shown]
	v_pk_fma_f16 v68, v10, v76, v68
	v_pk_fma_f16 v75, v11, v76, v75
	v_mul_u32_u24_e32 v76, 0x10001, v113
	v_pk_fma_f16 v77, v10, v76, v8
	v_pk_fma_f16 v76, v11, v76, v9
	ds_load_b128 v[8:11], v52 offset:672
	s_wait_dscnt 0x0
	v_lshrrev_b32_e32 v102, 16, v8
	v_lshrrev_b32_e32 v103, 16, v9
	;; [unrolled: 1-line block ×4, first 2 shown]
	v_and_b32_e32 v106, 0xffff, v8
	v_and_b32_e32 v107, 0xffff, v9
	;; [unrolled: 1-line block ×4, first 2 shown]
	ds_load_b128 v[8:11], v52 offset:688
	v_mul_u32_u24_e32 v102, 0x10001, v102
	v_mul_u32_u24_e32 v106, 0x10001, v106
	s_wait_dscnt 0x0
	v_lshrrev_b32_e32 v110, 16, v8
	v_lshrrev_b32_e32 v111, 16, v9
	;; [unrolled: 1-line block ×4, first 2 shown]
	v_and_b32_e32 v114, 0xffff, v8
	v_and_b32_e32 v115, 0xffff, v9
	;; [unrolled: 1-line block ×4, first 2 shown]
	ds_load_2addr_b64 v[8:11], v59 offset0:64 offset1:96
	s_wait_dscnt 0x0
	v_pk_fma_f16 v63, v8, v102, v63
	v_pk_fma_f16 v70, v9, v102, v70
	v_mul_u32_u24_e32 v102, 0x10001, v107
	v_pk_fma_f16 v62, v8, v106, v62
	v_pk_fma_f16 v69, v9, v106, v69
	s_delay_alu instid0(VALU_DEP_3) | instskip(SKIP_2) | instid1(VALU_DEP_1)
	v_pk_fma_f16 v64, v8, v102, v64
	v_pk_fma_f16 v71, v9, v102, v71
	v_mul_u32_u24_e32 v102, 0x10001, v103
	v_pk_fma_f16 v65, v8, v102, v65
	v_pk_fma_f16 v72, v9, v102, v72
	v_mul_u32_u24_e32 v102, 0x10001, v108
	s_delay_alu instid0(VALU_DEP_1) | instskip(SKIP_2) | instid1(VALU_DEP_1)
	v_pk_fma_f16 v66, v8, v102, v66
	v_pk_fma_f16 v73, v9, v102, v73
	v_mul_u32_u24_e32 v102, 0x10001, v104
	v_pk_fma_f16 v67, v8, v102, v67
	v_pk_fma_f16 v74, v9, v102, v74
	v_mul_u32_u24_e32 v102, 0x10001, v109
	s_delay_alu instid0(VALU_DEP_1) | instskip(SKIP_2) | instid1(VALU_DEP_1)
	v_pk_fma_f16 v68, v8, v102, v68
	v_pk_fma_f16 v75, v9, v102, v75
	v_mul_u32_u24_e32 v102, 0x10001, v105
	v_pk_fma_f16 v9, v9, v102, v76
	v_mul_u32_u24_e32 v76, 0x10001, v114
	v_pk_fma_f16 v8, v8, v102, v77
	s_delay_alu instid0(VALU_DEP_2) | instskip(SKIP_2) | instid1(VALU_DEP_1)
	v_pk_fma_f16 v62, v10, v76, v62
	v_pk_fma_f16 v69, v11, v76, v69
	v_mul_u32_u24_e32 v76, 0x10001, v110
	v_pk_fma_f16 v63, v10, v76, v63
	v_pk_fma_f16 v70, v11, v76, v70
	v_mul_u32_u24_e32 v76, 0x10001, v115
	s_delay_alu instid0(VALU_DEP_1) | instskip(SKIP_2) | instid1(VALU_DEP_1)
	v_pk_fma_f16 v64, v10, v76, v64
	v_pk_fma_f16 v71, v11, v76, v71
	v_mul_u32_u24_e32 v76, 0x10001, v111
	v_pk_fma_f16 v65, v10, v76, v65
	v_pk_fma_f16 v72, v11, v76, v72
	v_mul_u32_u24_e32 v76, 0x10001, v116
	s_delay_alu instid0(VALU_DEP_1) | instskip(SKIP_2) | instid1(VALU_DEP_1)
	;; [unrolled: 7-line block ×3, first 2 shown]
	v_pk_fma_f16 v68, v10, v76, v68
	v_pk_fma_f16 v75, v11, v76, v75
	v_mul_u32_u24_e32 v76, 0x10001, v113
	v_pk_fma_f16 v77, v10, v76, v8
	v_pk_fma_f16 v76, v11, v76, v9
	ds_load_b128 v[8:11], v52 offset:704
	s_wait_dscnt 0x0
	v_lshrrev_b32_e32 v102, 16, v8
	v_lshrrev_b32_e32 v103, 16, v9
	;; [unrolled: 1-line block ×4, first 2 shown]
	v_and_b32_e32 v106, 0xffff, v8
	v_and_b32_e32 v107, 0xffff, v9
	v_and_b32_e32 v108, 0xffff, v10
	v_and_b32_e32 v109, 0xffff, v11
	ds_load_b128 v[8:11], v52 offset:720
	v_mul_u32_u24_e32 v102, 0x10001, v102
	v_mul_u32_u24_e32 v106, 0x10001, v106
	s_wait_dscnt 0x0
	v_lshrrev_b32_e32 v110, 16, v8
	v_lshrrev_b32_e32 v111, 16, v9
	;; [unrolled: 1-line block ×4, first 2 shown]
	v_and_b32_e32 v114, 0xffff, v8
	v_and_b32_e32 v115, 0xffff, v9
	;; [unrolled: 1-line block ×4, first 2 shown]
	ds_load_2addr_b64 v[8:11], v59 offset0:128 offset1:160
	s_wait_dscnt 0x0
	v_pk_fma_f16 v63, v8, v102, v63
	v_pk_fma_f16 v70, v9, v102, v70
	v_mul_u32_u24_e32 v102, 0x10001, v107
	v_pk_fma_f16 v62, v8, v106, v62
	v_pk_fma_f16 v69, v9, v106, v69
	s_delay_alu instid0(VALU_DEP_3) | instskip(SKIP_2) | instid1(VALU_DEP_1)
	v_pk_fma_f16 v64, v8, v102, v64
	v_pk_fma_f16 v71, v9, v102, v71
	v_mul_u32_u24_e32 v102, 0x10001, v103
	v_pk_fma_f16 v65, v8, v102, v65
	v_pk_fma_f16 v72, v9, v102, v72
	v_mul_u32_u24_e32 v102, 0x10001, v108
	s_delay_alu instid0(VALU_DEP_1) | instskip(SKIP_2) | instid1(VALU_DEP_1)
	v_pk_fma_f16 v66, v8, v102, v66
	v_pk_fma_f16 v73, v9, v102, v73
	v_mul_u32_u24_e32 v102, 0x10001, v104
	v_pk_fma_f16 v67, v8, v102, v67
	v_pk_fma_f16 v74, v9, v102, v74
	v_mul_u32_u24_e32 v102, 0x10001, v109
	s_delay_alu instid0(VALU_DEP_1) | instskip(SKIP_2) | instid1(VALU_DEP_1)
	v_pk_fma_f16 v68, v8, v102, v68
	v_pk_fma_f16 v75, v9, v102, v75
	v_mul_u32_u24_e32 v102, 0x10001, v105
	v_pk_fma_f16 v9, v9, v102, v76
	v_mul_u32_u24_e32 v76, 0x10001, v114
	v_pk_fma_f16 v8, v8, v102, v77
	s_delay_alu instid0(VALU_DEP_2) | instskip(SKIP_2) | instid1(VALU_DEP_1)
	v_pk_fma_f16 v62, v10, v76, v62
	v_pk_fma_f16 v69, v11, v76, v69
	v_mul_u32_u24_e32 v76, 0x10001, v110
	v_pk_fma_f16 v63, v10, v76, v63
	v_pk_fma_f16 v70, v11, v76, v70
	v_mul_u32_u24_e32 v76, 0x10001, v115
	s_delay_alu instid0(VALU_DEP_1) | instskip(SKIP_2) | instid1(VALU_DEP_1)
	v_pk_fma_f16 v64, v10, v76, v64
	v_pk_fma_f16 v71, v11, v76, v71
	v_mul_u32_u24_e32 v76, 0x10001, v111
	v_pk_fma_f16 v65, v10, v76, v65
	v_pk_fma_f16 v72, v11, v76, v72
	v_mul_u32_u24_e32 v76, 0x10001, v116
	s_delay_alu instid0(VALU_DEP_1) | instskip(SKIP_2) | instid1(VALU_DEP_1)
	;; [unrolled: 7-line block ×3, first 2 shown]
	v_pk_fma_f16 v68, v10, v76, v68
	v_pk_fma_f16 v75, v11, v76, v75
	v_mul_u32_u24_e32 v76, 0x10001, v113
	v_pk_fma_f16 v77, v10, v76, v8
	v_pk_fma_f16 v76, v11, v76, v9
	ds_load_b128 v[8:11], v52 offset:736
	s_wait_dscnt 0x0
	v_lshrrev_b32_e32 v102, 16, v8
	v_lshrrev_b32_e32 v103, 16, v9
	;; [unrolled: 1-line block ×4, first 2 shown]
	v_and_b32_e32 v106, 0xffff, v8
	v_and_b32_e32 v107, 0xffff, v9
	;; [unrolled: 1-line block ×4, first 2 shown]
	ds_load_b128 v[8:11], v52 offset:752
	v_mul_u32_u24_e32 v102, 0x10001, v102
	v_mul_u32_u24_e32 v106, 0x10001, v106
	s_wait_dscnt 0x0
	v_lshrrev_b32_e32 v110, 16, v8
	v_lshrrev_b32_e32 v111, 16, v9
	;; [unrolled: 1-line block ×4, first 2 shown]
	v_and_b32_e32 v114, 0xffff, v8
	v_and_b32_e32 v115, 0xffff, v9
	;; [unrolled: 1-line block ×4, first 2 shown]
	ds_load_2addr_b64 v[8:11], v59 offset0:192 offset1:224
	s_wait_dscnt 0x0
	v_pk_fma_f16 v63, v8, v102, v63
	v_pk_fma_f16 v70, v9, v102, v70
	v_mul_u32_u24_e32 v102, 0x10001, v107
	v_pk_fma_f16 v62, v8, v106, v62
	v_pk_fma_f16 v69, v9, v106, v69
	s_delay_alu instid0(VALU_DEP_3) | instskip(SKIP_2) | instid1(VALU_DEP_1)
	v_pk_fma_f16 v64, v8, v102, v64
	v_pk_fma_f16 v71, v9, v102, v71
	v_mul_u32_u24_e32 v102, 0x10001, v103
	v_pk_fma_f16 v65, v8, v102, v65
	v_pk_fma_f16 v72, v9, v102, v72
	v_mul_u32_u24_e32 v102, 0x10001, v108
	s_delay_alu instid0(VALU_DEP_1) | instskip(SKIP_2) | instid1(VALU_DEP_1)
	v_pk_fma_f16 v66, v8, v102, v66
	v_pk_fma_f16 v73, v9, v102, v73
	v_mul_u32_u24_e32 v102, 0x10001, v104
	v_pk_fma_f16 v67, v8, v102, v67
	v_pk_fma_f16 v74, v9, v102, v74
	v_mul_u32_u24_e32 v102, 0x10001, v109
	s_delay_alu instid0(VALU_DEP_1) | instskip(SKIP_2) | instid1(VALU_DEP_1)
	v_pk_fma_f16 v68, v8, v102, v68
	v_pk_fma_f16 v75, v9, v102, v75
	v_mul_u32_u24_e32 v102, 0x10001, v105
	v_pk_fma_f16 v9, v9, v102, v76
	v_mul_u32_u24_e32 v76, 0x10001, v114
	v_pk_fma_f16 v8, v8, v102, v77
	s_delay_alu instid0(VALU_DEP_2) | instskip(SKIP_2) | instid1(VALU_DEP_1)
	v_pk_fma_f16 v62, v10, v76, v62
	v_pk_fma_f16 v69, v11, v76, v69
	v_mul_u32_u24_e32 v76, 0x10001, v110
	v_pk_fma_f16 v63, v10, v76, v63
	v_pk_fma_f16 v70, v11, v76, v70
	v_mul_u32_u24_e32 v76, 0x10001, v115
	s_delay_alu instid0(VALU_DEP_1) | instskip(SKIP_2) | instid1(VALU_DEP_1)
	v_pk_fma_f16 v64, v10, v76, v64
	v_pk_fma_f16 v71, v11, v76, v71
	v_mul_u32_u24_e32 v76, 0x10001, v111
	v_pk_fma_f16 v65, v10, v76, v65
	v_pk_fma_f16 v72, v11, v76, v72
	v_mul_u32_u24_e32 v76, 0x10001, v116
	s_delay_alu instid0(VALU_DEP_1) | instskip(SKIP_2) | instid1(VALU_DEP_1)
	;; [unrolled: 7-line block ×3, first 2 shown]
	v_pk_fma_f16 v68, v10, v76, v68
	v_pk_fma_f16 v75, v11, v76, v75
	v_mul_u32_u24_e32 v76, 0x10001, v113
	v_pk_fma_f16 v77, v10, v76, v8
	v_pk_fma_f16 v76, v11, v76, v9
	ds_load_b128 v[8:11], v52 offset:768
	s_wait_dscnt 0x0
	v_lshrrev_b32_e32 v102, 16, v8
	v_lshrrev_b32_e32 v103, 16, v9
	;; [unrolled: 1-line block ×4, first 2 shown]
	v_and_b32_e32 v106, 0xffff, v8
	v_and_b32_e32 v107, 0xffff, v9
	;; [unrolled: 1-line block ×4, first 2 shown]
	ds_load_b128 v[8:11], v52 offset:784
	v_mul_u32_u24_e32 v102, 0x10001, v102
	v_mul_u32_u24_e32 v106, 0x10001, v106
	s_wait_dscnt 0x0
	v_lshrrev_b32_e32 v110, 16, v8
	v_lshrrev_b32_e32 v111, 16, v9
	v_lshrrev_b32_e32 v112, 16, v10
	v_lshrrev_b32_e32 v113, 16, v11
	v_and_b32_e32 v114, 0xffff, v8
	v_and_b32_e32 v115, 0xffff, v9
	;; [unrolled: 1-line block ×4, first 2 shown]
	ds_load_2addr_b64 v[8:11], v60 offset1:32
	s_wait_dscnt 0x0
	v_pk_fma_f16 v63, v8, v102, v63
	v_pk_fma_f16 v70, v9, v102, v70
	v_mul_u32_u24_e32 v102, 0x10001, v107
	v_pk_fma_f16 v62, v8, v106, v62
	v_pk_fma_f16 v69, v9, v106, v69
	s_delay_alu instid0(VALU_DEP_3) | instskip(SKIP_2) | instid1(VALU_DEP_1)
	v_pk_fma_f16 v64, v8, v102, v64
	v_pk_fma_f16 v71, v9, v102, v71
	v_mul_u32_u24_e32 v102, 0x10001, v103
	v_pk_fma_f16 v65, v8, v102, v65
	v_pk_fma_f16 v72, v9, v102, v72
	v_mul_u32_u24_e32 v102, 0x10001, v108
	s_delay_alu instid0(VALU_DEP_1) | instskip(SKIP_2) | instid1(VALU_DEP_1)
	v_pk_fma_f16 v66, v8, v102, v66
	v_pk_fma_f16 v73, v9, v102, v73
	v_mul_u32_u24_e32 v102, 0x10001, v104
	v_pk_fma_f16 v67, v8, v102, v67
	v_pk_fma_f16 v74, v9, v102, v74
	v_mul_u32_u24_e32 v102, 0x10001, v109
	s_delay_alu instid0(VALU_DEP_1) | instskip(SKIP_2) | instid1(VALU_DEP_1)
	v_pk_fma_f16 v68, v8, v102, v68
	v_pk_fma_f16 v75, v9, v102, v75
	v_mul_u32_u24_e32 v102, 0x10001, v105
	v_pk_fma_f16 v9, v9, v102, v76
	v_mul_u32_u24_e32 v76, 0x10001, v114
	v_pk_fma_f16 v8, v8, v102, v77
	s_delay_alu instid0(VALU_DEP_2) | instskip(SKIP_2) | instid1(VALU_DEP_1)
	v_pk_fma_f16 v62, v10, v76, v62
	v_pk_fma_f16 v69, v11, v76, v69
	v_mul_u32_u24_e32 v76, 0x10001, v110
	v_pk_fma_f16 v63, v10, v76, v63
	v_pk_fma_f16 v70, v11, v76, v70
	v_mul_u32_u24_e32 v76, 0x10001, v115
	s_delay_alu instid0(VALU_DEP_1) | instskip(SKIP_2) | instid1(VALU_DEP_1)
	v_pk_fma_f16 v64, v10, v76, v64
	v_pk_fma_f16 v71, v11, v76, v71
	v_mul_u32_u24_e32 v76, 0x10001, v111
	v_pk_fma_f16 v65, v10, v76, v65
	v_pk_fma_f16 v72, v11, v76, v72
	v_mul_u32_u24_e32 v76, 0x10001, v116
	s_delay_alu instid0(VALU_DEP_1) | instskip(SKIP_2) | instid1(VALU_DEP_1)
	;; [unrolled: 7-line block ×3, first 2 shown]
	v_pk_fma_f16 v68, v10, v76, v68
	v_pk_fma_f16 v75, v11, v76, v75
	v_mul_u32_u24_e32 v76, 0x10001, v113
	v_pk_fma_f16 v77, v10, v76, v8
	v_pk_fma_f16 v76, v11, v76, v9
	ds_load_b128 v[8:11], v52 offset:800
	s_wait_dscnt 0x0
	v_lshrrev_b32_e32 v102, 16, v8
	v_lshrrev_b32_e32 v103, 16, v9
	;; [unrolled: 1-line block ×4, first 2 shown]
	v_and_b32_e32 v106, 0xffff, v8
	v_and_b32_e32 v107, 0xffff, v9
	;; [unrolled: 1-line block ×4, first 2 shown]
	ds_load_b128 v[8:11], v52 offset:816
	v_mul_u32_u24_e32 v102, 0x10001, v102
	v_mul_u32_u24_e32 v106, 0x10001, v106
	s_wait_dscnt 0x0
	v_lshrrev_b32_e32 v110, 16, v8
	v_lshrrev_b32_e32 v111, 16, v9
	;; [unrolled: 1-line block ×4, first 2 shown]
	v_and_b32_e32 v114, 0xffff, v8
	v_and_b32_e32 v115, 0xffff, v9
	;; [unrolled: 1-line block ×4, first 2 shown]
	ds_load_2addr_b64 v[8:11], v60 offset0:64 offset1:96
	s_wait_dscnt 0x0
	v_pk_fma_f16 v63, v8, v102, v63
	v_pk_fma_f16 v70, v9, v102, v70
	v_mul_u32_u24_e32 v102, 0x10001, v107
	v_pk_fma_f16 v62, v8, v106, v62
	v_pk_fma_f16 v69, v9, v106, v69
	s_delay_alu instid0(VALU_DEP_3) | instskip(SKIP_2) | instid1(VALU_DEP_1)
	v_pk_fma_f16 v64, v8, v102, v64
	v_pk_fma_f16 v71, v9, v102, v71
	v_mul_u32_u24_e32 v102, 0x10001, v103
	v_pk_fma_f16 v65, v8, v102, v65
	v_pk_fma_f16 v72, v9, v102, v72
	v_mul_u32_u24_e32 v102, 0x10001, v108
	s_delay_alu instid0(VALU_DEP_1) | instskip(SKIP_2) | instid1(VALU_DEP_1)
	v_pk_fma_f16 v66, v8, v102, v66
	v_pk_fma_f16 v73, v9, v102, v73
	v_mul_u32_u24_e32 v102, 0x10001, v104
	v_pk_fma_f16 v67, v8, v102, v67
	v_pk_fma_f16 v74, v9, v102, v74
	v_mul_u32_u24_e32 v102, 0x10001, v109
	s_delay_alu instid0(VALU_DEP_1) | instskip(SKIP_2) | instid1(VALU_DEP_1)
	v_pk_fma_f16 v68, v8, v102, v68
	v_pk_fma_f16 v75, v9, v102, v75
	v_mul_u32_u24_e32 v102, 0x10001, v105
	v_pk_fma_f16 v9, v9, v102, v76
	v_mul_u32_u24_e32 v76, 0x10001, v114
	v_pk_fma_f16 v8, v8, v102, v77
	s_delay_alu instid0(VALU_DEP_2) | instskip(SKIP_2) | instid1(VALU_DEP_1)
	v_pk_fma_f16 v62, v10, v76, v62
	v_pk_fma_f16 v69, v11, v76, v69
	v_mul_u32_u24_e32 v76, 0x10001, v110
	v_pk_fma_f16 v63, v10, v76, v63
	v_pk_fma_f16 v70, v11, v76, v70
	v_mul_u32_u24_e32 v76, 0x10001, v115
	s_delay_alu instid0(VALU_DEP_1) | instskip(SKIP_2) | instid1(VALU_DEP_1)
	v_pk_fma_f16 v64, v10, v76, v64
	v_pk_fma_f16 v71, v11, v76, v71
	v_mul_u32_u24_e32 v76, 0x10001, v111
	v_pk_fma_f16 v65, v10, v76, v65
	v_pk_fma_f16 v72, v11, v76, v72
	v_mul_u32_u24_e32 v76, 0x10001, v116
	s_delay_alu instid0(VALU_DEP_1) | instskip(SKIP_2) | instid1(VALU_DEP_1)
	;; [unrolled: 7-line block ×3, first 2 shown]
	v_pk_fma_f16 v68, v10, v76, v68
	v_pk_fma_f16 v75, v11, v76, v75
	v_mul_u32_u24_e32 v76, 0x10001, v113
	v_pk_fma_f16 v77, v10, v76, v8
	v_pk_fma_f16 v76, v11, v76, v9
	ds_load_b128 v[8:11], v52 offset:832
	s_wait_dscnt 0x0
	v_lshrrev_b32_e32 v102, 16, v8
	v_lshrrev_b32_e32 v103, 16, v9
	;; [unrolled: 1-line block ×4, first 2 shown]
	v_and_b32_e32 v106, 0xffff, v8
	v_and_b32_e32 v107, 0xffff, v9
	;; [unrolled: 1-line block ×4, first 2 shown]
	ds_load_b128 v[8:11], v52 offset:848
	v_mul_u32_u24_e32 v102, 0x10001, v102
	v_mul_u32_u24_e32 v106, 0x10001, v106
	s_wait_dscnt 0x0
	v_lshrrev_b32_e32 v110, 16, v8
	v_lshrrev_b32_e32 v111, 16, v9
	;; [unrolled: 1-line block ×4, first 2 shown]
	v_and_b32_e32 v114, 0xffff, v8
	v_and_b32_e32 v115, 0xffff, v9
	;; [unrolled: 1-line block ×4, first 2 shown]
	ds_load_2addr_b64 v[8:11], v60 offset0:128 offset1:160
	s_wait_dscnt 0x0
	v_pk_fma_f16 v63, v8, v102, v63
	v_pk_fma_f16 v70, v9, v102, v70
	v_mul_u32_u24_e32 v102, 0x10001, v107
	v_pk_fma_f16 v62, v8, v106, v62
	v_pk_fma_f16 v69, v9, v106, v69
	s_delay_alu instid0(VALU_DEP_3) | instskip(SKIP_2) | instid1(VALU_DEP_1)
	v_pk_fma_f16 v64, v8, v102, v64
	v_pk_fma_f16 v71, v9, v102, v71
	v_mul_u32_u24_e32 v102, 0x10001, v103
	v_pk_fma_f16 v65, v8, v102, v65
	v_pk_fma_f16 v72, v9, v102, v72
	v_mul_u32_u24_e32 v102, 0x10001, v108
	s_delay_alu instid0(VALU_DEP_1) | instskip(SKIP_2) | instid1(VALU_DEP_1)
	v_pk_fma_f16 v66, v8, v102, v66
	v_pk_fma_f16 v73, v9, v102, v73
	v_mul_u32_u24_e32 v102, 0x10001, v104
	v_pk_fma_f16 v67, v8, v102, v67
	v_pk_fma_f16 v74, v9, v102, v74
	v_mul_u32_u24_e32 v102, 0x10001, v109
	s_delay_alu instid0(VALU_DEP_1) | instskip(SKIP_2) | instid1(VALU_DEP_1)
	v_pk_fma_f16 v68, v8, v102, v68
	v_pk_fma_f16 v75, v9, v102, v75
	v_mul_u32_u24_e32 v102, 0x10001, v105
	v_pk_fma_f16 v9, v9, v102, v76
	v_mul_u32_u24_e32 v76, 0x10001, v114
	v_pk_fma_f16 v8, v8, v102, v77
	s_delay_alu instid0(VALU_DEP_2) | instskip(SKIP_2) | instid1(VALU_DEP_1)
	v_pk_fma_f16 v62, v10, v76, v62
	v_pk_fma_f16 v69, v11, v76, v69
	v_mul_u32_u24_e32 v76, 0x10001, v110
	v_pk_fma_f16 v63, v10, v76, v63
	v_pk_fma_f16 v70, v11, v76, v70
	v_mul_u32_u24_e32 v76, 0x10001, v115
	s_delay_alu instid0(VALU_DEP_1) | instskip(SKIP_2) | instid1(VALU_DEP_1)
	v_pk_fma_f16 v64, v10, v76, v64
	v_pk_fma_f16 v71, v11, v76, v71
	v_mul_u32_u24_e32 v76, 0x10001, v111
	v_pk_fma_f16 v65, v10, v76, v65
	v_pk_fma_f16 v72, v11, v76, v72
	v_mul_u32_u24_e32 v76, 0x10001, v116
	s_delay_alu instid0(VALU_DEP_1) | instskip(SKIP_2) | instid1(VALU_DEP_1)
	;; [unrolled: 7-line block ×3, first 2 shown]
	v_pk_fma_f16 v68, v10, v76, v68
	v_pk_fma_f16 v75, v11, v76, v75
	v_mul_u32_u24_e32 v76, 0x10001, v113
	v_pk_fma_f16 v77, v10, v76, v8
	v_pk_fma_f16 v76, v11, v76, v9
	ds_load_b128 v[8:11], v52 offset:864
	s_wait_dscnt 0x0
	v_lshrrev_b32_e32 v102, 16, v8
	v_lshrrev_b32_e32 v103, 16, v9
	;; [unrolled: 1-line block ×4, first 2 shown]
	v_and_b32_e32 v106, 0xffff, v8
	v_and_b32_e32 v107, 0xffff, v9
	;; [unrolled: 1-line block ×4, first 2 shown]
	ds_load_b128 v[8:11], v52 offset:880
	v_mul_u32_u24_e32 v102, 0x10001, v102
	v_mul_u32_u24_e32 v106, 0x10001, v106
	s_wait_dscnt 0x0
	v_lshrrev_b32_e32 v110, 16, v8
	v_lshrrev_b32_e32 v111, 16, v9
	;; [unrolled: 1-line block ×4, first 2 shown]
	v_and_b32_e32 v114, 0xffff, v8
	v_and_b32_e32 v115, 0xffff, v9
	;; [unrolled: 1-line block ×4, first 2 shown]
	ds_load_2addr_b64 v[8:11], v60 offset0:192 offset1:224
	s_wait_dscnt 0x0
	v_pk_fma_f16 v63, v8, v102, v63
	v_pk_fma_f16 v70, v9, v102, v70
	v_mul_u32_u24_e32 v102, 0x10001, v107
	v_pk_fma_f16 v62, v8, v106, v62
	v_pk_fma_f16 v69, v9, v106, v69
	s_delay_alu instid0(VALU_DEP_3) | instskip(SKIP_2) | instid1(VALU_DEP_1)
	v_pk_fma_f16 v64, v8, v102, v64
	v_pk_fma_f16 v71, v9, v102, v71
	v_mul_u32_u24_e32 v102, 0x10001, v103
	v_pk_fma_f16 v65, v8, v102, v65
	v_pk_fma_f16 v72, v9, v102, v72
	v_mul_u32_u24_e32 v102, 0x10001, v108
	s_delay_alu instid0(VALU_DEP_1) | instskip(SKIP_2) | instid1(VALU_DEP_1)
	v_pk_fma_f16 v66, v8, v102, v66
	v_pk_fma_f16 v73, v9, v102, v73
	v_mul_u32_u24_e32 v102, 0x10001, v104
	v_pk_fma_f16 v67, v8, v102, v67
	v_pk_fma_f16 v74, v9, v102, v74
	v_mul_u32_u24_e32 v102, 0x10001, v109
	s_delay_alu instid0(VALU_DEP_1) | instskip(SKIP_2) | instid1(VALU_DEP_1)
	v_pk_fma_f16 v68, v8, v102, v68
	v_pk_fma_f16 v75, v9, v102, v75
	v_mul_u32_u24_e32 v102, 0x10001, v105
	v_pk_fma_f16 v9, v9, v102, v76
	v_mul_u32_u24_e32 v76, 0x10001, v114
	v_pk_fma_f16 v8, v8, v102, v77
	s_delay_alu instid0(VALU_DEP_2) | instskip(SKIP_2) | instid1(VALU_DEP_1)
	v_pk_fma_f16 v62, v10, v76, v62
	v_pk_fma_f16 v69, v11, v76, v69
	v_mul_u32_u24_e32 v76, 0x10001, v110
	v_pk_fma_f16 v63, v10, v76, v63
	v_pk_fma_f16 v70, v11, v76, v70
	v_mul_u32_u24_e32 v76, 0x10001, v115
	s_delay_alu instid0(VALU_DEP_1) | instskip(SKIP_2) | instid1(VALU_DEP_1)
	v_pk_fma_f16 v64, v10, v76, v64
	v_pk_fma_f16 v71, v11, v76, v71
	v_mul_u32_u24_e32 v76, 0x10001, v111
	v_pk_fma_f16 v65, v10, v76, v65
	v_pk_fma_f16 v72, v11, v76, v72
	v_mul_u32_u24_e32 v76, 0x10001, v116
	s_delay_alu instid0(VALU_DEP_1) | instskip(SKIP_2) | instid1(VALU_DEP_1)
	;; [unrolled: 7-line block ×3, first 2 shown]
	v_pk_fma_f16 v68, v10, v76, v68
	v_pk_fma_f16 v75, v11, v76, v75
	v_mul_u32_u24_e32 v76, 0x10001, v113
	v_pk_fma_f16 v77, v10, v76, v8
	v_pk_fma_f16 v76, v11, v76, v9
	ds_load_b128 v[8:11], v52 offset:896
	s_wait_dscnt 0x0
	v_lshrrev_b32_e32 v102, 16, v8
	v_lshrrev_b32_e32 v103, 16, v9
	;; [unrolled: 1-line block ×4, first 2 shown]
	v_and_b32_e32 v106, 0xffff, v8
	v_and_b32_e32 v107, 0xffff, v9
	;; [unrolled: 1-line block ×4, first 2 shown]
	ds_load_b128 v[8:11], v52 offset:912
	v_mul_u32_u24_e32 v102, 0x10001, v102
	v_mul_u32_u24_e32 v106, 0x10001, v106
	s_wait_dscnt 0x0
	v_lshrrev_b32_e32 v110, 16, v8
	v_lshrrev_b32_e32 v111, 16, v9
	;; [unrolled: 1-line block ×4, first 2 shown]
	v_and_b32_e32 v114, 0xffff, v8
	v_and_b32_e32 v115, 0xffff, v9
	;; [unrolled: 1-line block ×4, first 2 shown]
	ds_load_2addr_b64 v[8:11], v61 offset1:32
	s_wait_dscnt 0x0
	v_pk_fma_f16 v63, v8, v102, v63
	v_pk_fma_f16 v70, v9, v102, v70
	v_mul_u32_u24_e32 v102, 0x10001, v107
	v_pk_fma_f16 v62, v8, v106, v62
	v_pk_fma_f16 v69, v9, v106, v69
	s_delay_alu instid0(VALU_DEP_3) | instskip(SKIP_2) | instid1(VALU_DEP_1)
	v_pk_fma_f16 v64, v8, v102, v64
	v_pk_fma_f16 v71, v9, v102, v71
	v_mul_u32_u24_e32 v102, 0x10001, v103
	v_pk_fma_f16 v65, v8, v102, v65
	v_pk_fma_f16 v72, v9, v102, v72
	v_mul_u32_u24_e32 v102, 0x10001, v108
	s_delay_alu instid0(VALU_DEP_1) | instskip(SKIP_2) | instid1(VALU_DEP_1)
	v_pk_fma_f16 v66, v8, v102, v66
	v_pk_fma_f16 v73, v9, v102, v73
	v_mul_u32_u24_e32 v102, 0x10001, v104
	v_pk_fma_f16 v67, v8, v102, v67
	v_pk_fma_f16 v74, v9, v102, v74
	v_mul_u32_u24_e32 v102, 0x10001, v109
	s_delay_alu instid0(VALU_DEP_1) | instskip(SKIP_2) | instid1(VALU_DEP_1)
	v_pk_fma_f16 v68, v8, v102, v68
	v_pk_fma_f16 v75, v9, v102, v75
	v_mul_u32_u24_e32 v102, 0x10001, v105
	v_pk_fma_f16 v9, v9, v102, v76
	v_mul_u32_u24_e32 v76, 0x10001, v114
	v_pk_fma_f16 v8, v8, v102, v77
	s_delay_alu instid0(VALU_DEP_2) | instskip(SKIP_2) | instid1(VALU_DEP_1)
	v_pk_fma_f16 v62, v10, v76, v62
	v_pk_fma_f16 v69, v11, v76, v69
	v_mul_u32_u24_e32 v76, 0x10001, v110
	v_pk_fma_f16 v63, v10, v76, v63
	v_pk_fma_f16 v70, v11, v76, v70
	v_mul_u32_u24_e32 v76, 0x10001, v115
	s_delay_alu instid0(VALU_DEP_1) | instskip(SKIP_2) | instid1(VALU_DEP_1)
	v_pk_fma_f16 v64, v10, v76, v64
	v_pk_fma_f16 v71, v11, v76, v71
	v_mul_u32_u24_e32 v76, 0x10001, v111
	v_pk_fma_f16 v65, v10, v76, v65
	v_pk_fma_f16 v72, v11, v76, v72
	v_mul_u32_u24_e32 v76, 0x10001, v116
	s_delay_alu instid0(VALU_DEP_1) | instskip(SKIP_2) | instid1(VALU_DEP_1)
	;; [unrolled: 7-line block ×3, first 2 shown]
	v_pk_fma_f16 v68, v10, v76, v68
	v_pk_fma_f16 v75, v11, v76, v75
	v_mul_u32_u24_e32 v76, 0x10001, v113
	v_pk_fma_f16 v77, v10, v76, v8
	v_pk_fma_f16 v76, v11, v76, v9
	ds_load_b128 v[8:11], v52 offset:928
	s_wait_dscnt 0x0
	v_lshrrev_b32_e32 v102, 16, v8
	v_lshrrev_b32_e32 v103, 16, v9
	;; [unrolled: 1-line block ×4, first 2 shown]
	v_and_b32_e32 v106, 0xffff, v8
	v_and_b32_e32 v107, 0xffff, v9
	;; [unrolled: 1-line block ×4, first 2 shown]
	ds_load_b128 v[8:11], v52 offset:944
	v_mul_u32_u24_e32 v102, 0x10001, v102
	v_mul_u32_u24_e32 v106, 0x10001, v106
	s_wait_dscnt 0x0
	v_lshrrev_b32_e32 v110, 16, v8
	v_lshrrev_b32_e32 v111, 16, v9
	;; [unrolled: 1-line block ×4, first 2 shown]
	v_and_b32_e32 v114, 0xffff, v8
	v_and_b32_e32 v115, 0xffff, v9
	;; [unrolled: 1-line block ×4, first 2 shown]
	ds_load_2addr_b64 v[8:11], v61 offset0:64 offset1:96
	s_wait_dscnt 0x0
	v_pk_fma_f16 v63, v8, v102, v63
	v_pk_fma_f16 v70, v9, v102, v70
	v_mul_u32_u24_e32 v102, 0x10001, v107
	v_pk_fma_f16 v62, v8, v106, v62
	v_pk_fma_f16 v69, v9, v106, v69
	s_delay_alu instid0(VALU_DEP_3) | instskip(SKIP_2) | instid1(VALU_DEP_1)
	v_pk_fma_f16 v64, v8, v102, v64
	v_pk_fma_f16 v71, v9, v102, v71
	v_mul_u32_u24_e32 v102, 0x10001, v103
	v_pk_fma_f16 v65, v8, v102, v65
	v_pk_fma_f16 v72, v9, v102, v72
	v_mul_u32_u24_e32 v102, 0x10001, v108
	s_delay_alu instid0(VALU_DEP_1) | instskip(SKIP_2) | instid1(VALU_DEP_1)
	v_pk_fma_f16 v66, v8, v102, v66
	v_pk_fma_f16 v73, v9, v102, v73
	v_mul_u32_u24_e32 v102, 0x10001, v104
	v_pk_fma_f16 v67, v8, v102, v67
	v_pk_fma_f16 v74, v9, v102, v74
	v_mul_u32_u24_e32 v102, 0x10001, v109
	s_delay_alu instid0(VALU_DEP_1) | instskip(SKIP_2) | instid1(VALU_DEP_1)
	v_pk_fma_f16 v68, v8, v102, v68
	v_pk_fma_f16 v75, v9, v102, v75
	v_mul_u32_u24_e32 v102, 0x10001, v105
	v_pk_fma_f16 v9, v9, v102, v76
	v_mul_u32_u24_e32 v76, 0x10001, v114
	v_pk_fma_f16 v8, v8, v102, v77
	s_delay_alu instid0(VALU_DEP_2) | instskip(SKIP_2) | instid1(VALU_DEP_1)
	v_pk_fma_f16 v62, v10, v76, v62
	v_pk_fma_f16 v69, v11, v76, v69
	v_mul_u32_u24_e32 v76, 0x10001, v110
	v_pk_fma_f16 v63, v10, v76, v63
	v_pk_fma_f16 v70, v11, v76, v70
	v_mul_u32_u24_e32 v76, 0x10001, v115
	s_delay_alu instid0(VALU_DEP_1) | instskip(SKIP_2) | instid1(VALU_DEP_1)
	v_pk_fma_f16 v64, v10, v76, v64
	v_pk_fma_f16 v71, v11, v76, v71
	v_mul_u32_u24_e32 v76, 0x10001, v111
	v_pk_fma_f16 v65, v10, v76, v65
	v_pk_fma_f16 v72, v11, v76, v72
	v_mul_u32_u24_e32 v76, 0x10001, v116
	s_delay_alu instid0(VALU_DEP_1) | instskip(SKIP_2) | instid1(VALU_DEP_1)
	;; [unrolled: 7-line block ×3, first 2 shown]
	v_pk_fma_f16 v68, v10, v76, v68
	v_pk_fma_f16 v75, v11, v76, v75
	v_mul_u32_u24_e32 v76, 0x10001, v113
	v_pk_fma_f16 v77, v10, v76, v8
	v_pk_fma_f16 v76, v11, v76, v9
	ds_load_b128 v[8:11], v52 offset:960
	s_wait_dscnt 0x0
	v_lshrrev_b32_e32 v102, 16, v8
	v_lshrrev_b32_e32 v103, 16, v9
	;; [unrolled: 1-line block ×4, first 2 shown]
	v_and_b32_e32 v106, 0xffff, v8
	v_and_b32_e32 v107, 0xffff, v9
	;; [unrolled: 1-line block ×4, first 2 shown]
	ds_load_b128 v[8:11], v52 offset:976
	v_mul_u32_u24_e32 v102, 0x10001, v102
	v_mul_u32_u24_e32 v106, 0x10001, v106
	s_wait_dscnt 0x0
	v_lshrrev_b32_e32 v110, 16, v8
	v_lshrrev_b32_e32 v111, 16, v9
	;; [unrolled: 1-line block ×4, first 2 shown]
	v_and_b32_e32 v114, 0xffff, v8
	v_and_b32_e32 v115, 0xffff, v9
	;; [unrolled: 1-line block ×4, first 2 shown]
	ds_load_2addr_b64 v[8:11], v61 offset0:128 offset1:160
	s_wait_dscnt 0x0
	v_pk_fma_f16 v63, v8, v102, v63
	v_pk_fma_f16 v70, v9, v102, v70
	v_mul_u32_u24_e32 v102, 0x10001, v107
	v_pk_fma_f16 v62, v8, v106, v62
	v_pk_fma_f16 v69, v9, v106, v69
	s_delay_alu instid0(VALU_DEP_3) | instskip(SKIP_2) | instid1(VALU_DEP_1)
	v_pk_fma_f16 v64, v8, v102, v64
	v_pk_fma_f16 v71, v9, v102, v71
	v_mul_u32_u24_e32 v102, 0x10001, v103
	v_pk_fma_f16 v65, v8, v102, v65
	v_pk_fma_f16 v72, v9, v102, v72
	v_mul_u32_u24_e32 v102, 0x10001, v108
	s_delay_alu instid0(VALU_DEP_1) | instskip(SKIP_2) | instid1(VALU_DEP_1)
	v_pk_fma_f16 v66, v8, v102, v66
	v_pk_fma_f16 v73, v9, v102, v73
	v_mul_u32_u24_e32 v102, 0x10001, v104
	v_pk_fma_f16 v67, v8, v102, v67
	v_pk_fma_f16 v74, v9, v102, v74
	v_mul_u32_u24_e32 v102, 0x10001, v109
	s_delay_alu instid0(VALU_DEP_1) | instskip(SKIP_2) | instid1(VALU_DEP_1)
	v_pk_fma_f16 v68, v8, v102, v68
	v_pk_fma_f16 v75, v9, v102, v75
	v_mul_u32_u24_e32 v102, 0x10001, v105
	v_pk_fma_f16 v9, v9, v102, v76
	v_mul_u32_u24_e32 v76, 0x10001, v114
	v_pk_fma_f16 v8, v8, v102, v77
	s_delay_alu instid0(VALU_DEP_2) | instskip(SKIP_2) | instid1(VALU_DEP_1)
	v_pk_fma_f16 v62, v10, v76, v62
	v_pk_fma_f16 v69, v11, v76, v69
	v_mul_u32_u24_e32 v76, 0x10001, v110
	v_pk_fma_f16 v63, v10, v76, v63
	v_pk_fma_f16 v70, v11, v76, v70
	v_mul_u32_u24_e32 v76, 0x10001, v115
	s_delay_alu instid0(VALU_DEP_1) | instskip(SKIP_2) | instid1(VALU_DEP_1)
	v_pk_fma_f16 v64, v10, v76, v64
	v_pk_fma_f16 v71, v11, v76, v71
	v_mul_u32_u24_e32 v76, 0x10001, v111
	v_pk_fma_f16 v65, v10, v76, v65
	v_pk_fma_f16 v72, v11, v76, v72
	v_mul_u32_u24_e32 v76, 0x10001, v116
	s_delay_alu instid0(VALU_DEP_1) | instskip(SKIP_2) | instid1(VALU_DEP_1)
	;; [unrolled: 7-line block ×3, first 2 shown]
	v_pk_fma_f16 v68, v10, v76, v68
	v_pk_fma_f16 v75, v11, v76, v75
	v_mul_u32_u24_e32 v76, 0x10001, v113
	v_pk_fma_f16 v77, v10, v76, v8
	v_pk_fma_f16 v76, v11, v76, v9
	ds_load_b128 v[8:11], v52 offset:992
	s_wait_dscnt 0x0
	v_lshrrev_b32_e32 v102, 16, v8
	v_lshrrev_b32_e32 v103, 16, v9
	;; [unrolled: 1-line block ×4, first 2 shown]
	v_and_b32_e32 v106, 0xffff, v8
	v_and_b32_e32 v107, 0xffff, v9
	;; [unrolled: 1-line block ×4, first 2 shown]
	ds_load_b128 v[8:11], v52 offset:1008
	v_mul_u32_u24_e32 v102, 0x10001, v102
	v_mul_u32_u24_e32 v106, 0x10001, v106
	s_wait_dscnt 0x0
	v_lshrrev_b32_e32 v110, 16, v8
	v_lshrrev_b32_e32 v111, 16, v9
	;; [unrolled: 1-line block ×4, first 2 shown]
	v_and_b32_e32 v114, 0xffff, v8
	v_and_b32_e32 v115, 0xffff, v9
	;; [unrolled: 1-line block ×4, first 2 shown]
	ds_load_2addr_b64 v[8:11], v61 offset0:192 offset1:224
	s_wait_loadcnt_dscnt 0x0
	s_barrier_signal -1
	s_barrier_wait -1
	global_inv scope:SCOPE_SE
	s_load_b32 s2, s[28:29], 0x4
	v_pk_fma_f16 v63, v8, v102, v63
	v_pk_fma_f16 v70, v9, v102, v70
	v_mul_u32_u24_e32 v102, 0x10001, v107
	v_pk_fma_f16 v62, v8, v106, v62
	v_pk_fma_f16 v69, v9, v106, v69
	s_wait_kmcnt 0x0
	s_lshl_b32 s2, s2, 6
	v_pk_fma_f16 v64, v8, v102, v64
	v_pk_fma_f16 v71, v9, v102, v71
	v_mul_u32_u24_e32 v102, 0x10001, v103
	s_wait_alu 0xfffe
	s_add_co_i32 s22, s2, s22
	s_wait_alu 0xfffe
	s_cmp_ge_i32 s22, s38
	v_pk_fma_f16 v65, v8, v102, v65
	v_pk_fma_f16 v102, v9, v102, v72
	v_mul_u32_u24_e32 v72, 0x10001, v108
	s_delay_alu instid0(VALU_DEP_1) | instskip(SKIP_2) | instid1(VALU_DEP_1)
	v_pk_fma_f16 v66, v8, v72, v66
	v_pk_fma_f16 v103, v9, v72, v73
	v_mul_u32_u24_e32 v72, 0x10001, v104
	v_pk_fma_f16 v67, v8, v72, v67
	v_pk_fma_f16 v104, v9, v72, v74
	v_mul_u32_u24_e32 v72, 0x10001, v109
	s_delay_alu instid0(VALU_DEP_1) | instskip(SKIP_2) | instid1(VALU_DEP_2)
	v_pk_fma_f16 v106, v8, v72, v68
	v_mul_u32_u24_e32 v68, 0x10001, v105
	v_pk_fma_f16 v107, v9, v72, v75
	v_pk_fma_f16 v8, v8, v68, v77
	;; [unrolled: 1-line block ×3, first 2 shown]
	v_mul_u32_u24_e32 v68, 0x10001, v114
	s_delay_alu instid0(VALU_DEP_1) | instskip(SKIP_2) | instid1(VALU_DEP_2)
	v_pk_fma_f16 v76, v10, v68, v62
	v_mul_u32_u24_e32 v62, 0x10001, v110
	v_pk_fma_f16 v77, v11, v68, v69
	v_pk_fma_f16 v75, v10, v62, v63
	;; [unrolled: 1-line block ×3, first 2 shown]
	v_mul_u32_u24_e32 v62, 0x10001, v115
	s_delay_alu instid0(VALU_DEP_1) | instskip(SKIP_2) | instid1(VALU_DEP_1)
	v_pk_fma_f16 v73, v10, v62, v64
	v_pk_fma_f16 v72, v11, v62, v71
	v_mul_u32_u24_e32 v62, 0x10001, v111
	v_pk_fma_f16 v71, v10, v62, v65
	v_pk_fma_f16 v70, v11, v62, v102
	v_mul_u32_u24_e32 v62, 0x10001, v116
	s_delay_alu instid0(VALU_DEP_1) | instskip(SKIP_2) | instid1(VALU_DEP_1)
	v_pk_fma_f16 v69, v10, v62, v66
	v_pk_fma_f16 v68, v11, v62, v103
	v_mul_u32_u24_e32 v62, 0x10001, v112
	v_pk_fma_f16 v67, v10, v62, v67
	v_pk_fma_f16 v66, v11, v62, v104
	v_mul_u32_u24_e32 v62, 0x10001, v117
	s_delay_alu instid0(VALU_DEP_1) | instskip(SKIP_2) | instid1(VALU_DEP_1)
	v_pk_fma_f16 v65, v10, v62, v106
	v_pk_fma_f16 v64, v11, v62, v107
	v_mul_u32_u24_e32 v62, 0x10001, v113
	v_pk_fma_f16 v63, v10, v62, v8
	v_mov_b32_e32 v8, v46
	v_add_f32_e32 v46, v85, v93
	v_pk_fma_f16 v62, v11, v62, v9
	s_delay_alu instid0(VALU_DEP_2) | instskip(SKIP_1) | instid1(VALU_DEP_1)
	v_dual_mov_b32 v9, v38 :: v_dual_fmac_f32 v46, v8, v94
	v_dual_mov_b32 v8, v45 :: v_dual_add_f32 v45, v84, v92
	v_fmac_f32_e32 v45, v8, v95
	v_mov_b32_e32 v8, v44
	v_add_f32_e32 v44, v83, v91
	s_delay_alu instid0(VALU_DEP_1) | instskip(SKIP_1) | instid1(VALU_DEP_1)
	v_fmac_f32_e32 v44, v8, v96
	v_dual_mov_b32 v8, v43 :: v_dual_add_f32 v43, v82, v90
	v_dual_fmac_f32 v43, v8, v97 :: v_dual_mov_b32 v8, v42
	v_add_f32_e32 v42, v80, v88
	s_delay_alu instid0(VALU_DEP_1) | instskip(SKIP_2) | instid1(VALU_DEP_1)
	v_fmac_f32_e32 v42, v8, v98
	v_mov_b32_e32 v8, v41
	v_add_f32_e32 v41, v81, v89
	v_fmac_f32_e32 v41, v8, v99
	v_mov_b32_e32 v8, v40
	v_add_f32_e32 v40, v78, v87
	s_delay_alu instid0(VALU_DEP_1) | instskip(SKIP_1) | instid1(VALU_DEP_1)
	v_fmac_f32_e32 v40, v8, v100
	v_add_f32_e32 v8, v79, v86
	v_mov_b32_e32 v38, v8
	s_delay_alu instid0(VALU_DEP_1)
	v_fmac_f32_e32 v38, v9, v101
	s_cbranch_scc0 .LBB17_9
; %bb.10:
	v_dual_mov_b32 v8, 32 :: v_dual_mov_b32 v9, v36
.LBB17_11:
	s_delay_alu instid0(VALU_DEP_1)
	v_cmp_lt_i32_e32 vcc_lo, v39, v8
	s_cmp_lg_u64 s[20:21], 0
	s_cselect_b32 s2, -1, 0
	s_cmp_eq_u32 s18, 0
	s_wait_alu 0xfffd
	v_cndmask_b32_e32 v10, v9, v39, vcc_lo
	v_cmp_lt_i32_e32 vcc_lo, v37, v8
	s_cselect_b32 s3, -1, 0
	s_wait_alu 0xfffe
	s_and_b32 s2, s3, s2
	v_lshlrev_b32_e32 v10, 2, v10
	ds_bpermute_b32 v11, v10, v46
	s_wait_dscnt 0x0
	v_add_f32_e32 v11, v46, v11
	ds_bpermute_b32 v13, v10, v44
	ds_bpermute_b32 v15, v10, v42
	;; [unrolled: 1-line block ×5, first 2 shown]
	s_wait_alu 0xfffd
	v_cndmask_b32_e32 v18, v9, v37, vcc_lo
	ds_bpermute_b32 v16, v10, v41
	ds_bpermute_b32 v10, v10, v38
	v_cmp_lt_i32_e32 vcc_lo, v23, v8
	s_wait_alu 0xfffd
	v_cndmask_b32_e32 v23, v9, v23, vcc_lo
	v_cmp_lt_i32_e32 vcc_lo, v22, v8
	s_delay_alu instid0(VALU_DEP_2)
	v_lshlrev_b32_e32 v23, 2, v23
	s_wait_dscnt 0x6
	v_add_f32_e32 v13, v44, v13
	s_wait_dscnt 0x5
	v_dual_add_f32 v15, v42, v15 :: v_dual_lshlrev_b32 v18, 2, v18
	s_wait_dscnt 0x3
	v_dual_add_f32 v17, v40, v17 :: v_dual_add_f32 v12, v45, v12
	s_wait_dscnt 0x2
	v_add_f32_e32 v14, v43, v14
	ds_bpermute_b32 v19, v18, v11
	ds_bpermute_b32 v36, v18, v13
	s_wait_dscnt 0x3
	v_add_f32_e32 v16, v41, v16
	s_wait_dscnt 0x2
	v_add_f32_e32 v10, v38, v10
	ds_bpermute_b32 v20, v18, v12
	ds_bpermute_b32 v38, v18, v15
	;; [unrolled: 1-line block ×4, first 2 shown]
	s_wait_dscnt 0x5
	v_add_f32_e32 v11, v11, v19
	ds_bpermute_b32 v39, v18, v16
	s_wait_dscnt 0x5
	v_add_f32_e32 v13, v13, v36
	ds_bpermute_b32 v18, v18, v10
	s_wait_dscnt 0x4
	v_dual_add_f32 v12, v12, v20 :: v_dual_add_f32 v15, v15, v38
	s_wait_dscnt 0x2
	v_dual_add_f32 v14, v14, v37 :: v_dual_add_f32 v17, v17, v40
	ds_bpermute_b32 v20, v23, v13
	ds_bpermute_b32 v19, v23, v12
	;; [unrolled: 1-line block ×3, first 2 shown]
	s_wait_alu 0xfffd
	v_cndmask_b32_e32 v22, v9, v22, vcc_lo
	ds_bpermute_b32 v36, v23, v14
	v_cmp_lt_i32_e32 vcc_lo, v21, v8
	s_wait_dscnt 0x4
	v_add_f32_e32 v10, v10, v18
	ds_bpermute_b32 v18, v23, v11
	v_add_f32_e32 v16, v16, v39
	ds_bpermute_b32 v39, v23, v17
	s_wait_dscnt 0x5
	v_add_f32_e32 v13, v13, v20
	s_wait_dscnt 0x3
	v_dual_add_f32 v15, v15, v37 :: v_dual_lshlrev_b32 v22, 2, v22
	s_wait_dscnt 0x1
	v_add_f32_e32 v11, v11, v18
	ds_bpermute_b32 v38, v23, v16
	ds_bpermute_b32 v23, v23, v10
	s_wait_dscnt 0x2
	v_add_f32_e32 v17, v17, v39
	ds_bpermute_b32 v20, v22, v13
	ds_bpermute_b32 v18, v22, v11
	v_add_f32_e32 v12, v12, v19
	s_wait_dscnt 0x2
	v_add_f32_e32 v10, v10, v23
	s_wait_alu 0xfffd
	v_cndmask_b32_e32 v8, v9, v21, vcc_lo
	s_wait_alu 0xfffe
	s_and_b32 vcc_lo, exec_lo, s2
	s_wait_dscnt 0x0
	v_add_f32_e32 v9, v11, v18
	ds_bpermute_b32 v19, v22, v12
	v_add_f32_e32 v14, v14, v36
	ds_bpermute_b32 v36, v22, v15
	s_wait_dscnt 0x1
	v_add_f32_e32 v11, v12, v19
	ds_bpermute_b32 v23, v22, v14
	v_add_f32_e32 v16, v16, v38
	v_add_f32_e32 v12, v13, v20
	ds_bpermute_b32 v38, v22, v17
	s_wait_dscnt 0x1
	v_add_f32_e32 v13, v14, v23
	ds_bpermute_b32 v37, v22, v16
	s_wait_dscnt 0x0
	v_dual_add_f32 v14, v15, v36 :: v_dual_add_f32 v15, v16, v37
	ds_bpermute_b32 v22, v22, v10
	v_add_f32_e32 v16, v17, v38
	s_wait_dscnt 0x0
	v_dual_add_f32 v17, v10, v22 :: v_dual_lshlrev_b32 v8, 2, v8
	ds_bpermute_b32 v10, v8, v9
	ds_bpermute_b32 v18, v8, v11
	;; [unrolled: 1-line block ×8, first 2 shown]
	s_wait_dscnt 0x7
	v_add_f32_e32 v8, v9, v10
	s_wait_dscnt 0x6
	v_add_f32_e32 v9, v11, v18
	;; [unrolled: 2-line block ×3, first 2 shown]
	s_wait_dscnt 0x2
	v_dual_add_f32 v13, v15, v22 :: v_dual_add_f32 v10, v12, v19
	s_wait_dscnt 0x0
	v_dual_add_f32 v15, v17, v36 :: v_dual_add_f32 v12, v14, v21
	v_add_f32_e32 v14, v16, v23
	s_wait_alu 0xfffe
	s_cbranch_vccz .LBB17_14
; %bb.12:
	s_ashr_i32 s35, s34, 31
	v_dual_mov_b32 v16, 0 :: v_dual_max_num_f32 v17, v1, v1
	s_lshl_b64 s[2:3], s[34:35], 2
	v_dual_max_num_f32 v18, v2, v2 :: v_dual_max_num_f32 v21, v5, v5
	s_wait_alu 0xfffe
	s_add_nc_u64 s[2:3], s[20:21], s[2:3]
	v_max_num_f32_e32 v19, v3, v3
	global_load_b128 v[36:39], v16, s[2:3]
	v_max_num_f32_e32 v16, v0, v0
	v_max_num_f32_e32 v22, v6, v6
	v_dual_max_num_f32 v20, v4, v4 :: v_dual_max_num_f32 v43, v7, v7
	s_wait_loadcnt 0x0
	v_dual_max_num_f32 v40, v37, v37 :: v_dual_max_num_f32 v23, v36, v36
	v_dual_max_num_f32 v41, v38, v38 :: v_dual_max_num_f32 v42, v39, v39
	s_delay_alu instid0(VALU_DEP_2) | instskip(NEXT) | instid1(VALU_DEP_2)
	v_dual_max_num_f32 v17, v17, v40 :: v_dual_max_num_f32 v16, v16, v23
	v_dual_max_num_f32 v18, v18, v41 :: v_dual_max_num_f32 v21, v21, v40
	s_delay_alu instid0(VALU_DEP_3) | instskip(SKIP_1) | instid1(VALU_DEP_4)
	v_dual_max_num_f32 v19, v19, v42 :: v_dual_max_num_f32 v20, v20, v23
	v_dual_max_num_f32 v23, v43, v42 :: v_dual_max_num_f32 v22, v22, v41
	v_sub_f32_e32 v41, v36, v16
	v_dual_sub_f32 v40, v0, v16 :: v_dual_sub_f32 v43, v37, v17
	v_dual_sub_f32 v42, v1, v17 :: v_dual_sub_f32 v45, v38, v18
	;; [unrolled: 1-line block ×7, first 2 shown]
	v_dual_mov_b32 v0, v16 :: v_dual_mov_b32 v3, v19
	v_dual_sub_f32 v38, v38, v22 :: v_dual_mov_b32 v1, v17
	v_dual_mov_b32 v2, v18 :: v_dual_mov_b32 v5, v21
	v_dual_mov_b32 v4, v20 :: v_dual_mov_b32 v7, v23
	v_dual_mov_b32 v6, v22 :: v_dual_mul_f32 v17, 0x3fb8aa3b, v41
	v_dual_mul_f32 v16, 0x3fb8aa3b, v40 :: v_dual_mul_f32 v19, 0x3fb8aa3b, v43
	v_dual_mul_f32 v18, 0x3fb8aa3b, v42 :: v_dual_mul_f32 v21, 0x3fb8aa3b, v45
	s_delay_alu instid0(VALU_DEP_3) | instskip(NEXT) | instid1(VALU_DEP_3)
	v_fma_f32 v78, 0x3fb8aa3b, v41, -v17
	v_fma_f32 v60, 0x3fb8aa3b, v40, -v16
	v_rndne_f32_e32 v61, v16
	v_rndne_f32_e32 v79, v17
	;; [unrolled: 1-line block ×3, first 2 shown]
	v_dual_mul_f32 v20, 0x3fb8aa3b, v44 :: v_dual_mul_f32 v23, 0x3fb8aa3b, v47
	s_delay_alu instid0(VALU_DEP_3)
	v_dual_fmac_f32 v60, 0x32a5705f, v40 :: v_dual_sub_f32 v17, v17, v79
	v_sub_f32_e32 v16, v16, v61
	v_dual_mul_f32 v22, 0x3fb8aa3b, v46 :: v_dual_mul_f32 v53, 0x3fb8aa3b, v36
	v_dual_mul_f32 v56, 0x3fb8aa3b, v50 :: v_dual_mul_f32 v59, 0x3fb8aa3b, v39
	v_fma_f32 v80, 0x3fb8aa3b, v42, -v18
	v_rndne_f32_e32 v81, v18
	v_fma_f32 v82, 0x3fb8aa3b, v43, -v19
	v_rndne_f32_e32 v87, v21
	v_dual_fmac_f32 v78, 0x32a5705f, v41 :: v_dual_sub_f32 v19, v19, v83
	v_add_f32_e32 v16, v16, v60
	v_fma_f32 v86, 0x3fb8aa3b, v45, -v21
	v_rndne_f32_e32 v91, v23
	v_rndne_f32_e32 v95, v53
	;; [unrolled: 1-line block ×3, first 2 shown]
	v_fmac_f32_e32 v80, 0x32a5705f, v42
	v_dual_sub_f32 v18, v18, v81 :: v_dual_sub_f32 v21, v21, v87
	v_dual_mul_f32 v58, 0x3fb8aa3b, v51 :: v_dual_add_f32 v17, v17, v78
	v_exp_f32_e32 v16, v16
	v_dual_mul_f32 v52, 0x3fb8aa3b, v48 :: v_dual_mul_f32 v55, 0x3fb8aa3b, v37
	v_dual_mul_f32 v54, 0x3fb8aa3b, v49 :: v_dual_mul_f32 v57, 0x3fb8aa3b, v38
	v_fma_f32 v84, 0x3fb8aa3b, v44, -v20
	v_rndne_f32_e32 v85, v20
	v_rndne_f32_e32 v89, v22
	v_fma_f32 v90, 0x3fb8aa3b, v47, -v23
	v_fma_f32 v94, 0x3fb8aa3b, v36, -v53
	;; [unrolled: 1-line block ×3, first 2 shown]
	v_cvt_i32_f32_e32 v61, v61
	v_dual_fmac_f32 v86, 0x32a5705f, v45 :: v_dual_sub_f32 v59, v59, v107
	v_fmac_f32_e32 v82, 0x32a5705f, v43
	v_sub_f32_e32 v23, v23, v91
	v_dual_sub_f32 v53, v53, v95 :: v_dual_add_f32 v18, v18, v80
	v_exp_f32_e32 v17, v17
	v_fma_f32 v88, 0x3fb8aa3b, v46, -v22
	v_rndne_f32_e32 v99, v55
	v_rndne_f32_e32 v103, v57
	v_cvt_i32_f32_e32 v79, v79
	v_fmac_f32_e32 v84, 0x32a5705f, v44
	v_dual_sub_f32 v20, v20, v85 :: v_dual_add_f32 v21, v21, v86
	v_dual_sub_f32 v22, v22, v89 :: v_dual_add_f32 v19, v19, v82
	v_exp_f32_e32 v18, v18
	v_ldexp_f32 v16, v16, v61
	v_cmp_ngt_f32_e32 vcc_lo, 0xc2ce8ed0, v40
	v_fma_f32 v98, 0x3fb8aa3b, v37, -v55
	v_fma_f32 v102, 0x3fb8aa3b, v38, -v57
	v_cvt_i32_f32_e32 v81, v81
	v_sub_f32_e32 v55, v55, v99
	v_dual_sub_f32 v57, v57, v103 :: v_dual_add_f32 v20, v20, v84
	v_exp_f32_e32 v19, v19
	v_ldexp_f32 v17, v17, v79
	s_wait_alu 0xfffd
	v_cndmask_b32_e32 v16, 0, v16, vcc_lo
	v_cmp_ngt_f32_e32 vcc_lo, 0xc2ce8ed0, v41
	v_cvt_i32_f32_e32 v83, v83
	v_fmac_f32_e32 v88, 0x32a5705f, v46
	v_fmac_f32_e32 v102, 0x32a5705f, v38
	v_exp_f32_e32 v20, v20
	v_ldexp_f32 v18, v18, v81
	s_wait_alu 0xfffd
	v_cndmask_b32_e32 v17, 0, v17, vcc_lo
	v_cmp_ngt_f32_e32 vcc_lo, 0xc2ce8ed0, v42
	v_fma_f32 v92, 0x3fb8aa3b, v48, -v52
	v_rndne_f32_e32 v97, v54
	v_cvt_i32_f32_e32 v85, v85
	v_dual_fmac_f32 v94, 0x32a5705f, v36 :: v_dual_add_f32 v57, v57, v102
	v_fmac_f32_e32 v90, 0x32a5705f, v47
	v_add_f32_e32 v22, v22, v88
	v_exp_f32_e32 v21, v21
	v_ldexp_f32 v19, v19, v83
	s_wait_alu 0xfffd
	v_cndmask_b32_e32 v18, 0, v18, vcc_lo
	v_cmp_ngt_f32_e32 vcc_lo, 0xc2ce8ed0, v43
	v_fma_f32 v96, 0x3fb8aa3b, v49, -v54
	v_cvt_i32_f32_e32 v87, v87
	v_dual_sub_f32 v54, v54, v97 :: v_dual_add_f32 v53, v53, v94
	v_dual_fmac_f32 v92, 0x32a5705f, v48 :: v_dual_add_f32 v23, v23, v90
	v_exp_f32_e32 v22, v22
	v_ldexp_f32 v20, v20, v85
	s_wait_alu 0xfffd
	v_cndmask_b32_e32 v19, 0, v19, vcc_lo
	v_cmp_ngt_f32_e32 vcc_lo, 0xc2ce8ed0, v44
	v_fma_f32 v100, 0x3fb8aa3b, v50, -v56
	v_cvt_i32_f32_e32 v89, v89
	v_exp_f32_e32 v23, v23
	v_ldexp_f32 v21, v21, v87
	s_wait_alu 0xfffd
	v_cndmask_b32_e32 v20, 0, v20, vcc_lo
	v_cmp_ngt_f32_e32 vcc_lo, 0xc2ce8ed0, v45
	v_cvt_i32_f32_e32 v91, v91
	v_fmac_f32_e32 v100, 0x32a5705f, v50
	v_ldexp_f32 v22, v22, v89
	v_rndne_f32_e32 v93, v52
	s_wait_alu 0xfffd
	v_cndmask_b32_e32 v21, 0, v21, vcc_lo
	v_cmp_ngt_f32_e32 vcc_lo, 0xc2ce8ed0, v46
	v_ldexp_f32 v23, v23, v91
	v_fmac_f32_e32 v106, 0x32a5705f, v39
	v_fmac_f32_e32 v96, 0x32a5705f, v49
	v_exp_f32_e32 v53, v53
	s_wait_alu 0xfffd
	v_cndmask_b32_e32 v22, 0, v22, vcc_lo
	v_cmp_ngt_f32_e32 vcc_lo, 0xc2ce8ed0, v47
	v_dual_fmac_f32 v98, 0x32a5705f, v37 :: v_dual_add_f32 v59, v59, v106
	v_add_f32_e32 v54, v54, v96
	v_cvt_i32_f32_e32 v95, v95
	s_wait_alu 0xfffd
	v_dual_cndmask_b32 v23, 0, v23 :: v_dual_sub_f32 v52, v52, v93
	v_add_f32_e32 v55, v55, v98
	v_cvt_i32_f32_e32 v93, v93
	v_exp_f32_e32 v54, v54
	v_cmp_ngt_f32_e32 vcc_lo, 0xc2ce8ed0, v48
	v_add_f32_e32 v52, v52, v92
	v_cvt_i32_f32_e32 v97, v97
	v_exp_f32_e32 v55, v55
	v_ldexp_f32 v53, v53, v95
	v_rndne_f32_e32 v101, v56
	v_exp_f32_e32 v52, v52
	v_cvt_i32_f32_e32 v99, v99
	v_exp_f32_e32 v57, v57
	v_ldexp_f32 v54, v54, v97
	v_exp_f32_e32 v59, v59
	v_fma_f32 v104, 0x3fb8aa3b, v51, -v58
	v_rndne_f32_e32 v105, v58
	v_ldexp_f32 v55, v55, v99
	v_cvt_i32_f32_e32 v103, v103
	v_cvt_i32_f32_e32 v107, v107
	v_ldexp_f32 v52, v52, v93
	s_delay_alu instid0(TRANS32_DEP_2) | instid1(VALU_DEP_3)
	v_ldexp_f32 v57, v57, v103
	s_delay_alu instid0(TRANS32_DEP_1) | instid1(VALU_DEP_3)
	v_ldexp_f32 v59, v59, v107
	s_wait_alu 0xfffd
	s_delay_alu instid0(VALU_DEP_3)
	v_cndmask_b32_e32 v52, 0, v52, vcc_lo
	v_cmp_ngt_f32_e32 vcc_lo, 0xc2ce8ed0, v36
	v_sub_f32_e32 v58, v58, v105
	v_cvt_i32_f32_e32 v105, v105
	s_wait_alu 0xfffd
	v_cndmask_b32_e32 v53, 0, v53, vcc_lo
	v_cmp_ngt_f32_e32 vcc_lo, 0xc2ce8ed0, v49
	s_wait_alu 0xfffd
	v_cndmask_b32_e32 v54, 0, v54, vcc_lo
	v_cmp_ngt_f32_e32 vcc_lo, 0xc2ce8ed0, v37
	v_sub_f32_e32 v56, v56, v101
	v_cvt_i32_f32_e32 v101, v101
	s_wait_alu 0xfffd
	s_delay_alu instid0(VALU_DEP_2) | instskip(SKIP_1) | instid1(VALU_DEP_2)
	v_dual_cndmask_b32 v55, 0, v55 :: v_dual_add_f32 v56, v56, v100
	v_cmp_ngt_f32_e32 vcc_lo, 0xc2ce8ed0, v50
	v_exp_f32_e32 v56, v56
	s_delay_alu instid0(TRANS32_DEP_1) | instskip(SKIP_1) | instid1(VALU_DEP_1)
	v_ldexp_f32 v56, v56, v101
	s_wait_alu 0xfffd
	v_cndmask_b32_e32 v56, 0, v56, vcc_lo
	v_cmp_ngt_f32_e32 vcc_lo, 0xc2ce8ed0, v38
	s_wait_alu 0xfffd
	v_dual_fmac_f32 v104, 0x32a5705f, v51 :: v_dual_cndmask_b32 v57, 0, v57
	s_delay_alu instid0(VALU_DEP_1) | instskip(SKIP_1) | instid1(VALU_DEP_2)
	v_add_f32_e32 v58, v58, v104
	v_cmp_ngt_f32_e32 vcc_lo, 0xc2ce8ed0, v51
	v_exp_f32_e32 v58, v58
	s_delay_alu instid0(TRANS32_DEP_1) | instskip(SKIP_1) | instid1(VALU_DEP_1)
	v_ldexp_f32 v58, v58, v105
	s_wait_alu 0xfffd
	v_cndmask_b32_e32 v58, 0, v58, vcc_lo
	v_cmp_ngt_f32_e32 vcc_lo, 0xc2ce8ed0, v39
	s_wait_alu 0xfffd
	v_cndmask_b32_e32 v59, 0, v59, vcc_lo
	v_cmp_nlt_f32_e32 vcc_lo, 0x42b17218, v40
	s_wait_alu 0xfffd
	v_cndmask_b32_e32 v40, 0x7f800000, v16, vcc_lo
	v_cmp_nlt_f32_e32 vcc_lo, 0x42b17218, v41
	s_wait_alu 0xfffd
	v_cndmask_b32_e32 v16, 0x7f800000, v17, vcc_lo
	v_cmp_nlt_f32_e32 vcc_lo, 0x42b17218, v42
	s_wait_alu 0xfffd
	v_cndmask_b32_e32 v41, 0x7f800000, v18, vcc_lo
	v_cmp_nlt_f32_e32 vcc_lo, 0x42b17218, v43
	s_wait_alu 0xfffd
	v_cndmask_b32_e32 v17, 0x7f800000, v19, vcc_lo
	v_cmp_nlt_f32_e32 vcc_lo, 0x42b17218, v44
	s_wait_alu 0xfffd
	s_delay_alu instid0(VALU_DEP_2)
	v_dual_fmac_f32 v17, v9, v41 :: v_dual_cndmask_b32 v42, 0x7f800000, v20
	v_cmp_nlt_f32_e32 vcc_lo, 0x42b17218, v45
	v_cvt_f16_f32_e32 v9, v41
	s_wait_alu 0xfffd
	v_cndmask_b32_e32 v18, 0x7f800000, v21, vcc_lo
	v_cmp_nlt_f32_e32 vcc_lo, 0x42b17218, v46
	s_delay_alu instid0(VALU_DEP_2)
	v_fmac_f32_e32 v18, v10, v42
	s_wait_alu 0xfffd
	v_cndmask_b32_e32 v43, 0x7f800000, v22, vcc_lo
	v_cmp_nlt_f32_e32 vcc_lo, 0x42b17218, v47
	v_cvt_f16_f32_e32 v10, v42
	s_wait_alu 0xfffd
	v_cndmask_b32_e32 v19, 0x7f800000, v23, vcc_lo
	v_cmp_nlt_f32_e32 vcc_lo, 0x42b17218, v48
	s_wait_alu 0xfffd
	s_delay_alu instid0(VALU_DEP_2)
	v_dual_fmac_f32 v19, v11, v43 :: v_dual_cndmask_b32 v44, 0x7f800000, v52
	v_cmp_nlt_f32_e32 vcc_lo, 0x42b17218, v36
	v_cvt_f16_f32_e32 v11, v43
	s_wait_alu 0xfffd
	v_cndmask_b32_e32 v20, 0x7f800000, v53, vcc_lo
	v_cmp_nlt_f32_e32 vcc_lo, 0x42b17218, v49
	s_delay_alu instid0(VALU_DEP_2)
	v_fmac_f32_e32 v20, v12, v44
	s_wait_alu 0xfffd
	v_cndmask_b32_e32 v36, 0x7f800000, v54, vcc_lo
	v_cmp_nlt_f32_e32 vcc_lo, 0x42b17218, v37
	v_cvt_f16_f32_e32 v12, v44
	s_wait_alu 0xfffd
	v_cndmask_b32_e32 v21, 0x7f800000, v55, vcc_lo
	v_cmp_nlt_f32_e32 vcc_lo, 0x42b17218, v50
	s_delay_alu instid0(VALU_DEP_2)
	v_fmac_f32_e32 v21, v13, v36
	s_wait_alu 0xfffd
	v_cndmask_b32_e32 v37, 0x7f800000, v56, vcc_lo
	v_cmp_nlt_f32_e32 vcc_lo, 0x42b17218, v38
	v_cvt_f16_f32_e32 v13, v36
	s_wait_alu 0xfffd
	v_cndmask_b32_e32 v22, 0x7f800000, v57, vcc_lo
	v_cmp_nlt_f32_e32 vcc_lo, 0x42b17218, v51
	s_delay_alu instid0(VALU_DEP_3) | instskip(NEXT) | instid1(VALU_DEP_3)
	v_and_b32_e32 v41, 0xffff, v13
	v_dual_mov_b32 v13, v21 :: v_dual_fmac_f32 v22, v14, v37
	s_wait_alu 0xfffd
	v_cndmask_b32_e32 v38, 0x7f800000, v58, vcc_lo
	v_cmp_nlt_f32_e32 vcc_lo, 0x42b17218, v39
	v_cvt_f16_f32_e32 v14, v37
	v_and_b32_e32 v37, 0xffff, v9
	v_and_b32_e32 v39, 0xffff, v11
	v_mul_u32_u24_e32 v41, 0x10001, v41
	s_wait_alu 0xfffd
	v_cndmask_b32_e32 v23, 0x7f800000, v59, vcc_lo
	v_and_b32_e32 v42, 0xffff, v14
	v_mul_u32_u24_e32 v37, 0x10001, v37
	v_mul_u32_u24_e32 v39, 0x10001, v39
	v_mov_b32_e32 v9, v17
	v_fmac_f32_e32 v23, v15, v38
	v_cvt_f16_f32_e32 v15, v38
	v_and_b32_e32 v38, 0xffff, v10
	v_mul_u32_u24_e32 v42, 0x10001, v42
	v_dual_mov_b32 v10, v18 :: v_dual_mov_b32 v11, v19
	s_delay_alu instid0(VALU_DEP_4) | instskip(NEXT) | instid1(VALU_DEP_4)
	v_and_b32_e32 v15, 0xffff, v15
	v_mul_u32_u24_e32 v38, 0x10001, v38
	v_mov_b32_e32 v14, v22
	v_pk_mul_f16 v75, v75, v37
	v_pk_mul_f16 v74, v74, v37
	v_mul_u32_u24_e32 v15, 0x10001, v15
	v_pk_mul_f16 v73, v73, v38
	v_pk_mul_f16 v72, v72, v38
	;; [unrolled: 1-line block ×6, first 2 shown]
	v_dual_mov_b32 v15, v23 :: v_dual_fmac_f32 v16, v8, v40
	v_cvt_f16_f32_e32 v8, v40
	v_and_b32_e32 v40, 0xffff, v12
	v_mov_b32_e32 v12, v20
	v_pk_mul_f16 v67, v67, v41
	v_pk_mul_f16 v66, v66, v41
	v_and_b32_e32 v36, 0xffff, v8
	v_mul_u32_u24_e32 v40, 0x10001, v40
	v_mov_b32_e32 v8, v16
	v_pk_mul_f16 v65, v65, v42
	v_pk_mul_f16 v64, v64, v42
	v_mul_u32_u24_e32 v36, 0x10001, v36
	v_pk_mul_f16 v69, v69, v40
	v_pk_mul_f16 v68, v68, v40
	s_delay_alu instid0(VALU_DEP_3)
	v_pk_mul_f16 v76, v76, v36
	v_pk_mul_f16 v77, v77, v36
	s_mov_b32 s2, exec_lo
	v_cmpx_gt_i32_e64 s30, v25
	s_cbranch_execnz .LBB17_15
.LBB17_13:
	s_nop 0
	s_sendmsg sendmsg(MSG_DEALLOC_VGPRS)
	s_endpgm
.LBB17_14:
	s_delay_alu instid0(VALU_DEP_1)
	v_dual_mov_b32 v23, v15 :: v_dual_mov_b32 v22, v14
	v_dual_mov_b32 v21, v13 :: v_dual_mov_b32 v20, v12
	;; [unrolled: 1-line block ×4, first 2 shown]
	s_mov_b32 s2, exec_lo
	v_cmpx_gt_i32_e64 s30, v25
	s_cbranch_execz .LBB17_13
.LBB17_15:
	s_load_b32 s1, s[0:1], 0xd4
	v_mov_b32_e32 v37, 1.0
	s_wait_kmcnt 0x0
	s_cmp_lg_u32 s1, 1
	s_cselect_b32 s4, -1, 0
	s_cmp_eq_u32 s1, 1
	s_cselect_b32 s2, -1, 0
	s_wait_alu 0xfffe
	s_and_b32 vcc_lo, exec_lo, s4
	s_wait_alu 0xfffe
	s_cbranch_vccnz .LBB17_17
; %bb.16:
	v_div_scale_f32 v25, null, v8, v8, 1.0
	s_delay_alu instid0(VALU_DEP_1) | instskip(NEXT) | instid1(TRANS32_DEP_1)
	v_rcp_f32_e32 v36, v25
	v_fma_f32 v37, -v25, v36, 1.0
	s_delay_alu instid0(VALU_DEP_1) | instskip(SKIP_1) | instid1(VALU_DEP_1)
	v_fmac_f32_e32 v36, v37, v36
	v_div_scale_f32 v37, vcc_lo, 1.0, v8, 1.0
	v_mul_f32_e32 v38, v37, v36
	s_delay_alu instid0(VALU_DEP_1) | instskip(NEXT) | instid1(VALU_DEP_1)
	v_fma_f32 v39, -v25, v38, v37
	v_fmac_f32_e32 v38, v39, v36
	s_delay_alu instid0(VALU_DEP_1) | instskip(SKIP_1) | instid1(VALU_DEP_1)
	v_fma_f32 v25, -v25, v38, v37
	s_wait_alu 0xfffd
	v_div_fmas_f32 v25, v25, v36, v38
	s_delay_alu instid0(VALU_DEP_1)
	v_div_fixup_f32 v37, v25, v8, 1.0
.LBB17_17:
	s_mul_i32 s3, s36, s30
	v_cmp_eq_u32_e32 vcc_lo, 0, v35
	s_wait_alu 0xfffe
	s_add_co_i32 s3, s3, s19
	v_cvt_f32_f16_e32 v35, v76
	s_wait_alu 0xfffe
	v_dual_mov_b32 v39, 0 :: v_dual_add_nc_u32 v8, s3, v24
	v_cvt_f32_f16_e32 v40, v77
	s_and_b32 s5, vcc_lo, s4
	s_delay_alu instid0(VALU_DEP_2) | instskip(NEXT) | instid1(VALU_DEP_2)
	v_mul_lo_u32 v36, v8, s31
	v_mul_f32_e32 v40, v37, v40
	s_delay_alu instid0(VALU_DEP_2) | instskip(NEXT) | instid1(VALU_DEP_1)
	v_add_nc_u32_e32 v8, s34, v36
	v_mad_co_u64_u32 v[24:25], null, s1, v8, s[18:19]
	v_lshrrev_b32_e32 v8, 16, v76
	v_lshrrev_b32_e32 v25, 16, v77
	s_delay_alu instid0(VALU_DEP_2) | instskip(NEXT) | instid1(VALU_DEP_4)
	v_cvt_f32_f16_e32 v8, v8
	v_lshl_add_u32 v38, v24, 7, v33
	s_delay_alu instid0(VALU_DEP_3) | instskip(NEXT) | instid1(VALU_DEP_2)
	v_cvt_f32_f16_e32 v25, v25
	v_lshlrev_b64_e32 v[42:43], 2, v[38:39]
	v_mul_f32_e32 v38, v37, v35
	v_mul_f32_e32 v39, v37, v8
	s_delay_alu instid0(VALU_DEP_4) | instskip(NEXT) | instid1(VALU_DEP_4)
	v_mul_f32_e32 v41, v37, v25
	v_add_co_u32 v42, s0, s24, v42
	s_wait_alu 0xf1ff
	v_add_co_ci_u32_e64 v43, null, s25, v43, s0
	global_store_b128 v[42:43], v[38:41], off
	s_wait_alu 0xfffe
	s_and_saveexec_b32 s0, s5
	s_cbranch_execz .LBB17_19
; %bb.18:
	v_ashrrev_i32_e32 v25, 31, v24
	v_dual_mov_b32 v37, v0 :: v_dual_mov_b32 v38, v16
	s_delay_alu instid0(VALU_DEP_2) | instskip(NEXT) | instid1(VALU_DEP_1)
	v_lshlrev_b64_e32 v[24:25], 3, v[24:25]
	v_add_co_u32 v24, vcc_lo, s26, v24
	s_wait_alu 0xfffd
	s_delay_alu instid0(VALU_DEP_2)
	v_add_co_ci_u32_e64 v25, null, s27, v25, vcc_lo
	global_store_b64 v[24:25], v[37:38], off
.LBB17_19:
	s_wait_alu 0xfffe
	s_or_b32 exec_lo, exec_lo, s0
	v_cndmask_b32_e64 v24, 0, 1, s2
	v_mov_b32_e32 v0, 1.0
	s_and_not1_b32 vcc_lo, exec_lo, s2
	s_wait_alu 0xfffe
	s_cbranch_vccnz .LBB17_21
; %bb.20:
	v_div_scale_f32 v0, null, v9, v9, 1.0
	s_delay_alu instid0(VALU_DEP_1) | instskip(NEXT) | instid1(TRANS32_DEP_1)
	v_rcp_f32_e32 v8, v0
	v_fma_f32 v16, -v0, v8, 1.0
	s_delay_alu instid0(VALU_DEP_1) | instskip(SKIP_1) | instid1(VALU_DEP_1)
	v_fmac_f32_e32 v8, v16, v8
	v_div_scale_f32 v16, vcc_lo, 1.0, v9, 1.0
	v_mul_f32_e32 v25, v16, v8
	s_delay_alu instid0(VALU_DEP_1) | instskip(NEXT) | instid1(VALU_DEP_1)
	v_fma_f32 v35, -v0, v25, v16
	v_fmac_f32_e32 v25, v35, v8
	s_delay_alu instid0(VALU_DEP_1) | instskip(SKIP_1) | instid1(VALU_DEP_1)
	v_fma_f32 v0, -v0, v25, v16
	s_wait_alu 0xfffd
	v_div_fmas_f32 v0, v0, v8, v25
	s_delay_alu instid0(VALU_DEP_1)
	v_div_fixup_f32 v0, v0, v9, 1.0
.LBB17_21:
	s_add_co_i32 s4, s34, 1
	v_cvt_f32_f16_e32 v25, v75
	s_wait_alu 0xfffe
	v_add_nc_u32_e32 v8, s4, v36
	v_cvt_f32_f16_e32 v35, v74
	v_mov_b32_e32 v38, 0
	v_lshrrev_b32_e32 v16, 16, v74
	s_delay_alu instid0(VALU_DEP_4) | instskip(SKIP_2) | instid1(VALU_DEP_4)
	v_mad_co_u64_u32 v[8:9], null, s1, v8, s[18:19]
	v_lshrrev_b32_e32 v9, 16, v75
	v_mul_f32_e32 v39, v0, v35
	v_cvt_f32_f16_e32 v16, v16
	s_delay_alu instid0(VALU_DEP_3) | instskip(SKIP_1) | instid1(VALU_DEP_3)
	v_cvt_f32_f16_e32 v9, v9
	v_lshl_add_u32 v37, v8, 7, v33
	v_mul_f32_e32 v40, v0, v16
	s_delay_alu instid0(VALU_DEP_2) | instskip(SKIP_2) | instid1(VALU_DEP_3)
	v_lshlrev_b64_e32 v[41:42], 2, v[37:38]
	v_mul_f32_e32 v37, v0, v25
	v_mul_f32_e32 v38, v0, v9
	v_add_co_u32 v41, vcc_lo, s24, v41
	s_wait_alu 0xfffd
	s_delay_alu instid0(VALU_DEP_4)
	v_add_co_ci_u32_e64 v42, null, s25, v42, vcc_lo
	global_store_b128 v[41:42], v[37:40], off
	s_and_saveexec_b32 s0, s5
	s_cbranch_execz .LBB17_23
; %bb.22:
	v_ashrrev_i32_e32 v9, 31, v8
	v_mov_b32_e32 v16, v1
	s_delay_alu instid0(VALU_DEP_2) | instskip(NEXT) | instid1(VALU_DEP_1)
	v_lshlrev_b64_e32 v[8:9], 3, v[8:9]
	v_add_co_u32 v8, vcc_lo, s26, v8
	s_wait_alu 0xfffd
	s_delay_alu instid0(VALU_DEP_2)
	v_add_co_ci_u32_e64 v9, null, s27, v9, vcc_lo
	global_store_b64 v[8:9], v[16:17], off
.LBB17_23:
	s_wait_alu 0xfffe
	s_or_b32 exec_lo, exec_lo, s0
	v_cmp_ne_u32_e32 vcc_lo, 1, v24
	v_mov_b32_e32 v8, 1.0
	s_cbranch_vccnz .LBB17_25
; %bb.24:
	v_div_scale_f32 v0, null, v10, v10, 1.0
	s_delay_alu instid0(VALU_DEP_1) | instskip(NEXT) | instid1(TRANS32_DEP_1)
	v_rcp_f32_e32 v1, v0
	v_fma_f32 v8, -v0, v1, 1.0
	s_delay_alu instid0(VALU_DEP_1) | instskip(SKIP_1) | instid1(VALU_DEP_1)
	v_fmac_f32_e32 v1, v8, v1
	v_div_scale_f32 v8, vcc_lo, 1.0, v10, 1.0
	v_mul_f32_e32 v9, v8, v1
	s_delay_alu instid0(VALU_DEP_1) | instskip(NEXT) | instid1(VALU_DEP_1)
	v_fma_f32 v16, -v0, v9, v8
	v_fmac_f32_e32 v9, v16, v1
	s_delay_alu instid0(VALU_DEP_1) | instskip(SKIP_1) | instid1(VALU_DEP_1)
	v_fma_f32 v0, -v0, v9, v8
	s_wait_alu 0xfffd
	v_div_fmas_f32 v0, v0, v1, v9
	s_delay_alu instid0(VALU_DEP_1)
	v_div_fixup_f32 v8, v0, v10, 1.0
.LBB17_25:
	s_add_co_i32 s2, s34, 2
	v_cvt_f32_f16_e32 v17, v73
	s_wait_alu 0xfffe
	v_add_nc_u32_e32 v0, s2, v36
	v_cvt_f32_f16_e32 v25, v72
	v_mov_b32_e32 v10, 0
	v_lshrrev_b32_e32 v16, 16, v72
	v_mul_f32_e32 v37, v8, v17
	v_mad_co_u64_u32 v[0:1], null, s1, v0, s[18:19]
	v_lshrrev_b32_e32 v1, 16, v73
	v_mul_f32_e32 v39, v8, v25
	v_cvt_f32_f16_e32 v16, v16
	s_delay_alu instid0(VALU_DEP_3) | instskip(SKIP_1) | instid1(VALU_DEP_3)
	v_cvt_f32_f16_e32 v1, v1
	v_lshl_add_u32 v9, v0, 7, v33
	v_mul_f32_e32 v40, v8, v16
	s_delay_alu instid0(VALU_DEP_3) | instskip(NEXT) | instid1(VALU_DEP_3)
	v_mul_f32_e32 v38, v8, v1
	v_lshlrev_b64_e32 v[9:10], 2, v[9:10]
	s_delay_alu instid0(VALU_DEP_1) | instskip(SKIP_1) | instid1(VALU_DEP_2)
	v_add_co_u32 v8, vcc_lo, s24, v9
	s_wait_alu 0xfffd
	v_add_co_ci_u32_e64 v9, null, s25, v10, vcc_lo
	global_store_b128 v[8:9], v[37:40], off
	s_and_saveexec_b32 s0, s5
	s_cbranch_execz .LBB17_27
; %bb.26:
	v_ashrrev_i32_e32 v1, 31, v0
	v_mov_b32_e32 v17, v2
	s_delay_alu instid0(VALU_DEP_2) | instskip(NEXT) | instid1(VALU_DEP_1)
	v_lshlrev_b64_e32 v[0:1], 3, v[0:1]
	v_add_co_u32 v0, vcc_lo, s26, v0
	s_wait_alu 0xfffd
	s_delay_alu instid0(VALU_DEP_2)
	v_add_co_ci_u32_e64 v1, null, s27, v1, vcc_lo
	global_store_b64 v[0:1], v[17:18], off
.LBB17_27:
	s_wait_alu 0xfffe
	s_or_b32 exec_lo, exec_lo, s0
	v_cmp_ne_u32_e32 vcc_lo, 1, v24
	v_mov_b32_e32 v2, 1.0
	s_cbranch_vccnz .LBB17_29
; %bb.28:
	v_div_scale_f32 v0, null, v11, v11, 1.0
	s_delay_alu instid0(VALU_DEP_1) | instskip(NEXT) | instid1(TRANS32_DEP_1)
	v_rcp_f32_e32 v1, v0
	v_fma_f32 v2, -v0, v1, 1.0
	s_delay_alu instid0(VALU_DEP_1) | instskip(SKIP_1) | instid1(VALU_DEP_1)
	v_fmac_f32_e32 v1, v2, v1
	v_div_scale_f32 v2, vcc_lo, 1.0, v11, 1.0
	v_mul_f32_e32 v8, v2, v1
	s_delay_alu instid0(VALU_DEP_1) | instskip(NEXT) | instid1(VALU_DEP_1)
	v_fma_f32 v9, -v0, v8, v2
	v_fmac_f32_e32 v8, v9, v1
	s_delay_alu instid0(VALU_DEP_1) | instskip(SKIP_1) | instid1(VALU_DEP_1)
	v_fma_f32 v0, -v0, v8, v2
	s_wait_alu 0xfffd
	v_div_fmas_f32 v0, v0, v1, v8
	s_delay_alu instid0(VALU_DEP_1)
	v_div_fixup_f32 v2, v0, v11, 1.0
.LBB17_29:
	s_add_co_i32 s0, s34, 3
	v_lshrrev_b32_e32 v10, 16, v70
	s_wait_alu 0xfffe
	v_dual_mov_b32 v9, 0 :: v_dual_add_nc_u32 v0, s0, v36
	v_cvt_f32_f16_e32 v11, v71
	v_cvt_f32_f16_e32 v18, v70
	;; [unrolled: 1-line block ×3, first 2 shown]
	s_delay_alu instid0(VALU_DEP_4) | instskip(SKIP_1) | instid1(VALU_DEP_4)
	v_mad_co_u64_u32 v[0:1], null, s1, v0, s[18:19]
	v_lshrrev_b32_e32 v1, 16, v71
	v_mul_f32_e32 v10, v2, v18
	s_delay_alu instid0(VALU_DEP_2) | instskip(NEXT) | instid1(VALU_DEP_4)
	v_cvt_f32_f16_e32 v1, v1
	v_lshl_add_u32 v8, v0, 7, v33
	s_delay_alu instid0(VALU_DEP_1) | instskip(NEXT) | instid1(VALU_DEP_3)
	v_lshlrev_b64_e32 v[16:17], 2, v[8:9]
	v_mul_f32_e32 v9, v2, v1
	v_mul_f32_e32 v8, v2, v11
	;; [unrolled: 1-line block ×3, first 2 shown]
	s_delay_alu instid0(VALU_DEP_4)
	v_add_co_u32 v1, vcc_lo, s24, v16
	s_wait_alu 0xfffd
	v_add_co_ci_u32_e64 v2, null, s25, v17, vcc_lo
	global_store_b128 v[1:2], v[8:11], off
	s_and_saveexec_b32 s6, s5
	s_cbranch_execz .LBB17_31
; %bb.30:
	v_ashrrev_i32_e32 v1, 31, v0
	v_mov_b32_e32 v18, v3
	s_delay_alu instid0(VALU_DEP_2) | instskip(NEXT) | instid1(VALU_DEP_1)
	v_lshlrev_b64_e32 v[0:1], 3, v[0:1]
	v_add_co_u32 v0, vcc_lo, s26, v0
	s_wait_alu 0xfffd
	s_delay_alu instid0(VALU_DEP_2)
	v_add_co_ci_u32_e64 v1, null, s27, v1, vcc_lo
	global_store_b64 v[0:1], v[18:19], off
.LBB17_31:
	s_wait_alu 0xfffe
	s_or_b32 exec_lo, exec_lo, s6
	v_cmp_gt_i32_e32 vcc_lo, s30, v34
	s_and_b32 exec_lo, exec_lo, vcc_lo
	s_cbranch_execz .LBB17_13
; %bb.32:
	v_cmp_ne_u32_e32 vcc_lo, 1, v24
	v_mov_b32_e32 v2, 1.0
	s_cbranch_vccnz .LBB17_34
; %bb.33:
	v_div_scale_f32 v0, null, v12, v12, 1.0
	s_delay_alu instid0(VALU_DEP_1) | instskip(NEXT) | instid1(TRANS32_DEP_1)
	v_rcp_f32_e32 v1, v0
	v_fma_f32 v2, -v0, v1, 1.0
	s_delay_alu instid0(VALU_DEP_1) | instskip(SKIP_1) | instid1(VALU_DEP_1)
	v_fmac_f32_e32 v1, v2, v1
	v_div_scale_f32 v2, vcc_lo, 1.0, v12, 1.0
	v_mul_f32_e32 v3, v2, v1
	s_delay_alu instid0(VALU_DEP_1) | instskip(NEXT) | instid1(VALU_DEP_1)
	v_fma_f32 v8, -v0, v3, v2
	v_fmac_f32_e32 v3, v8, v1
	s_delay_alu instid0(VALU_DEP_1) | instskip(SKIP_1) | instid1(VALU_DEP_1)
	v_fma_f32 v0, -v0, v3, v2
	s_wait_alu 0xfffd
	v_div_fmas_f32 v0, v0, v1, v3
	s_delay_alu instid0(VALU_DEP_1)
	v_div_fixup_f32 v2, v0, v12, 1.0
.LBB17_34:
	v_dual_mov_b32 v9, 0 :: v_dual_add_nc_u32 v0, s3, v32
	v_lshrrev_b32_e32 v3, 16, v68
	v_cvt_f32_f16_e32 v10, v69
	v_cvt_f32_f16_e32 v11, v68
	s_delay_alu instid0(VALU_DEP_4) | instskip(NEXT) | instid1(VALU_DEP_4)
	v_mad_co_u64_u32 v[0:1], null, v0, s31, s[34:35]
	v_cvt_f32_f16_e32 v3, v3
	s_delay_alu instid0(VALU_DEP_2) | instskip(SKIP_1) | instid1(VALU_DEP_1)
	v_mad_co_u64_u32 v[0:1], null, s1, v0, s[18:19]
	v_lshrrev_b32_e32 v1, 16, v69
	v_cvt_f32_f16_e32 v1, v1
	s_delay_alu instid0(VALU_DEP_3) | instskip(NEXT) | instid1(VALU_DEP_1)
	v_lshl_add_u32 v8, v0, 7, v33
	v_lshlrev_b64_e32 v[16:17], 2, v[8:9]
	s_delay_alu instid0(VALU_DEP_3)
	v_mul_f32_e32 v9, v2, v1
	v_mul_f32_e32 v8, v2, v10
	;; [unrolled: 1-line block ×4, first 2 shown]
	v_add_co_u32 v1, vcc_lo, s24, v16
	s_wait_alu 0xfffd
	v_add_co_ci_u32_e64 v2, null, s25, v17, vcc_lo
	global_store_b128 v[1:2], v[8:11], off
	s_and_saveexec_b32 s6, s5
	s_cbranch_execz .LBB17_36
; %bb.35:
	v_ashrrev_i32_e32 v1, 31, v0
	v_mov_b32_e32 v19, v4
	s_delay_alu instid0(VALU_DEP_2) | instskip(NEXT) | instid1(VALU_DEP_1)
	v_lshlrev_b64_e32 v[0:1], 3, v[0:1]
	v_add_co_u32 v0, vcc_lo, s26, v0
	s_wait_alu 0xfffd
	s_delay_alu instid0(VALU_DEP_2)
	v_add_co_ci_u32_e64 v1, null, s27, v1, vcc_lo
	global_store_b64 v[0:1], v[19:20], off
.LBB17_36:
	s_wait_alu 0xfffe
	s_or_b32 exec_lo, exec_lo, s6
	v_cmp_gt_i32_e32 vcc_lo, s30, v31
	s_and_b32 exec_lo, exec_lo, vcc_lo
	s_cbranch_execz .LBB17_13
; %bb.37:
	v_cmp_ne_u32_e32 vcc_lo, 1, v24
	v_mov_b32_e32 v2, 1.0
	s_cbranch_vccnz .LBB17_39
; %bb.38:
	v_div_scale_f32 v0, null, v13, v13, 1.0
	s_delay_alu instid0(VALU_DEP_1) | instskip(NEXT) | instid1(TRANS32_DEP_1)
	v_rcp_f32_e32 v1, v0
	v_fma_f32 v2, -v0, v1, 1.0
	s_delay_alu instid0(VALU_DEP_1) | instskip(SKIP_1) | instid1(VALU_DEP_1)
	v_fmac_f32_e32 v1, v2, v1
	v_div_scale_f32 v2, vcc_lo, 1.0, v13, 1.0
	v_mul_f32_e32 v3, v2, v1
	s_delay_alu instid0(VALU_DEP_1) | instskip(NEXT) | instid1(VALU_DEP_1)
	v_fma_f32 v4, -v0, v3, v2
	v_fmac_f32_e32 v3, v4, v1
	s_delay_alu instid0(VALU_DEP_1) | instskip(SKIP_1) | instid1(VALU_DEP_1)
	v_fma_f32 v0, -v0, v3, v2
	s_wait_alu 0xfffd
	v_div_fmas_f32 v0, v0, v1, v3
	s_delay_alu instid0(VALU_DEP_1)
	v_div_fixup_f32 v2, v0, v13, 1.0
.LBB17_39:
	v_add_nc_u32_e32 v0, s3, v30
	v_lshrrev_b32_e32 v8, 16, v66
	v_cvt_f32_f16_e32 v9, v67
	v_cvt_f32_f16_e32 v10, v66
	s_delay_alu instid0(VALU_DEP_4) | instskip(NEXT) | instid1(VALU_DEP_4)
	v_mad_co_u64_u32 v[0:1], null, v0, s31, s[4:5]
	v_cvt_f32_f16_e32 v11, v8
	v_mov_b32_e32 v4, 0
	v_mul_f32_e32 v8, v2, v9
	v_mul_f32_e32 v10, v2, v10
	s_delay_alu instid0(VALU_DEP_4) | instskip(SKIP_2) | instid1(VALU_DEP_1)
	v_mul_f32_e32 v11, v2, v11
	v_mad_co_u64_u32 v[0:1], null, s1, v0, s[18:19]
	v_lshrrev_b32_e32 v1, 16, v67
	v_cvt_f32_f16_e32 v1, v1
	s_delay_alu instid0(VALU_DEP_3) | instskip(NEXT) | instid1(VALU_DEP_2)
	v_lshl_add_u32 v3, v0, 7, v33
	v_mul_f32_e32 v9, v2, v1
	s_delay_alu instid0(VALU_DEP_2) | instskip(NEXT) | instid1(VALU_DEP_1)
	v_lshlrev_b64_e32 v[3:4], 2, v[3:4]
	v_add_co_u32 v1, vcc_lo, s24, v3
	s_wait_alu 0xfffd
	s_delay_alu instid0(VALU_DEP_2)
	v_add_co_ci_u32_e64 v2, null, s25, v4, vcc_lo
	global_store_b128 v[1:2], v[8:11], off
	s_and_saveexec_b32 s4, s5
	s_cbranch_execz .LBB17_41
; %bb.40:
	v_ashrrev_i32_e32 v1, 31, v0
	v_mov_b32_e32 v20, v5
	s_delay_alu instid0(VALU_DEP_2) | instskip(NEXT) | instid1(VALU_DEP_1)
	v_lshlrev_b64_e32 v[0:1], 3, v[0:1]
	v_add_co_u32 v0, vcc_lo, s26, v0
	s_wait_alu 0xfffd
	s_delay_alu instid0(VALU_DEP_2)
	v_add_co_ci_u32_e64 v1, null, s27, v1, vcc_lo
	global_store_b64 v[0:1], v[20:21], off
.LBB17_41:
	s_wait_alu 0xfffe
	s_or_b32 exec_lo, exec_lo, s4
	v_cmp_gt_i32_e32 vcc_lo, s30, v29
	s_and_b32 exec_lo, exec_lo, vcc_lo
	s_cbranch_execz .LBB17_13
; %bb.42:
	v_cmp_ne_u32_e32 vcc_lo, 1, v24
	v_mov_b32_e32 v2, 1.0
	s_cbranch_vccnz .LBB17_44
; %bb.43:
	v_div_scale_f32 v0, null, v14, v14, 1.0
	s_delay_alu instid0(VALU_DEP_1) | instskip(NEXT) | instid1(TRANS32_DEP_1)
	v_rcp_f32_e32 v1, v0
	v_fma_f32 v2, -v0, v1, 1.0
	s_delay_alu instid0(VALU_DEP_1) | instskip(SKIP_1) | instid1(VALU_DEP_1)
	v_fmac_f32_e32 v1, v2, v1
	v_div_scale_f32 v2, vcc_lo, 1.0, v14, 1.0
	v_mul_f32_e32 v3, v2, v1
	s_delay_alu instid0(VALU_DEP_1) | instskip(NEXT) | instid1(VALU_DEP_1)
	v_fma_f32 v4, -v0, v3, v2
	v_fmac_f32_e32 v3, v4, v1
	s_delay_alu instid0(VALU_DEP_1) | instskip(SKIP_1) | instid1(VALU_DEP_1)
	v_fma_f32 v0, -v0, v3, v2
	s_wait_alu 0xfffd
	v_div_fmas_f32 v0, v0, v1, v3
	s_delay_alu instid0(VALU_DEP_1)
	v_div_fixup_f32 v2, v0, v14, 1.0
.LBB17_44:
	v_add_nc_u32_e32 v0, s3, v28
	v_lshrrev_b32_e32 v5, 16, v64
	v_cvt_f32_f16_e32 v9, v64
	v_cvt_f32_f16_e32 v8, v65
	s_delay_alu instid0(VALU_DEP_4) | instskip(NEXT) | instid1(VALU_DEP_4)
	v_mad_co_u64_u32 v[0:1], null, v0, s31, s[2:3]
	v_cvt_f32_f16_e32 v5, v5
	v_mov_b32_e32 v4, 0
	v_mul_f32_e32 v10, v2, v9
	v_mul_f32_e32 v8, v2, v8
	s_delay_alu instid0(VALU_DEP_4) | instskip(SKIP_2) | instid1(VALU_DEP_1)
	v_mul_f32_e32 v11, v2, v5
	v_mad_co_u64_u32 v[0:1], null, s1, v0, s[18:19]
	v_lshrrev_b32_e32 v1, 16, v65
	v_cvt_f32_f16_e32 v1, v1
	s_delay_alu instid0(VALU_DEP_3) | instskip(NEXT) | instid1(VALU_DEP_2)
	v_lshl_add_u32 v3, v0, 7, v33
	v_mul_f32_e32 v9, v2, v1
	s_delay_alu instid0(VALU_DEP_2) | instskip(NEXT) | instid1(VALU_DEP_1)
	v_lshlrev_b64_e32 v[3:4], 2, v[3:4]
	v_add_co_u32 v1, vcc_lo, s24, v3
	s_wait_alu 0xfffd
	s_delay_alu instid0(VALU_DEP_2)
	v_add_co_ci_u32_e64 v2, null, s25, v4, vcc_lo
	global_store_b128 v[1:2], v[8:11], off
	s_and_saveexec_b32 s2, s5
	s_cbranch_execz .LBB17_46
; %bb.45:
	v_ashrrev_i32_e32 v1, 31, v0
	v_mov_b32_e32 v21, v6
	s_delay_alu instid0(VALU_DEP_2) | instskip(NEXT) | instid1(VALU_DEP_1)
	v_lshlrev_b64_e32 v[0:1], 3, v[0:1]
	v_add_co_u32 v0, vcc_lo, s26, v0
	s_wait_alu 0xfffd
	s_delay_alu instid0(VALU_DEP_2)
	v_add_co_ci_u32_e64 v1, null, s27, v1, vcc_lo
	global_store_b64 v[0:1], v[21:22], off
.LBB17_46:
	s_wait_alu 0xfffe
	s_or_b32 exec_lo, exec_lo, s2
	v_cmp_gt_i32_e32 vcc_lo, s30, v27
	s_and_b32 exec_lo, exec_lo, vcc_lo
	s_cbranch_execz .LBB17_13
; %bb.47:
	v_cmp_ne_u32_e32 vcc_lo, 1, v24
	v_mov_b32_e32 v2, 1.0
	s_cbranch_vccnz .LBB17_49
; %bb.48:
	v_div_scale_f32 v0, null, v15, v15, 1.0
	s_delay_alu instid0(VALU_DEP_1) | instskip(NEXT) | instid1(TRANS32_DEP_1)
	v_rcp_f32_e32 v1, v0
	v_fma_f32 v2, -v0, v1, 1.0
	s_delay_alu instid0(VALU_DEP_1) | instskip(SKIP_1) | instid1(VALU_DEP_1)
	v_fmac_f32_e32 v1, v2, v1
	v_div_scale_f32 v2, vcc_lo, 1.0, v15, 1.0
	v_mul_f32_e32 v3, v2, v1
	s_delay_alu instid0(VALU_DEP_1) | instskip(NEXT) | instid1(VALU_DEP_1)
	v_fma_f32 v4, -v0, v3, v2
	v_fmac_f32_e32 v3, v4, v1
	s_delay_alu instid0(VALU_DEP_1) | instskip(SKIP_1) | instid1(VALU_DEP_1)
	v_fma_f32 v0, -v0, v3, v2
	s_wait_alu 0xfffd
	v_div_fmas_f32 v0, v0, v1, v3
	s_delay_alu instid0(VALU_DEP_1)
	v_div_fixup_f32 v2, v0, v15, 1.0
.LBB17_49:
	v_add_nc_u32_e32 v0, s3, v26
	v_cvt_f32_f16_e32 v6, v63
	v_mov_b32_e32 v4, 0
	v_lshrrev_b32_e32 v5, 16, v62
	v_cvt_f32_f16_e32 v10, v62
	v_mad_co_u64_u32 v[0:1], null, v0, s31, s[0:1]
	s_delay_alu instid0(VALU_DEP_3) | instskip(NEXT) | instid1(VALU_DEP_3)
	v_cvt_f32_f16_e32 v11, v5
	v_mul_f32_e32 v5, v2, v10
	s_delay_alu instid0(VALU_DEP_3) | instskip(SKIP_1) | instid1(VALU_DEP_1)
	v_mad_co_u64_u32 v[0:1], null, s1, v0, s[18:19]
	v_lshrrev_b32_e32 v1, 16, v63
	v_cvt_f32_f16_e32 v1, v1
	s_delay_alu instid0(VALU_DEP_3) | instskip(NEXT) | instid1(VALU_DEP_1)
	v_lshl_add_u32 v3, v0, 7, v33
	v_lshlrev_b64_e32 v[8:9], 2, v[3:4]
	s_delay_alu instid0(VALU_DEP_3) | instskip(SKIP_2) | instid1(VALU_DEP_4)
	v_mul_f32_e32 v4, v2, v1
	v_mul_f32_e32 v3, v2, v6
	;; [unrolled: 1-line block ×3, first 2 shown]
	v_add_co_u32 v1, vcc_lo, s24, v8
	s_wait_alu 0xfffd
	v_add_co_ci_u32_e64 v2, null, s25, v9, vcc_lo
	global_store_b128 v[1:2], v[3:6], off
	s_and_b32 exec_lo, exec_lo, s5
	s_cbranch_execz .LBB17_13
; %bb.50:
	v_ashrrev_i32_e32 v1, 31, v0
	v_mov_b32_e32 v22, v7
	s_delay_alu instid0(VALU_DEP_2) | instskip(NEXT) | instid1(VALU_DEP_1)
	v_lshlrev_b64_e32 v[0:1], 3, v[0:1]
	v_add_co_u32 v0, vcc_lo, s26, v0
	s_wait_alu 0xfffd
	s_delay_alu instid0(VALU_DEP_2)
	v_add_co_ci_u32_e64 v1, null, s27, v1, vcc_lo
	global_store_b64 v[0:1], v[22:23], off
	s_nop 0
	s_sendmsg sendmsg(MSG_DEALLOC_VGPRS)
	s_endpgm
	.section	.rodata,"a",@progbits
	.p2align	6, 0x0
	.amdhsa_kernel _ZL15flash_attn_tileILi128ELi128ELi16ELi4ELb0EEvPKcS1_S1_S1_S1_PKiPfP15HIP_vector_typeIfLj2EEffffjfiS5_IjLj3EEiiiiiiiiiiiliiliiiiil
		.amdhsa_group_segment_fixed_size 33792
		.amdhsa_private_segment_fixed_size 0
		.amdhsa_kernarg_size 464
		.amdhsa_user_sgpr_count 2
		.amdhsa_user_sgpr_dispatch_ptr 0
		.amdhsa_user_sgpr_queue_ptr 0
		.amdhsa_user_sgpr_kernarg_segment_ptr 1
		.amdhsa_user_sgpr_dispatch_id 0
		.amdhsa_user_sgpr_private_segment_size 0
		.amdhsa_wavefront_size32 1
		.amdhsa_uses_dynamic_stack 0
		.amdhsa_enable_private_segment 0
		.amdhsa_system_sgpr_workgroup_id_x 1
		.amdhsa_system_sgpr_workgroup_id_y 1
		.amdhsa_system_sgpr_workgroup_id_z 1
		.amdhsa_system_sgpr_workgroup_info 0
		.amdhsa_system_vgpr_workitem_id 1
		.amdhsa_next_free_vgpr 217
		.amdhsa_next_free_sgpr 52
		.amdhsa_reserve_vcc 1
		.amdhsa_float_round_mode_32 0
		.amdhsa_float_round_mode_16_64 0
		.amdhsa_float_denorm_mode_32 3
		.amdhsa_float_denorm_mode_16_64 3
		.amdhsa_fp16_overflow 0
		.amdhsa_workgroup_processor_mode 1
		.amdhsa_memory_ordered 1
		.amdhsa_forward_progress 1
		.amdhsa_inst_pref_size 255
		.amdhsa_round_robin_scheduling 0
		.amdhsa_exception_fp_ieee_invalid_op 0
		.amdhsa_exception_fp_denorm_src 0
		.amdhsa_exception_fp_ieee_div_zero 0
		.amdhsa_exception_fp_ieee_overflow 0
		.amdhsa_exception_fp_ieee_underflow 0
		.amdhsa_exception_fp_ieee_inexact 0
		.amdhsa_exception_int_div_zero 0
	.end_amdhsa_kernel
	.section	.text._ZL15flash_attn_tileILi128ELi128ELi16ELi4ELb0EEvPKcS1_S1_S1_S1_PKiPfP15HIP_vector_typeIfLj2EEffffjfiS5_IjLj3EEiiiiiiiiiiiliiliiiiil,"axG",@progbits,_ZL15flash_attn_tileILi128ELi128ELi16ELi4ELb0EEvPKcS1_S1_S1_S1_PKiPfP15HIP_vector_typeIfLj2EEffffjfiS5_IjLj3EEiiiiiiiiiiiliiliiiiil,comdat
.Lfunc_end17:
	.size	_ZL15flash_attn_tileILi128ELi128ELi16ELi4ELb0EEvPKcS1_S1_S1_S1_PKiPfP15HIP_vector_typeIfLj2EEffffjfiS5_IjLj3EEiiiiiiiiiiiliiliiiiil, .Lfunc_end17-_ZL15flash_attn_tileILi128ELi128ELi16ELi4ELb0EEvPKcS1_S1_S1_S1_PKiPfP15HIP_vector_typeIfLj2EEffffjfiS5_IjLj3EEiiiiiiiiiiiliiliiiiil
                                        ; -- End function
	.set _ZL15flash_attn_tileILi128ELi128ELi16ELi4ELb0EEvPKcS1_S1_S1_S1_PKiPfP15HIP_vector_typeIfLj2EEffffjfiS5_IjLj3EEiiiiiiiiiiiliiliiiiil.num_vgpr, 134
	.set _ZL15flash_attn_tileILi128ELi128ELi16ELi4ELb0EEvPKcS1_S1_S1_S1_PKiPfP15HIP_vector_typeIfLj2EEffffjfiS5_IjLj3EEiiiiiiiiiiiliiliiiiil.num_agpr, 0
	.set _ZL15flash_attn_tileILi128ELi128ELi16ELi4ELb0EEvPKcS1_S1_S1_S1_PKiPfP15HIP_vector_typeIfLj2EEffffjfiS5_IjLj3EEiiiiiiiiiiiliiliiiiil.numbered_sgpr, 52
	.set _ZL15flash_attn_tileILi128ELi128ELi16ELi4ELb0EEvPKcS1_S1_S1_S1_PKiPfP15HIP_vector_typeIfLj2EEffffjfiS5_IjLj3EEiiiiiiiiiiiliiliiiiil.num_named_barrier, 0
	.set _ZL15flash_attn_tileILi128ELi128ELi16ELi4ELb0EEvPKcS1_S1_S1_S1_PKiPfP15HIP_vector_typeIfLj2EEffffjfiS5_IjLj3EEiiiiiiiiiiiliiliiiiil.private_seg_size, 0
	.set _ZL15flash_attn_tileILi128ELi128ELi16ELi4ELb0EEvPKcS1_S1_S1_S1_PKiPfP15HIP_vector_typeIfLj2EEffffjfiS5_IjLj3EEiiiiiiiiiiiliiliiiiil.uses_vcc, 1
	.set _ZL15flash_attn_tileILi128ELi128ELi16ELi4ELb0EEvPKcS1_S1_S1_S1_PKiPfP15HIP_vector_typeIfLj2EEffffjfiS5_IjLj3EEiiiiiiiiiiiliiliiiiil.uses_flat_scratch, 0
	.set _ZL15flash_attn_tileILi128ELi128ELi16ELi4ELb0EEvPKcS1_S1_S1_S1_PKiPfP15HIP_vector_typeIfLj2EEffffjfiS5_IjLj3EEiiiiiiiiiiiliiliiiiil.has_dyn_sized_stack, 0
	.set _ZL15flash_attn_tileILi128ELi128ELi16ELi4ELb0EEvPKcS1_S1_S1_S1_PKiPfP15HIP_vector_typeIfLj2EEffffjfiS5_IjLj3EEiiiiiiiiiiiliiliiiiil.has_recursion, 0
	.set _ZL15flash_attn_tileILi128ELi128ELi16ELi4ELb0EEvPKcS1_S1_S1_S1_PKiPfP15HIP_vector_typeIfLj2EEffffjfiS5_IjLj3EEiiiiiiiiiiiliiliiiiil.has_indirect_call, 0
	.section	.AMDGPU.csdata,"",@progbits
; Kernel info:
; codeLenInByte = 33708
; TotalNumSgprs: 54
; NumVgprs: 134
; ScratchSize: 0
; MemoryBound: 0
; FloatMode: 240
; IeeeMode: 1
; LDSByteSize: 33792 bytes/workgroup (compile time only)
; SGPRBlocks: 0
; VGPRBlocks: 27
; NumSGPRsForWavesPerEU: 54
; NumVGPRsForWavesPerEU: 217
; Occupancy: 6
; WaveLimiterHint : 1
; COMPUTE_PGM_RSRC2:SCRATCH_EN: 0
; COMPUTE_PGM_RSRC2:USER_SGPR: 2
; COMPUTE_PGM_RSRC2:TRAP_HANDLER: 0
; COMPUTE_PGM_RSRC2:TGID_X_EN: 1
; COMPUTE_PGM_RSRC2:TGID_Y_EN: 1
; COMPUTE_PGM_RSRC2:TGID_Z_EN: 1
; COMPUTE_PGM_RSRC2:TIDIG_COMP_CNT: 1
	.section	.text._ZL25flash_attn_mask_to_KV_maxILi16EEvPK7__half2Piiii,"axG",@progbits,_ZL25flash_attn_mask_to_KV_maxILi16EEvPK7__half2Piiii,comdat
	.globl	_ZL25flash_attn_mask_to_KV_maxILi16EEvPK7__half2Piiii ; -- Begin function _ZL25flash_attn_mask_to_KV_maxILi16EEvPK7__half2Piiii
	.p2align	8
	.type	_ZL25flash_attn_mask_to_KV_maxILi16EEvPK7__half2Piiii,@function
_ZL25flash_attn_mask_to_KV_maxILi16EEvPK7__half2Piiii: ; @_ZL25flash_attn_mask_to_KV_maxILi16EEvPK7__half2Piiii
; %bb.0:
	s_load_b64 s[8:9], s[0:1], 0x0
	s_mov_b32 s2, exec_lo
	v_cmpx_gt_u32_e32 32, v0
; %bb.1:
	v_dual_mov_b32 v2, 1 :: v_dual_lshlrev_b32 v1, 2, v0
	ds_store_b32 v1, v2
; %bb.2:
	s_or_b32 exec_lo, exec_lo, s2
	s_clause 0x2
	s_load_b96 s[4:6], s[0:1], 0x10
	s_load_b64 s[2:3], s[0:1], 0x8
	s_load_b32 s1, s[0:1], 0x20
	v_dual_mov_b32 v2, 0 :: v_dual_and_b32 v1, 31, v0
	v_lshrrev_b32_e32 v5, 3, v0
	s_wait_dscnt 0x0
	s_barrier_signal -1
	s_delay_alu instid0(VALU_DEP_2)
	v_lshlrev_b32_e32 v6, 2, v1
	s_barrier_wait -1
	global_inv scope:SCOPE_SE
	s_wait_kmcnt 0x0
	s_mul_i32 s0, ttmp9, s5
	s_mul_i32 s6, s6, ttmp7
	s_lshl_b32 s0, s0, 4
	s_delay_alu instid0(SALU_CYCLE_1) | instskip(SKIP_2) | instid1(SALU_CYCLE_1)
	s_add_co_i32 s6, s6, s0
	v_cmp_eq_u32_e64 s0, 0, v1
	s_ashr_i32 s7, s6, 31
	s_lshl_b64 s[6:7], s[6:7], 2
	s_delay_alu instid0(SALU_CYCLE_1)
	s_add_nc_u64 s[6:7], s[8:9], s[6:7]
	s_lshl_b32 s8, s4, 8
	s_branch .LBB18_4
.LBB18_3:                               ;   in Loop: Header=BB18_4 Depth=1
	s_wait_alu 0xfffe
	s_or_b32 exec_lo, exec_lo, s9
	s_wait_dscnt 0x0
	s_barrier_signal -1
	s_barrier_wait -1
	global_inv scope:SCOPE_SE
	ds_load_b32 v1, v6
	s_wait_loadcnt_dscnt 0x0
	s_barrier_signal -1
	s_barrier_wait -1
	global_inv scope:SCOPE_SE
	v_cmp_ne_u32_e32 vcc_lo, 0, v1
	s_cmp_lg_u32 vcc_lo, exec_lo
	s_cselect_b32 s9, -1, 0
	s_wait_alu 0xfffe
	s_and_b32 vcc_lo, exec_lo, s9
	s_wait_alu 0xfffe
	s_cbranch_vccnz .LBB18_68
.LBB18_4:                               ; =>This Inner Loop Header: Depth=1
	s_mov_b32 s4, s8
	s_addk_co_i32 s8, 0xff00
	s_wait_alu 0xfffe
	s_cmp_lt_i32 s8, 0
	s_cbranch_scc1 .LBB18_67
; %bb.5:                                ;   in Loop: Header=BB18_4 Depth=1
	s_lshr_b32 s9, s8, 1
	s_wait_alu 0xfffe
	v_add_nc_u32_e32 v1, s9, v0
	s_delay_alu instid0(VALU_DEP_1) | instskip(NEXT) | instid1(VALU_DEP_1)
	v_lshlrev_b64_e32 v[3:4], 2, v[1:2]
	v_add_co_u32 v3, vcc_lo, s6, v3
	s_wait_alu 0xfffd
	s_delay_alu instid0(VALU_DEP_2) | instskip(SKIP_4) | instid1(VALU_DEP_2)
	v_add_co_ci_u32_e64 v4, null, s7, v4, vcc_lo
	global_load_b32 v3, v[3:4], off
	s_wait_loadcnt 0x0
	v_lshrrev_b32_e32 v4, 16, v3
	v_cmp_class_f16_e64 s9, v3, 0x204
	v_cmp_class_f16_e64 s10, v4, 0x204
	s_and_b32 s11, s9, s10
	s_mov_b32 s10, 0
	s_wait_alu 0xfffe
	s_and_saveexec_b32 s9, s11
	s_cbranch_execz .LBB18_65
; %bb.6:                                ;   in Loop: Header=BB18_4 Depth=1
	v_add_nc_u32_e32 v3, s5, v1
	s_mov_b32 s11, 0
	s_delay_alu instid0(VALU_DEP_1) | instskip(NEXT) | instid1(VALU_DEP_1)
	v_ashrrev_i32_e32 v4, 31, v3
	v_lshlrev_b64_e32 v[7:8], 2, v[3:4]
	s_delay_alu instid0(VALU_DEP_1) | instskip(SKIP_1) | instid1(VALU_DEP_2)
	v_add_co_u32 v7, vcc_lo, s6, v7
	s_wait_alu 0xfffd
	v_add_co_ci_u32_e64 v8, null, s7, v8, vcc_lo
	global_load_b32 v1, v[7:8], off
	s_wait_loadcnt 0x0
	v_cmp_class_f16_e64 s12, v1, 0x204
	s_and_saveexec_b32 s10, s12
	s_cbranch_execz .LBB18_64
; %bb.7:                                ;   in Loop: Header=BB18_4 Depth=1
	v_lshrrev_b32_e32 v1, 16, v1
	s_mov_b32 s12, 0
	s_delay_alu instid0(VALU_DEP_1)
	v_cmp_class_f16_e64 s13, v1, 0x204
	s_and_saveexec_b32 s11, s13
	s_cbranch_execz .LBB18_63
; %bb.8:                                ;   in Loop: Header=BB18_4 Depth=1
	v_add_nc_u32_e32 v3, s5, v3
	s_mov_b32 s13, 0
	s_delay_alu instid0(VALU_DEP_1) | instskip(NEXT) | instid1(VALU_DEP_1)
	v_ashrrev_i32_e32 v4, 31, v3
	v_lshlrev_b64_e32 v[7:8], 2, v[3:4]
	s_delay_alu instid0(VALU_DEP_1) | instskip(SKIP_1) | instid1(VALU_DEP_2)
	v_add_co_u32 v7, vcc_lo, s6, v7
	s_wait_alu 0xfffd
	v_add_co_ci_u32_e64 v8, null, s7, v8, vcc_lo
	global_load_b32 v1, v[7:8], off
	s_wait_loadcnt 0x0
	v_cmp_class_f16_e64 s14, v1, 0x204
	s_and_saveexec_b32 s12, s14
	s_cbranch_execz .LBB18_62
; %bb.9:                                ;   in Loop: Header=BB18_4 Depth=1
	v_lshrrev_b32_e32 v1, 16, v1
	s_mov_b32 s14, 0
	s_delay_alu instid0(VALU_DEP_1)
	v_cmp_class_f16_e64 s15, v1, 0x204
	s_and_saveexec_b32 s13, s15
	s_cbranch_execz .LBB18_61
; %bb.10:                               ;   in Loop: Header=BB18_4 Depth=1
	v_add_nc_u32_e32 v3, s5, v3
	s_mov_b32 s15, 0
	s_delay_alu instid0(VALU_DEP_1) | instskip(NEXT) | instid1(VALU_DEP_1)
	v_ashrrev_i32_e32 v4, 31, v3
	v_lshlrev_b64_e32 v[7:8], 2, v[3:4]
	s_delay_alu instid0(VALU_DEP_1) | instskip(SKIP_1) | instid1(VALU_DEP_2)
	v_add_co_u32 v7, vcc_lo, s6, v7
	s_wait_alu 0xfffd
	v_add_co_ci_u32_e64 v8, null, s7, v8, vcc_lo
	global_load_b32 v1, v[7:8], off
	s_wait_loadcnt 0x0
	v_cmp_class_f16_e64 s16, v1, 0x204
	s_and_saveexec_b32 s14, s16
	s_cbranch_execz .LBB18_60
; %bb.11:                               ;   in Loop: Header=BB18_4 Depth=1
	v_lshrrev_b32_e32 v1, 16, v1
	s_mov_b32 s16, 0
	s_delay_alu instid0(VALU_DEP_1)
	v_cmp_class_f16_e64 s17, v1, 0x204
	s_and_saveexec_b32 s15, s17
	s_cbranch_execz .LBB18_59
; %bb.12:                               ;   in Loop: Header=BB18_4 Depth=1
	v_add_nc_u32_e32 v3, s5, v3
	s_mov_b32 s17, 0
	s_delay_alu instid0(VALU_DEP_1) | instskip(NEXT) | instid1(VALU_DEP_1)
	v_ashrrev_i32_e32 v4, 31, v3
	v_lshlrev_b64_e32 v[7:8], 2, v[3:4]
	s_delay_alu instid0(VALU_DEP_1) | instskip(SKIP_1) | instid1(VALU_DEP_2)
	v_add_co_u32 v7, vcc_lo, s6, v7
	s_wait_alu 0xfffd
	v_add_co_ci_u32_e64 v8, null, s7, v8, vcc_lo
	global_load_b32 v1, v[7:8], off
	s_wait_loadcnt 0x0
	v_cmp_class_f16_e64 s18, v1, 0x204
	s_and_saveexec_b32 s16, s18
	s_cbranch_execz .LBB18_58
; %bb.13:                               ;   in Loop: Header=BB18_4 Depth=1
	;; [unrolled: 22-line block ×12, first 2 shown]
	v_lshrrev_b32_e32 v1, 16, v1
	s_mov_b32 s39, 0
	s_delay_alu instid0(VALU_DEP_1)
	v_cmp_class_f16_e64 s40, v1, 0x204
	s_and_saveexec_b32 s38, s40
	s_cbranch_execz .LBB18_37
; %bb.34:                               ;   in Loop: Header=BB18_4 Depth=1
	v_add_nc_u32_e32 v3, s5, v3
	s_delay_alu instid0(VALU_DEP_1) | instskip(NEXT) | instid1(VALU_DEP_1)
	v_ashrrev_i32_e32 v4, 31, v3
	v_lshlrev_b64_e32 v[3:4], 2, v[3:4]
	s_delay_alu instid0(VALU_DEP_1) | instskip(SKIP_1) | instid1(VALU_DEP_2)
	v_add_co_u32 v3, vcc_lo, s6, v3
	s_wait_alu 0xfffd
	v_add_co_ci_u32_e64 v4, null, s7, v4, vcc_lo
	global_load_b32 v1, v[3:4], off
	s_wait_loadcnt 0x0
	v_cmp_class_f16_e64 s41, v1, 0x204
	s_and_saveexec_b32 s40, s41
; %bb.35:                               ;   in Loop: Header=BB18_4 Depth=1
	v_lshrrev_b32_e32 v1, 16, v1
	s_delay_alu instid0(VALU_DEP_1)
	v_cmp_class_f16_e64 s39, v1, 0x204
	s_and_b32 s39, s39, exec_lo
; %bb.36:                               ;   in Loop: Header=BB18_4 Depth=1
	s_or_b32 exec_lo, exec_lo, s40
	s_delay_alu instid0(SALU_CYCLE_1)
	s_and_b32 s39, s39, exec_lo
.LBB18_37:                              ;   in Loop: Header=BB18_4 Depth=1
	s_or_b32 exec_lo, exec_lo, s38
	s_delay_alu instid0(SALU_CYCLE_1)
	s_and_b32 s38, s39, exec_lo
.LBB18_38:                              ;   in Loop: Header=BB18_4 Depth=1
	s_or_b32 exec_lo, exec_lo, s37
	s_delay_alu instid0(SALU_CYCLE_1)
	s_and_b32 s37, s38, exec_lo
.LBB18_39:                              ;   in Loop: Header=BB18_4 Depth=1
	s_or_b32 exec_lo, exec_lo, s36
	s_delay_alu instid0(SALU_CYCLE_1)
	s_and_b32 s36, s37, exec_lo
.LBB18_40:                              ;   in Loop: Header=BB18_4 Depth=1
	s_or_b32 exec_lo, exec_lo, s35
	s_delay_alu instid0(SALU_CYCLE_1)
	s_and_b32 s35, s36, exec_lo
.LBB18_41:                              ;   in Loop: Header=BB18_4 Depth=1
	s_or_b32 exec_lo, exec_lo, s34
	s_delay_alu instid0(SALU_CYCLE_1)
	s_and_b32 s34, s35, exec_lo
.LBB18_42:                              ;   in Loop: Header=BB18_4 Depth=1
	s_or_b32 exec_lo, exec_lo, s33
	s_delay_alu instid0(SALU_CYCLE_1)
	s_and_b32 s33, s34, exec_lo
.LBB18_43:                              ;   in Loop: Header=BB18_4 Depth=1
	s_or_b32 exec_lo, exec_lo, s31
	s_delay_alu instid0(SALU_CYCLE_1)
	s_and_b32 s31, s33, exec_lo
.LBB18_44:                              ;   in Loop: Header=BB18_4 Depth=1
	s_or_b32 exec_lo, exec_lo, s30
	s_delay_alu instid0(SALU_CYCLE_1)
	s_and_b32 s30, s31, exec_lo
.LBB18_45:                              ;   in Loop: Header=BB18_4 Depth=1
	s_or_b32 exec_lo, exec_lo, s29
	s_delay_alu instid0(SALU_CYCLE_1)
	s_and_b32 s29, s30, exec_lo
.LBB18_46:                              ;   in Loop: Header=BB18_4 Depth=1
	s_or_b32 exec_lo, exec_lo, s28
	s_delay_alu instid0(SALU_CYCLE_1)
	s_and_b32 s28, s29, exec_lo
.LBB18_47:                              ;   in Loop: Header=BB18_4 Depth=1
	s_or_b32 exec_lo, exec_lo, s27
	s_delay_alu instid0(SALU_CYCLE_1)
	s_and_b32 s27, s28, exec_lo
.LBB18_48:                              ;   in Loop: Header=BB18_4 Depth=1
	s_or_b32 exec_lo, exec_lo, s26
	s_delay_alu instid0(SALU_CYCLE_1)
	s_and_b32 s26, s27, exec_lo
.LBB18_49:                              ;   in Loop: Header=BB18_4 Depth=1
	s_or_b32 exec_lo, exec_lo, s25
	s_delay_alu instid0(SALU_CYCLE_1)
	s_and_b32 s25, s26, exec_lo
.LBB18_50:                              ;   in Loop: Header=BB18_4 Depth=1
	s_or_b32 exec_lo, exec_lo, s24
	s_delay_alu instid0(SALU_CYCLE_1)
	s_and_b32 s24, s25, exec_lo
.LBB18_51:                              ;   in Loop: Header=BB18_4 Depth=1
	s_or_b32 exec_lo, exec_lo, s23
	s_delay_alu instid0(SALU_CYCLE_1)
	s_and_b32 s23, s24, exec_lo
.LBB18_52:                              ;   in Loop: Header=BB18_4 Depth=1
	s_or_b32 exec_lo, exec_lo, s22
	s_delay_alu instid0(SALU_CYCLE_1)
	s_and_b32 s22, s23, exec_lo
.LBB18_53:                              ;   in Loop: Header=BB18_4 Depth=1
	s_or_b32 exec_lo, exec_lo, s21
	s_delay_alu instid0(SALU_CYCLE_1)
	s_and_b32 s21, s22, exec_lo
.LBB18_54:                              ;   in Loop: Header=BB18_4 Depth=1
	s_or_b32 exec_lo, exec_lo, s20
	s_delay_alu instid0(SALU_CYCLE_1)
	s_and_b32 s20, s21, exec_lo
.LBB18_55:                              ;   in Loop: Header=BB18_4 Depth=1
	s_or_b32 exec_lo, exec_lo, s19
	s_delay_alu instid0(SALU_CYCLE_1)
	s_and_b32 s19, s20, exec_lo
.LBB18_56:                              ;   in Loop: Header=BB18_4 Depth=1
	s_or_b32 exec_lo, exec_lo, s18
	s_delay_alu instid0(SALU_CYCLE_1)
	s_and_b32 s18, s19, exec_lo
.LBB18_57:                              ;   in Loop: Header=BB18_4 Depth=1
	s_or_b32 exec_lo, exec_lo, s17
	s_delay_alu instid0(SALU_CYCLE_1)
	s_and_b32 s17, s18, exec_lo
.LBB18_58:                              ;   in Loop: Header=BB18_4 Depth=1
	s_or_b32 exec_lo, exec_lo, s16
	s_delay_alu instid0(SALU_CYCLE_1)
	s_and_b32 s16, s17, exec_lo
.LBB18_59:                              ;   in Loop: Header=BB18_4 Depth=1
	s_or_b32 exec_lo, exec_lo, s15
	s_delay_alu instid0(SALU_CYCLE_1)
	s_and_b32 s15, s16, exec_lo
.LBB18_60:                              ;   in Loop: Header=BB18_4 Depth=1
	s_or_b32 exec_lo, exec_lo, s14
	s_delay_alu instid0(SALU_CYCLE_1)
	s_and_b32 s14, s15, exec_lo
.LBB18_61:                              ;   in Loop: Header=BB18_4 Depth=1
	s_or_b32 exec_lo, exec_lo, s13
	s_delay_alu instid0(SALU_CYCLE_1)
	s_and_b32 s13, s14, exec_lo
.LBB18_62:                              ;   in Loop: Header=BB18_4 Depth=1
	s_or_b32 exec_lo, exec_lo, s12
	s_delay_alu instid0(SALU_CYCLE_1)
	s_and_b32 s12, s13, exec_lo
.LBB18_63:                              ;   in Loop: Header=BB18_4 Depth=1
	s_wait_alu 0xfffe
	s_or_b32 exec_lo, exec_lo, s11
	s_delay_alu instid0(SALU_CYCLE_1)
	s_and_b32 s11, s12, exec_lo
.LBB18_64:                              ;   in Loop: Header=BB18_4 Depth=1
	s_wait_alu 0xfffe
	s_or_b32 exec_lo, exec_lo, s10
	s_delay_alu instid0(SALU_CYCLE_1)
	s_and_b32 s10, s11, exec_lo
.LBB18_65:                              ;   in Loop: Header=BB18_4 Depth=1
	s_wait_alu 0xfffe
	s_or_b32 exec_lo, exec_lo, s9
	v_cndmask_b32_e64 v1, 0, 1, s10
	s_mov_b32 s11, exec_lo
	s_delay_alu instid0(VALU_DEP_1)
	v_cmp_ne_u32_e32 vcc_lo, 0, v1
	s_and_saveexec_b32 s9, s0
	s_cbranch_execz .LBB18_3
; %bb.66:                               ;   in Loop: Header=BB18_4 Depth=1
	s_wait_alu 0xfffe
	s_cmp_eq_u32 vcc_lo, s11
	s_cselect_b32 s10, -1, 0
	s_wait_alu 0xfffe
	v_cndmask_b32_e64 v1, 0, 1, s10
	ds_store_b32 v5, v1
	s_branch .LBB18_3
.LBB18_67:                              ;   in Loop: Header=BB18_4 Depth=1
	s_cbranch_execz .LBB18_4
.LBB18_68:
	s_mov_b32 s0, exec_lo
	v_cmpx_eq_u32_e32 0, v0
	s_cbranch_execz .LBB18_70
; %bb.69:
	s_mul_i32 s0, s1, ttmp7
	v_dual_mov_b32 v0, 0 :: v_dual_mov_b32 v1, s4
	s_add_co_i32 s0, s0, ttmp9
	s_delay_alu instid0(SALU_CYCLE_1) | instskip(NEXT) | instid1(SALU_CYCLE_1)
	s_ashr_i32 s1, s0, 31
	s_lshl_b64 s[0:1], s[0:1], 2
	s_delay_alu instid0(SALU_CYCLE_1)
	s_add_nc_u64 s[0:1], s[2:3], s[0:1]
	global_store_b32 v0, v1, s[0:1]
.LBB18_70:
	s_endpgm
	.section	.rodata,"a",@progbits
	.p2align	6, 0x0
	.amdhsa_kernel _ZL25flash_attn_mask_to_KV_maxILi16EEvPK7__half2Piiii
		.amdhsa_group_segment_fixed_size 128
		.amdhsa_private_segment_fixed_size 0
		.amdhsa_kernarg_size 288
		.amdhsa_user_sgpr_count 2
		.amdhsa_user_sgpr_dispatch_ptr 0
		.amdhsa_user_sgpr_queue_ptr 0
		.amdhsa_user_sgpr_kernarg_segment_ptr 1
		.amdhsa_user_sgpr_dispatch_id 0
		.amdhsa_user_sgpr_private_segment_size 0
		.amdhsa_wavefront_size32 1
		.amdhsa_uses_dynamic_stack 0
		.amdhsa_enable_private_segment 0
		.amdhsa_system_sgpr_workgroup_id_x 1
		.amdhsa_system_sgpr_workgroup_id_y 1
		.amdhsa_system_sgpr_workgroup_id_z 0
		.amdhsa_system_sgpr_workgroup_info 0
		.amdhsa_system_vgpr_workitem_id 0
		.amdhsa_next_free_vgpr 9
		.amdhsa_next_free_sgpr 42
		.amdhsa_reserve_vcc 1
		.amdhsa_float_round_mode_32 0
		.amdhsa_float_round_mode_16_64 0
		.amdhsa_float_denorm_mode_32 3
		.amdhsa_float_denorm_mode_16_64 3
		.amdhsa_fp16_overflow 0
		.amdhsa_workgroup_processor_mode 1
		.amdhsa_memory_ordered 1
		.amdhsa_forward_progress 1
		.amdhsa_inst_pref_size 20
		.amdhsa_round_robin_scheduling 0
		.amdhsa_exception_fp_ieee_invalid_op 0
		.amdhsa_exception_fp_denorm_src 0
		.amdhsa_exception_fp_ieee_div_zero 0
		.amdhsa_exception_fp_ieee_overflow 0
		.amdhsa_exception_fp_ieee_underflow 0
		.amdhsa_exception_fp_ieee_inexact 0
		.amdhsa_exception_int_div_zero 0
	.end_amdhsa_kernel
	.section	.text._ZL25flash_attn_mask_to_KV_maxILi16EEvPK7__half2Piiii,"axG",@progbits,_ZL25flash_attn_mask_to_KV_maxILi16EEvPK7__half2Piiii,comdat
.Lfunc_end18:
	.size	_ZL25flash_attn_mask_to_KV_maxILi16EEvPK7__half2Piiii, .Lfunc_end18-_ZL25flash_attn_mask_to_KV_maxILi16EEvPK7__half2Piiii
                                        ; -- End function
	.set _ZL25flash_attn_mask_to_KV_maxILi16EEvPK7__half2Piiii.num_vgpr, 9
	.set _ZL25flash_attn_mask_to_KV_maxILi16EEvPK7__half2Piiii.num_agpr, 0
	.set _ZL25flash_attn_mask_to_KV_maxILi16EEvPK7__half2Piiii.numbered_sgpr, 42
	.set _ZL25flash_attn_mask_to_KV_maxILi16EEvPK7__half2Piiii.num_named_barrier, 0
	.set _ZL25flash_attn_mask_to_KV_maxILi16EEvPK7__half2Piiii.private_seg_size, 0
	.set _ZL25flash_attn_mask_to_KV_maxILi16EEvPK7__half2Piiii.uses_vcc, 1
	.set _ZL25flash_attn_mask_to_KV_maxILi16EEvPK7__half2Piiii.uses_flat_scratch, 0
	.set _ZL25flash_attn_mask_to_KV_maxILi16EEvPK7__half2Piiii.has_dyn_sized_stack, 0
	.set _ZL25flash_attn_mask_to_KV_maxILi16EEvPK7__half2Piiii.has_recursion, 0
	.set _ZL25flash_attn_mask_to_KV_maxILi16EEvPK7__half2Piiii.has_indirect_call, 0
	.section	.AMDGPU.csdata,"",@progbits
; Kernel info:
; codeLenInByte = 2544
; TotalNumSgprs: 44
; NumVgprs: 9
; ScratchSize: 0
; MemoryBound: 0
; FloatMode: 240
; IeeeMode: 1
; LDSByteSize: 128 bytes/workgroup (compile time only)
; SGPRBlocks: 0
; VGPRBlocks: 1
; NumSGPRsForWavesPerEU: 44
; NumVGPRsForWavesPerEU: 9
; Occupancy: 16
; WaveLimiterHint : 0
; COMPUTE_PGM_RSRC2:SCRATCH_EN: 0
; COMPUTE_PGM_RSRC2:USER_SGPR: 2
; COMPUTE_PGM_RSRC2:TRAP_HANDLER: 0
; COMPUTE_PGM_RSRC2:TGID_X_EN: 1
; COMPUTE_PGM_RSRC2:TGID_Y_EN: 1
; COMPUTE_PGM_RSRC2:TGID_Z_EN: 0
; COMPUTE_PGM_RSRC2:TIDIG_COMP_CNT: 0
	.section	.text._ZL33flash_attn_stream_k_fixup_uniformILi128ELi16ELi4EEvPfPK15HIP_vector_typeIfLj2EEiiiiiiS1_IjLj3EES5_S5_,"axG",@progbits,_ZL33flash_attn_stream_k_fixup_uniformILi128ELi16ELi4EEvPfPK15HIP_vector_typeIfLj2EEiiiiiiS1_IjLj3EES5_S5_,comdat
	.globl	_ZL33flash_attn_stream_k_fixup_uniformILi128ELi16ELi4EEvPfPK15HIP_vector_typeIfLj2EEiiiiiiS1_IjLj3EES5_S5_ ; -- Begin function _ZL33flash_attn_stream_k_fixup_uniformILi128ELi16ELi4EEvPfPK15HIP_vector_typeIfLj2EEiiiiiiS1_IjLj3EES5_S5_
	.p2align	8
	.type	_ZL33flash_attn_stream_k_fixup_uniformILi128ELi16ELi4EEvPfPK15HIP_vector_typeIfLj2EEiiiiiiS1_IjLj3EES5_S5_,@function
_ZL33flash_attn_stream_k_fixup_uniformILi128ELi16ELi4EEvPfPK15HIP_vector_typeIfLj2EEiiiiiiS1_IjLj3EES5_S5_: ; @_ZL33flash_attn_stream_k_fixup_uniformILi128ELi16ELi4EEvPfPK15HIP_vector_typeIfLj2EEiiiiiiS1_IjLj3EES5_S5_
; %bb.0:
	s_clause 0x1
	s_load_b256 s[4:11], s[0:1], 0x1c
	s_load_b128 s[12:15], s[0:1], 0x3c
	s_wait_kmcnt 0x0
	s_mul_hi_u32 s2, s7, ttmp9
	s_delay_alu instid0(SALU_CYCLE_1) | instskip(NEXT) | instid1(SALU_CYCLE_1)
	s_add_co_i32 s2, ttmp9, s2
	s_lshr_b32 s2, s2, s8
	s_delay_alu instid0(SALU_CYCLE_1) | instskip(SKIP_2) | instid1(SALU_CYCLE_1)
	s_mul_i32 s3, s2, s9
	s_load_b64 s[8:9], s[0:1], 0x10
	s_sub_co_i32 s7, ttmp9, s3
	s_mul_hi_u32 s3, s7, s10
	s_delay_alu instid0(SALU_CYCLE_1) | instskip(NEXT) | instid1(SALU_CYCLE_1)
	s_add_co_i32 s3, s7, s3
	s_lshr_b32 s3, s3, s11
	s_delay_alu instid0(SALU_CYCLE_1) | instskip(NEXT) | instid1(SALU_CYCLE_1)
	s_mul_i32 s10, s3, s12
	s_sub_co_i32 s7, s7, s10
	s_delay_alu instid0(SALU_CYCLE_1) | instskip(NEXT) | instid1(SALU_CYCLE_1)
	s_mul_hi_u32 s10, s7, s13
	s_add_co_i32 s10, s7, s10
	s_delay_alu instid0(SALU_CYCLE_1) | instskip(NEXT) | instid1(SALU_CYCLE_1)
	s_lshr_b32 s12, s10, s14
	s_mul_i32 s10, s12, s15
	s_lshl_b32 s12, s12, 2
	s_sub_co_i32 s11, s7, s10
	s_and_b32 s7, ttmp7, 0xffff
	s_lshl_b32 s13, s11, 4
	s_lshr_b32 s10, ttmp7, 16
	s_add_co_i32 s13, s13, s7
	s_wait_kmcnt 0x0
	s_cmp_lt_i32 s13, s8
	s_cselect_b32 s13, -1, 0
	s_add_co_i32 s14, s12, s10
	s_delay_alu instid0(SALU_CYCLE_1) | instskip(SKIP_1) | instid1(SALU_CYCLE_1)
	s_cmp_lt_i32 s14, s5
	s_cselect_b32 s14, -1, 0
	s_and_b32 s13, s13, s14
	s_delay_alu instid0(SALU_CYCLE_1)
	s_and_not1_b32 vcc_lo, exec_lo, s13
	s_cbranch_vccnz .LBB19_6
; %bb.1:
	s_mul_i32 s2, s2, s8
	s_mul_i32 s5, s3, s5
	s_add_co_i32 s2, s2, s7
	s_delay_alu instid0(SALU_CYCLE_1) | instskip(NEXT) | instid1(SALU_CYCLE_1)
	s_mul_i32 s2, s2, s9
	s_add_co_i32 s8, s2, s10
	s_load_b128 s[0:3], s[0:1], 0x0
	s_add_co_i32 s5, s8, s5
	s_mul_i32 s8, s9, s11
	s_add_co_i32 s5, s5, s12
	s_lshl_b32 s8, s8, 11
	s_lshl_b32 s5, s5, 7
	s_delay_alu instid0(SALU_CYCLE_1)
	s_add_co_i32 s8, s8, s5
	s_lshl_b32 s5, s7, 2
	v_or_b32_e32 v1, s8, v0
	s_mul_i32 s8, s6, ttmp9
	s_wait_alu 0xfffe
	s_add_co_i32 s9, s8, s6
	s_wait_alu 0xfffe
	s_add_co_i32 s12, s9, -2
	v_ashrrev_i32_e32 v2, 31, v1
	s_delay_alu instid0(VALU_DEP_1) | instskip(SKIP_1) | instid1(VALU_DEP_1)
	v_lshlrev_b64_e32 v[1:2], 2, v[1:2]
	s_wait_kmcnt 0x0
	v_add_co_u32 v1, vcc_lo, s0, v1
	s_delay_alu instid0(VALU_DEP_1)
	v_add_co_ci_u32_e64 v2, null, s1, v2, vcc_lo
	s_add_co_i32 s0, s5, s10
	s_lshl_b32 s1, s9, 6
	global_load_b32 v5, v[1:2], off
	s_wait_alu 0xfffe
	s_add_co_i32 s0, s0, s1
	s_wait_alu 0xfffe
	s_sub_co_i32 s0, s0, 64
	s_wait_alu 0xfffe
	s_ashr_i32 s1, s0, 31
	s_wait_alu 0xfffe
	s_lshl_b64 s[0:1], s[0:1], 3
	s_cmp_lt_i32 s12, s8
	s_wait_alu 0xfffe
	s_add_nc_u64 s[0:1], s[2:3], s[0:1]
	s_load_b32 s11, s[0:1], 0x4
	s_cbranch_scc1 .LBB19_4
; %bb.2:
	s_load_b32 s0, s[0:1], 0x0
	s_add_co_i32 s13, ttmp9, 1
	s_lshl_b32 s12, s4, 8
	s_mul_i32 s1, s6, s13
	s_lshl_b32 s6, s7, 9
	s_lshl_b32 s7, s10, 7
	s_wait_alu 0xfffe
	s_lshl_b32 s14, s1, 13
	s_add_co_i32 s6, s7, s6
	s_lshl_b32 s1, s1, 6
	s_add_co_i32 s14, s6, s14
	s_wait_alu 0xfffe
	s_add_co_i32 s1, s10, s1
	v_or_b32_e32 v0, s14, v0
	s_lshl_b32 s4, s4, 6
	s_ashr_i32 s13, s12, 31
	s_wait_alu 0xfffe
	s_add_co_i32 s1, s1, s4
	s_wait_kmcnt 0x0
	v_dual_mov_b32 v6, s11 :: v_dual_add_nc_u32 v3, 0xffffc000, v0
	s_lshl_b64 s[6:7], s[12:13], 2
	s_wait_alu 0xfffe
	s_add_co_i32 s4, s1, s5
	s_add_nc_u64 s[6:7], s[2:3], s[6:7]
	s_add_co_i32 s1, s9, -1
	s_addk_co_i32 s4, 0xff80
.LBB19_3:                               ; =>This Inner Loop Header: Depth=1
	v_ashrrev_i32_e32 v4, 31, v3
	s_ashr_i32 s5, s4, 31
	v_mov_b32_e32 v10, v6
	s_lshl_b64 s[10:11], s[4:5], 3
	s_wait_loadcnt 0x0
	v_mov_b32_e32 v9, v5
	v_lshlrev_b64_e32 v[7:8], 2, v[3:4]
	s_wait_alu 0xfffe
	s_add_nc_u64 s[10:11], s[2:3], s[10:11]
	v_max_num_f32_e64 v4, s0, s0
	s_load_b64 s[10:11], s[10:11], 0x0
	v_add_nc_u32_e32 v3, 0xffffe000, v3
	v_add_co_u32 v7, vcc_lo, s6, v7
	s_wait_alu 0xfffd
	v_add_co_ci_u32_e64 v8, null, s7, v8, vcc_lo
	v_readfirstlane_b32 s5, v4
	global_load_b32 v0, v[7:8], off
	s_wait_kmcnt 0x0
	v_max_num_f32_e64 v4, s10, s10
	s_delay_alu instid0(VALU_DEP_1) | instskip(SKIP_1) | instid1(SALU_CYCLE_3)
	v_readfirstlane_b32 s9, v4
	s_max_num_f32 s5, s5, s9
	s_sub_f32 s0, s0, s5
	s_sub_f32 s9, s10, s5
	s_wait_alu 0xfffe
	s_delay_alu instid0(SALU_CYCLE_1) | instskip(NEXT) | instid1(SALU_CYCLE_1)
	s_mul_f32 s10, s0, 0x3fb8aa3b
	s_mul_f32 s12, s9, 0x3fb8aa3b
	s_wait_alu 0xfffe
	s_delay_alu instid0(SALU_CYCLE_1)
	s_xor_b32 s13, s10, 0x80000000
	s_rndne_f32 s14, s10
	s_fmamk_f32 s13, s0, 0x3fb8aa3b, s13
	s_cmp_nlt_f32 s0, 0xc2ce8ed0
	s_rndne_f32 s15, s12
	s_wait_alu 0xfffe
	s_sub_f32 s10, s10, s14
	s_fmamk_f32 s13, s0, 0x32a5705f, s13
	s_cvt_i32_f32 s14, s14
	s_cselect_b32 vcc_lo, -1, 0
	s_cmp_ngt_f32 s0, 0x42b17218
	s_wait_alu 0xfffe
	s_add_f32 s10, s10, s13
	s_sub_f32 s13, s12, s15
	s_wait_alu 0xfffe
	s_delay_alu instid0(SALU_CYCLE_1) | instskip(SKIP_1) | instid1(TRANS32_DEP_1)
	v_s_exp_f32 s10, s10
	s_wait_alu 0xf1ff
	v_ldexp_f32 v4, s10, s14
	s_cvt_i32_f32 s10, s15
	s_delay_alu instid0(VALU_DEP_1) | instskip(SKIP_3) | instid1(VALU_DEP_1)
	v_cndmask_b32_e32 v4, 0, v4, vcc_lo
	s_cselect_b32 vcc_lo, -1, 0
	s_cmp_ge_f32 s0, 0xc1a00000
	s_wait_alu 0xfffe
	v_cndmask_b32_e32 v4, 0x7f800000, v4, vcc_lo
	s_cselect_b32 vcc_lo, -1, 0
	s_xor_b32 s0, s12, 0x80000000
	s_cmp_nlt_f32 s9, 0xc2ce8ed0
	s_wait_alu 0xfffe
	s_fmamk_f32 s0, s9, 0x3fb8aa3b, s0
	s_wait_alu 0xfffe
	s_delay_alu instid0(SALU_CYCLE_2) | instskip(SKIP_1) | instid1(SALU_CYCLE_2)
	s_fmamk_f32 s0, s9, 0x32a5705f, s0
	s_wait_alu 0xfffe
	s_add_f32 s0, s13, s0
	s_wait_alu 0xfffe
	s_delay_alu instid0(SALU_CYCLE_2) | instskip(SKIP_1) | instid1(TRANS32_DEP_1)
	v_s_exp_f32 s0, s0
	s_wait_alu 0xf1ff
	v_ldexp_f32 v7, s0, s10
	s_cselect_b32 s0, -1, 0
	s_cmp_ngt_f32 s9, 0x42b17218
	s_wait_alu 0xfffe
	s_delay_alu instid0(VALU_DEP_1) | instskip(SKIP_3) | instid1(VALU_DEP_1)
	v_cndmask_b32_e64 v7, 0, v7, s0
	s_cselect_b32 s0, -1, 0
	s_cmp_ge_f32 s9, 0xc1a00000
	s_wait_alu 0xfffe
	v_cndmask_b32_e64 v7, 0x7f800000, v7, s0
	s_cselect_b32 s0, -1, 0
	s_add_co_i32 s1, s1, -1
	s_sub_co_i32 s4, s4, 64
	s_wait_alu 0xfffe
	s_cmp_le_i32 s1, s8
	v_cndmask_b32_e64 v7, 0, v7, s0
	s_mov_b32 s0, s5
	s_wait_loadcnt 0x0
	s_delay_alu instid0(VALU_DEP_1) | instskip(NEXT) | instid1(VALU_DEP_1)
	v_dual_mul_f32 v5, v0, v7 :: v_dual_cndmask_b32 v4, 0, v4
	v_dual_mul_f32 v8, s11, v7 :: v_dual_fmac_f32 v5, v9, v4
	s_delay_alu instid0(VALU_DEP_1) | instskip(NEXT) | instid1(VALU_DEP_1)
	v_mov_b32_e32 v6, v8
	v_fmac_f32_e32 v6, v10, v4
	s_cbranch_scc0 .LBB19_3
	s_branch .LBB19_5
.LBB19_4:
	s_wait_kmcnt 0x0
	v_mov_b32_e32 v6, s11
.LBB19_5:
	s_wait_loadcnt 0x0
	s_delay_alu instid0(VALU_DEP_1) | instskip(NEXT) | instid1(VALU_DEP_1)
	v_div_scale_f32 v0, null, v6, v6, v5
	v_rcp_f32_e32 v3, v0
	s_delay_alu instid0(TRANS32_DEP_1) | instskip(NEXT) | instid1(VALU_DEP_1)
	v_fma_f32 v4, -v0, v3, 1.0
	v_fmac_f32_e32 v3, v4, v3
	v_div_scale_f32 v4, vcc_lo, v5, v6, v5
	s_delay_alu instid0(VALU_DEP_1) | instskip(NEXT) | instid1(VALU_DEP_1)
	v_mul_f32_e32 v7, v4, v3
	v_fma_f32 v8, -v0, v7, v4
	s_delay_alu instid0(VALU_DEP_1) | instskip(NEXT) | instid1(VALU_DEP_1)
	v_fmac_f32_e32 v7, v8, v3
	v_fma_f32 v0, -v0, v7, v4
	s_wait_alu 0xfffd
	s_delay_alu instid0(VALU_DEP_1) | instskip(NEXT) | instid1(VALU_DEP_1)
	v_div_fmas_f32 v0, v0, v3, v7
	v_div_fixup_f32 v0, v0, v6, v5
	global_store_b32 v[1:2], v0, off
.LBB19_6:
	s_endpgm
	.section	.rodata,"a",@progbits
	.p2align	6, 0x0
	.amdhsa_kernel _ZL33flash_attn_stream_k_fixup_uniformILi128ELi16ELi4EEvPfPK15HIP_vector_typeIfLj2EEiiiiiiS1_IjLj3EES5_S5_
		.amdhsa_group_segment_fixed_size 0
		.amdhsa_private_segment_fixed_size 0
		.amdhsa_kernarg_size 76
		.amdhsa_user_sgpr_count 2
		.amdhsa_user_sgpr_dispatch_ptr 0
		.amdhsa_user_sgpr_queue_ptr 0
		.amdhsa_user_sgpr_kernarg_segment_ptr 1
		.amdhsa_user_sgpr_dispatch_id 0
		.amdhsa_user_sgpr_private_segment_size 0
		.amdhsa_wavefront_size32 1
		.amdhsa_uses_dynamic_stack 0
		.amdhsa_enable_private_segment 0
		.amdhsa_system_sgpr_workgroup_id_x 1
		.amdhsa_system_sgpr_workgroup_id_y 1
		.amdhsa_system_sgpr_workgroup_id_z 1
		.amdhsa_system_sgpr_workgroup_info 0
		.amdhsa_system_vgpr_workitem_id 0
		.amdhsa_next_free_vgpr 11
		.amdhsa_next_free_sgpr 16
		.amdhsa_reserve_vcc 1
		.amdhsa_float_round_mode_32 0
		.amdhsa_float_round_mode_16_64 0
		.amdhsa_float_denorm_mode_32 3
		.amdhsa_float_denorm_mode_16_64 3
		.amdhsa_fp16_overflow 0
		.amdhsa_workgroup_processor_mode 1
		.amdhsa_memory_ordered 1
		.amdhsa_forward_progress 1
		.amdhsa_inst_pref_size 9
		.amdhsa_round_robin_scheduling 0
		.amdhsa_exception_fp_ieee_invalid_op 0
		.amdhsa_exception_fp_denorm_src 0
		.amdhsa_exception_fp_ieee_div_zero 0
		.amdhsa_exception_fp_ieee_overflow 0
		.amdhsa_exception_fp_ieee_underflow 0
		.amdhsa_exception_fp_ieee_inexact 0
		.amdhsa_exception_int_div_zero 0
	.end_amdhsa_kernel
	.section	.text._ZL33flash_attn_stream_k_fixup_uniformILi128ELi16ELi4EEvPfPK15HIP_vector_typeIfLj2EEiiiiiiS1_IjLj3EES5_S5_,"axG",@progbits,_ZL33flash_attn_stream_k_fixup_uniformILi128ELi16ELi4EEvPfPK15HIP_vector_typeIfLj2EEiiiiiiS1_IjLj3EES5_S5_,comdat
.Lfunc_end19:
	.size	_ZL33flash_attn_stream_k_fixup_uniformILi128ELi16ELi4EEvPfPK15HIP_vector_typeIfLj2EEiiiiiiS1_IjLj3EES5_S5_, .Lfunc_end19-_ZL33flash_attn_stream_k_fixup_uniformILi128ELi16ELi4EEvPfPK15HIP_vector_typeIfLj2EEiiiiiiS1_IjLj3EES5_S5_
                                        ; -- End function
	.set _ZL33flash_attn_stream_k_fixup_uniformILi128ELi16ELi4EEvPfPK15HIP_vector_typeIfLj2EEiiiiiiS1_IjLj3EES5_S5_.num_vgpr, 11
	.set _ZL33flash_attn_stream_k_fixup_uniformILi128ELi16ELi4EEvPfPK15HIP_vector_typeIfLj2EEiiiiiiS1_IjLj3EES5_S5_.num_agpr, 0
	.set _ZL33flash_attn_stream_k_fixup_uniformILi128ELi16ELi4EEvPfPK15HIP_vector_typeIfLj2EEiiiiiiS1_IjLj3EES5_S5_.numbered_sgpr, 16
	.set _ZL33flash_attn_stream_k_fixup_uniformILi128ELi16ELi4EEvPfPK15HIP_vector_typeIfLj2EEiiiiiiS1_IjLj3EES5_S5_.num_named_barrier, 0
	.set _ZL33flash_attn_stream_k_fixup_uniformILi128ELi16ELi4EEvPfPK15HIP_vector_typeIfLj2EEiiiiiiS1_IjLj3EES5_S5_.private_seg_size, 0
	.set _ZL33flash_attn_stream_k_fixup_uniformILi128ELi16ELi4EEvPfPK15HIP_vector_typeIfLj2EEiiiiiiS1_IjLj3EES5_S5_.uses_vcc, 1
	.set _ZL33flash_attn_stream_k_fixup_uniformILi128ELi16ELi4EEvPfPK15HIP_vector_typeIfLj2EEiiiiiiS1_IjLj3EES5_S5_.uses_flat_scratch, 0
	.set _ZL33flash_attn_stream_k_fixup_uniformILi128ELi16ELi4EEvPfPK15HIP_vector_typeIfLj2EEiiiiiiS1_IjLj3EES5_S5_.has_dyn_sized_stack, 0
	.set _ZL33flash_attn_stream_k_fixup_uniformILi128ELi16ELi4EEvPfPK15HIP_vector_typeIfLj2EEiiiiiiS1_IjLj3EES5_S5_.has_recursion, 0
	.set _ZL33flash_attn_stream_k_fixup_uniformILi128ELi16ELi4EEvPfPK15HIP_vector_typeIfLj2EEiiiiiiS1_IjLj3EES5_S5_.has_indirect_call, 0
	.section	.AMDGPU.csdata,"",@progbits
; Kernel info:
; codeLenInByte = 1140
; TotalNumSgprs: 18
; NumVgprs: 11
; ScratchSize: 0
; MemoryBound: 0
; FloatMode: 240
; IeeeMode: 1
; LDSByteSize: 0 bytes/workgroup (compile time only)
; SGPRBlocks: 0
; VGPRBlocks: 1
; NumSGPRsForWavesPerEU: 18
; NumVGPRsForWavesPerEU: 11
; Occupancy: 16
; WaveLimiterHint : 0
; COMPUTE_PGM_RSRC2:SCRATCH_EN: 0
; COMPUTE_PGM_RSRC2:USER_SGPR: 2
; COMPUTE_PGM_RSRC2:TRAP_HANDLER: 0
; COMPUTE_PGM_RSRC2:TGID_X_EN: 1
; COMPUTE_PGM_RSRC2:TGID_Y_EN: 1
; COMPUTE_PGM_RSRC2:TGID_Z_EN: 1
; COMPUTE_PGM_RSRC2:TIDIG_COMP_CNT: 0
	.section	.text._ZL33flash_attn_stream_k_fixup_generalILi128ELi16ELi4EEvPfPK15HIP_vector_typeIfLj2EEiiiiS1_IjLj3EES5_S5_S5_,"axG",@progbits,_ZL33flash_attn_stream_k_fixup_generalILi128ELi16ELi4EEvPfPK15HIP_vector_typeIfLj2EEiiiiS1_IjLj3EES5_S5_S5_,comdat
	.globl	_ZL33flash_attn_stream_k_fixup_generalILi128ELi16ELi4EEvPfPK15HIP_vector_typeIfLj2EEiiiiS1_IjLj3EES5_S5_S5_ ; -- Begin function _ZL33flash_attn_stream_k_fixup_generalILi128ELi16ELi4EEvPfPK15HIP_vector_typeIfLj2EEiiiiS1_IjLj3EES5_S5_S5_
	.p2align	8
	.type	_ZL33flash_attn_stream_k_fixup_generalILi128ELi16ELi4EEvPfPK15HIP_vector_typeIfLj2EEiiiiS1_IjLj3EES5_S5_S5_,@function
_ZL33flash_attn_stream_k_fixup_generalILi128ELi16ELi4EEvPfPK15HIP_vector_typeIfLj2EEiiiiS1_IjLj3EES5_S5_S5_: ; @_ZL33flash_attn_stream_k_fixup_generalILi128ELi16ELi4EEvPfPK15HIP_vector_typeIfLj2EEiiiiS1_IjLj3EES5_S5_S5_
; %bb.0:
	s_clause 0x1
	s_load_b128 s[4:7], s[0:1], 0x10
	s_load_b32 s16, s[0:1], 0x50
	s_mov_b32 s2, ttmp9
	s_ashr_i32 s3, ttmp9, 31
	s_mov_b32 s17, 0
	s_delay_alu instid0(SALU_CYCLE_1) | instskip(SKIP_3) | instid1(SALU_CYCLE_1)
	s_mov_b32 s8, s17
	s_wait_kmcnt 0x0
	s_ashr_i32 s19, s7, 31
	s_mov_b32 s18, s7
	s_mul_u64 s[2:3], s[18:19], s[2:3]
	s_delay_alu instid0(SALU_CYCLE_1) | instskip(NEXT) | instid1(SALU_CYCLE_1)
	s_mov_b32 s9, s3
	s_cmp_lg_u64 s[8:9], 0
	s_cbranch_scc0 .LBB20_21
; %bb.1:
	s_add_nc_u64 s[8:9], s[16:17], 0
	s_mov_b32 s15, s17
	s_xor_b64 s[8:9], s[8:9], 0
	s_mov_b32 s23, s17
	s_cvt_f32_u32 s7, s8
	s_cvt_f32_u32 s10, s9
	s_sub_nc_u64 s[12:13], 0, s[8:9]
	s_delay_alu instid0(SALU_CYCLE_2) | instskip(NEXT) | instid1(SALU_CYCLE_3)
	s_fmamk_f32 s7, s10, 0x4f800000, s7
	v_s_rcp_f32 s7, s7
	s_delay_alu instid0(TRANS32_DEP_1) | instskip(SKIP_1) | instid1(SALU_CYCLE_2)
	s_mul_f32 s7, s7, 0x5f7ffffc
	s_wait_alu 0xfffe
	s_mul_f32 s10, s7, 0x2f800000
	s_delay_alu instid0(SALU_CYCLE_3) | instskip(NEXT) | instid1(SALU_CYCLE_3)
	s_trunc_f32 s10, s10
	s_fmamk_f32 s7, s10, 0xcf800000, s7
	s_cvt_u32_f32 s11, s10
	s_wait_alu 0xfffe
	s_delay_alu instid0(SALU_CYCLE_1) | instskip(NEXT) | instid1(SALU_CYCLE_3)
	s_cvt_u32_f32 s10, s7
	s_mul_u64 s[20:21], s[12:13], s[10:11]
	s_delay_alu instid0(SALU_CYCLE_1)
	s_mul_hi_u32 s25, s10, s21
	s_mul_i32 s24, s10, s21
	s_mul_hi_u32 s14, s10, s20
	s_mul_i32 s22, s11, s20
	s_add_nc_u64 s[14:15], s[14:15], s[24:25]
	s_mul_hi_u32 s7, s11, s20
	s_mul_hi_u32 s26, s11, s21
	s_add_co_u32 s14, s14, s22
	s_wait_alu 0xfffe
	s_add_co_ci_u32 s22, s15, s7
	s_mul_i32 s20, s11, s21
	s_add_co_ci_u32 s21, s26, 0
	s_delay_alu instid0(SALU_CYCLE_1)
	s_add_nc_u64 s[14:15], s[22:23], s[20:21]
	s_mov_b32 s21, s17
	s_add_co_u32 s10, s10, s14
	s_cselect_b32 s7, -1, 0
	s_wait_alu 0xfffe
	s_cmp_lg_u32 s7, 0
	s_add_co_ci_u32 s11, s11, s15
	s_mov_b32 s15, s17
	s_mul_u64 s[12:13], s[12:13], s[10:11]
	s_delay_alu instid0(SALU_CYCLE_1)
	s_mul_hi_u32 s23, s10, s13
	s_mul_i32 s22, s10, s13
	s_mul_hi_u32 s14, s10, s12
	s_mul_i32 s20, s11, s12
	s_add_nc_u64 s[14:15], s[14:15], s[22:23]
	s_mul_hi_u32 s7, s11, s12
	s_mul_hi_u32 s24, s11, s13
	s_mul_i32 s12, s11, s13
	s_add_co_u32 s13, s14, s20
	s_wait_alu 0xfffe
	s_add_co_ci_u32 s20, s15, s7
	s_add_co_ci_u32 s13, s24, 0
	s_mov_b32 s15, s17
	s_add_nc_u64 s[12:13], s[20:21], s[12:13]
	s_delay_alu instid0(SALU_CYCLE_1) | instskip(SKIP_1) | instid1(SALU_CYCLE_1)
	s_add_co_u32 s7, s10, s12
	s_cselect_b32 s10, -1, 0
	s_cmp_lg_u32 s10, 0
	s_add_co_ci_u32 s20, s11, s13
	s_ashr_i32 s10, s3, 31
	s_delay_alu instid0(SALU_CYCLE_1) | instskip(NEXT) | instid1(SALU_CYCLE_1)
	s_mov_b32 s11, s10
	s_add_nc_u64 s[12:13], s[2:3], s[10:11]
	s_delay_alu instid0(SALU_CYCLE_1) | instskip(NEXT) | instid1(SALU_CYCLE_1)
	s_xor_b64 s[12:13], s[12:13], s[10:11]
	s_mul_hi_u32 s23, s12, s20
	s_mul_i32 s22, s12, s20
	s_wait_alu 0xfffe
	s_mul_hi_u32 s14, s12, s7
	s_mul_hi_u32 s24, s13, s7
	s_mul_i32 s7, s13, s7
	s_add_nc_u64 s[14:15], s[14:15], s[22:23]
	s_mul_hi_u32 s3, s13, s20
	s_wait_alu 0xfffe
	s_add_co_u32 s7, s14, s7
	s_mul_i32 s22, s13, s20
	s_add_co_ci_u32 s20, s15, s24
	s_add_co_ci_u32 s23, s3, 0
	s_delay_alu instid0(SALU_CYCLE_1) | instskip(NEXT) | instid1(SALU_CYCLE_1)
	s_add_nc_u64 s[14:15], s[20:21], s[22:23]
	s_mul_u64 s[20:21], s[8:9], s[14:15]
	s_delay_alu instid0(SALU_CYCLE_1)
	s_sub_co_u32 s3, s12, s20
	s_cselect_b32 s7, -1, 0
	s_sub_co_i32 s12, s13, s21
	s_wait_alu 0xfffe
	s_cmp_lg_u32 s7, 0
	s_sub_co_ci_u32 s12, s12, s9
	s_sub_co_u32 s20, s3, s8
	s_cselect_b32 s22, -1, 0
	s_delay_alu instid0(SALU_CYCLE_1) | instskip(SKIP_2) | instid1(SALU_CYCLE_1)
	s_cmp_lg_u32 s22, 0
	s_add_nc_u64 s[22:23], s[14:15], 1
	s_sub_co_ci_u32 s12, s12, 0
	s_cmp_ge_u32 s12, s9
	s_cselect_b32 s24, -1, 0
	s_cmp_ge_u32 s20, s8
	s_cselect_b32 s20, -1, 0
	s_cmp_eq_u32 s12, s9
	s_cselect_b32 s12, s20, s24
	s_add_nc_u64 s[24:25], s[14:15], 2
	s_cmp_lg_u32 s12, 0
	s_cselect_b32 s12, s24, s22
	s_cselect_b32 s20, s25, s23
	s_cmp_lg_u32 s7, 0
	s_sub_co_ci_u32 s7, s13, s21
	s_wait_alu 0xfffe
	s_cmp_ge_u32 s7, s9
	s_cselect_b32 s13, -1, 0
	s_cmp_ge_u32 s3, s8
	s_cselect_b32 s3, -1, 0
	s_cmp_eq_u32 s7, s9
	s_cselect_b32 s3, s3, s13
	s_delay_alu instid0(SALU_CYCLE_1) | instskip(SKIP_4) | instid1(SALU_CYCLE_1)
	s_cmp_lg_u32 s3, 0
	s_mov_b32 s3, s17
	s_cselect_b32 s9, s20, s15
	s_cselect_b32 s8, s12, s14
	s_xor_b64 s[10:11], s[10:11], 0
	s_xor_b64 s[8:9], s[8:9], s[10:11]
	s_delay_alu instid0(SALU_CYCLE_1)
	s_sub_nc_u64 s[20:21], s[8:9], s[10:11]
	s_and_not1_b32 vcc_lo, exec_lo, s3
	s_cbranch_vccnz .LBB20_3
.LBB20_2:
	v_cvt_f32_u32_e32 v1, s16
	s_sub_co_i32 s7, 0, s16
	s_delay_alu instid0(VALU_DEP_1) | instskip(NEXT) | instid1(TRANS32_DEP_1)
	v_rcp_iflag_f32_e32 v1, v1
	v_mul_f32_e32 v1, 0x4f7ffffe, v1
	s_delay_alu instid0(VALU_DEP_1) | instskip(NEXT) | instid1(VALU_DEP_1)
	v_cvt_u32_f32_e32 v1, v1
	v_readfirstlane_b32 s3, v1
	s_wait_alu 0xfffe
	s_mul_i32 s7, s7, s3
	s_wait_alu 0xfffe
	s_mul_hi_u32 s7, s3, s7
	s_wait_alu 0xfffe
	s_add_co_i32 s3, s3, s7
	s_delay_alu instid0(SALU_CYCLE_1) | instskip(NEXT) | instid1(SALU_CYCLE_1)
	s_mul_hi_u32 s3, s2, s3
	s_mul_i32 s7, s3, s16
	s_wait_alu 0xfffe
	s_sub_co_i32 s2, s2, s7
	s_add_co_i32 s7, s3, 1
	s_sub_co_i32 s8, s2, s16
	s_cmp_ge_u32 s2, s16
	s_wait_alu 0xfffe
	s_cselect_b32 s3, s7, s3
	s_cselect_b32 s2, s8, s2
	s_add_co_i32 s7, s3, 1
	s_cmp_ge_u32 s2, s16
	s_wait_alu 0xfffe
	s_cselect_b32 s20, s7, s3
.LBB20_3:
	s_add_co_i32 s2, ttmp9, 1
	s_mov_b32 s8, 0
	s_ashr_i32 s3, s2, 31
	s_delay_alu instid0(SALU_CYCLE_1) | instskip(NEXT) | instid1(SALU_CYCLE_1)
	s_mul_u64 s[2:3], s[18:19], s[2:3]
	s_mov_b32 s9, s3
	s_delay_alu instid0(SALU_CYCLE_1)
	s_cmp_lg_u64 s[8:9], 0
	s_cbranch_scc0 .LBB20_22
; %bb.4:
	s_add_nc_u64 s[10:11], s[16:17], 0
	s_mov_b32 s23, s8
	s_xor_b64 s[10:11], s[10:11], 0
	s_mov_b32 s27, s8
	s_cvt_f32_u32 s7, s10
	s_cvt_f32_u32 s9, s11
	s_sub_nc_u64 s[14:15], 0, s[10:11]
	s_wait_alu 0xfffe
	s_delay_alu instid0(SALU_CYCLE_1) | instskip(SKIP_1) | instid1(SALU_CYCLE_2)
	s_fmamk_f32 s7, s9, 0x4f800000, s7
	s_wait_alu 0xfffe
	v_s_rcp_f32 s7, s7
	s_delay_alu instid0(TRANS32_DEP_1) | instskip(SKIP_1) | instid1(SALU_CYCLE_2)
	s_mul_f32 s7, s7, 0x5f7ffffc
	s_wait_alu 0xfffe
	s_mul_f32 s9, s7, 0x2f800000
	s_delay_alu instid0(SALU_CYCLE_3) | instskip(NEXT) | instid1(SALU_CYCLE_3)
	s_trunc_f32 s9, s9
	s_fmamk_f32 s7, s9, 0xcf800000, s7
	s_cvt_u32_f32 s13, s9
	s_wait_alu 0xfffe
	s_delay_alu instid0(SALU_CYCLE_1) | instskip(NEXT) | instid1(SALU_CYCLE_3)
	s_cvt_u32_f32 s12, s7
	s_mul_u64 s[24:25], s[14:15], s[12:13]
	s_delay_alu instid0(SALU_CYCLE_1)
	s_mul_hi_u32 s29, s12, s25
	s_mul_i32 s28, s12, s25
	s_mul_hi_u32 s22, s12, s24
	s_mul_i32 s9, s13, s24
	s_add_nc_u64 s[22:23], s[22:23], s[28:29]
	s_mul_hi_u32 s7, s13, s24
	s_mul_hi_u32 s21, s13, s25
	s_add_co_u32 s9, s22, s9
	s_wait_alu 0xfffe
	s_add_co_ci_u32 s26, s23, s7
	s_mul_i32 s24, s13, s25
	s_add_co_ci_u32 s25, s21, 0
	s_delay_alu instid0(SALU_CYCLE_1)
	s_add_nc_u64 s[22:23], s[26:27], s[24:25]
	s_mov_b32 s25, s8
	s_add_co_u32 s12, s12, s22
	s_cselect_b32 s7, -1, 0
	s_wait_alu 0xfffe
	s_cmp_lg_u32 s7, 0
	s_add_co_ci_u32 s13, s13, s23
	s_mov_b32 s23, s8
	s_mul_u64 s[14:15], s[14:15], s[12:13]
	s_delay_alu instid0(SALU_CYCLE_1)
	s_mul_hi_u32 s27, s12, s15
	s_mul_i32 s26, s12, s15
	s_mul_hi_u32 s22, s12, s14
	s_mul_i32 s9, s13, s14
	s_add_nc_u64 s[22:23], s[22:23], s[26:27]
	s_mul_hi_u32 s7, s13, s14
	s_mul_hi_u32 s21, s13, s15
	s_add_co_u32 s9, s22, s9
	s_wait_alu 0xfffe
	s_add_co_ci_u32 s24, s23, s7
	s_mul_i32 s14, s13, s15
	s_add_co_ci_u32 s15, s21, 0
	s_mov_b32 s23, s8
	s_add_nc_u64 s[14:15], s[24:25], s[14:15]
	s_delay_alu instid0(SALU_CYCLE_1) | instskip(SKIP_1) | instid1(SALU_CYCLE_1)
	s_add_co_u32 s7, s12, s14
	s_cselect_b32 s9, -1, 0
	s_cmp_lg_u32 s9, 0
	s_add_co_ci_u32 s9, s13, s15
	s_ashr_i32 s12, s3, 31
	s_delay_alu instid0(SALU_CYCLE_1) | instskip(NEXT) | instid1(SALU_CYCLE_1)
	s_mov_b32 s13, s12
	s_add_nc_u64 s[14:15], s[2:3], s[12:13]
	s_delay_alu instid0(SALU_CYCLE_1) | instskip(NEXT) | instid1(SALU_CYCLE_1)
	s_xor_b64 s[14:15], s[14:15], s[12:13]
	s_mul_hi_u32 s27, s14, s9
	s_mul_i32 s26, s14, s9
	s_wait_alu 0xfffe
	s_mul_hi_u32 s22, s14, s7
	s_mul_hi_u32 s21, s15, s7
	s_mul_i32 s7, s15, s7
	s_add_nc_u64 s[22:23], s[22:23], s[26:27]
	s_mul_hi_u32 s3, s15, s9
	s_wait_alu 0xfffe
	s_add_co_u32 s7, s22, s7
	s_add_co_ci_u32 s24, s23, s21
	s_mul_i32 s26, s15, s9
	s_add_co_ci_u32 s27, s3, 0
	s_delay_alu instid0(SALU_CYCLE_1) | instskip(NEXT) | instid1(SALU_CYCLE_1)
	s_add_nc_u64 s[22:23], s[24:25], s[26:27]
	s_mul_u64 s[24:25], s[10:11], s[22:23]
	s_add_nc_u64 s[26:27], s[22:23], 1
	s_sub_co_u32 s3, s14, s24
	s_cselect_b32 s7, -1, 0
	s_sub_co_i32 s9, s15, s25
	s_wait_alu 0xfffe
	s_cmp_lg_u32 s7, 0
	s_add_nc_u64 s[28:29], s[22:23], 2
	s_sub_co_ci_u32 s9, s9, s11
	s_sub_co_u32 s14, s3, s10
	s_cselect_b32 s21, -1, 0
	s_delay_alu instid0(SALU_CYCLE_1) | instskip(SKIP_1) | instid1(SALU_CYCLE_1)
	s_cmp_lg_u32 s21, 0
	s_sub_co_ci_u32 s9, s9, 0
	s_cmp_ge_u32 s9, s11
	s_cselect_b32 s21, -1, 0
	s_cmp_ge_u32 s14, s10
	s_cselect_b32 s14, -1, 0
	s_cmp_eq_u32 s9, s11
	s_cselect_b32 s9, s14, s21
	s_delay_alu instid0(SALU_CYCLE_1)
	s_cmp_lg_u32 s9, 0
	s_cselect_b32 s9, s28, s26
	s_cselect_b32 s14, s29, s27
	s_cmp_lg_u32 s7, 0
	s_sub_co_ci_u32 s7, s15, s25
	s_wait_alu 0xfffe
	s_cmp_ge_u32 s7, s11
	s_cselect_b32 s15, -1, 0
	s_cmp_ge_u32 s3, s10
	s_cselect_b32 s3, -1, 0
	s_cmp_eq_u32 s7, s11
	s_cselect_b32 s3, s3, s15
	s_delay_alu instid0(SALU_CYCLE_1) | instskip(SKIP_3) | instid1(SALU_CYCLE_1)
	s_cmp_lg_u32 s3, 0
	s_cselect_b32 s11, s14, s23
	s_cselect_b32 s10, s9, s22
	s_xor_b64 s[12:13], s[12:13], 0
	s_xor_b64 s[10:11], s[10:11], s[12:13]
	s_delay_alu instid0(SALU_CYCLE_1)
	s_sub_nc_u64 s[10:11], s[10:11], s[12:13]
	s_load_b96 s[12:14], s[0:1], 0x44
	s_and_not1_b32 vcc_lo, exec_lo, s8
	s_cbranch_vccnz .LBB20_6
.LBB20_5:
	v_cvt_f32_u32_e32 v1, s16
	s_sub_co_i32 s7, 0, s16
	s_delay_alu instid0(VALU_DEP_1) | instskip(NEXT) | instid1(TRANS32_DEP_1)
	v_rcp_iflag_f32_e32 v1, v1
	v_mul_f32_e32 v1, 0x4f7ffffe, v1
	s_delay_alu instid0(VALU_DEP_1) | instskip(NEXT) | instid1(VALU_DEP_1)
	v_cvt_u32_f32_e32 v1, v1
	v_readfirstlane_b32 s3, v1
	s_wait_alu 0xfffe
	s_mul_i32 s7, s7, s3
	s_wait_alu 0xfffe
	s_mul_hi_u32 s7, s3, s7
	s_wait_alu 0xfffe
	s_add_co_i32 s3, s3, s7
	s_delay_alu instid0(SALU_CYCLE_1) | instskip(NEXT) | instid1(SALU_CYCLE_1)
	s_mul_hi_u32 s3, s2, s3
	s_mul_i32 s7, s3, s16
	s_wait_alu 0xfffe
	s_sub_co_i32 s2, s2, s7
	s_add_co_i32 s7, s3, 1
	s_sub_co_i32 s8, s2, s16
	s_cmp_ge_u32 s2, s16
	s_wait_alu 0xfffe
	s_cselect_b32 s3, s7, s3
	s_cselect_b32 s2, s8, s2
	s_add_co_i32 s7, s3, 1
	s_cmp_ge_u32 s2, s16
	s_wait_alu 0xfffe
	s_cselect_b32 s10, s7, s3
.LBB20_6:
	s_mov_b32 s21, 0
	s_wait_kmcnt 0x0
	s_mov_b32 s22, s12
	s_mov_b32 s23, s21
	s_cmp_eq_u32 s20, s10
	s_mul_u64 s[2:3], s[20:21], s[22:23]
	s_cselect_b32 s7, -1, 0
	s_add_co_i32 s2, s3, s20
	s_mov_b32 s11, s21
	s_lshr_b32 s12, s2, s13
	s_mul_u64 s[2:3], s[10:11], s[22:23]
	s_mul_i32 s2, s12, s14
	s_delay_alu instid0(SALU_CYCLE_1) | instskip(SKIP_2) | instid1(SALU_CYCLE_1)
	s_cmp_eq_u32 s2, s20
	s_cselect_b32 s2, -1, 0
	s_add_co_i32 s3, s3, s10
	s_lshr_b32 s3, s3, s13
	s_delay_alu instid0(SALU_CYCLE_1)
	s_cmp_eq_u32 s12, s3
	s_mul_i32 s3, s3, s14
	s_cselect_b32 s8, -1, 0
	s_cmp_lg_u32 s3, s10
	s_cselect_b32 s3, -1, 0
	s_wait_alu 0xfffe
	s_or_b32 s2, s7, s2
	s_and_b32 s3, s8, s3
	s_delay_alu instid0(SALU_CYCLE_1) | instskip(NEXT) | instid1(SALU_CYCLE_1)
	s_or_b32 s2, s2, s3
	s_and_b32 vcc_lo, exec_lo, s2
	s_cbranch_vccnz .LBB20_24
; %bb.7:
	s_load_b256 s[24:31], s[0:1], 0x20
	s_mov_b32 s3, s21
	s_wait_kmcnt 0x0
	s_mov_b32 s2, s24
	s_delay_alu instid0(SALU_CYCLE_1) | instskip(NEXT) | instid1(SALU_CYCLE_1)
	s_mul_u64 s[2:3], s[20:21], s[2:3]
	s_add_co_i32 s2, s3, s20
	s_delay_alu instid0(SALU_CYCLE_1) | instskip(SKIP_2) | instid1(SALU_CYCLE_1)
	s_lshr_b32 s7, s2, s25
	s_load_b32 s2, s[0:1], 0x40
	s_mul_i32 s3, s7, s26
	s_sub_co_i32 s3, s20, s3
	s_delay_alu instid0(SALU_CYCLE_1) | instskip(NEXT) | instid1(SALU_CYCLE_1)
	s_mul_hi_u32 s8, s3, s27
	s_add_co_i32 s8, s3, s8
	s_delay_alu instid0(SALU_CYCLE_1) | instskip(NEXT) | instid1(SALU_CYCLE_1)
	s_lshr_b32 s8, s8, s28
	s_mul_i32 s9, s8, s29
	s_delay_alu instid0(SALU_CYCLE_1) | instskip(NEXT) | instid1(SALU_CYCLE_1)
	s_sub_co_i32 s9, s3, s9
	s_mul_hi_u32 s3, s9, s30
	s_delay_alu instid0(SALU_CYCLE_1) | instskip(NEXT) | instid1(SALU_CYCLE_1)
	s_add_co_i32 s3, s9, s3
	s_lshr_b32 s24, s3, s31
	s_mov_b32 s3, s21
	s_wait_kmcnt 0x0
	s_mul_i32 s2, s24, s2
	s_lshl_b32 s21, s24, 2
	s_sub_co_i32 s2, s9, s2
	s_delay_alu instid0(SALU_CYCLE_1) | instskip(SKIP_2) | instid1(SALU_CYCLE_1)
	s_mul_u64 s[10:11], s[2:3], s[22:23]
	s_lshr_b32 s3, ttmp7, 16
	s_add_co_i32 s2, s2, s11
	s_lshr_b32 s15, s2, s13
	s_and_b32 s2, ttmp7, 0xffff
	s_lshl_b32 s9, s15, 4
	s_delay_alu instid0(SALU_CYCLE_1) | instskip(NEXT) | instid1(SALU_CYCLE_1)
	s_add_co_i32 s9, s9, s2
	s_cmp_lt_i32 s9, s4
	s_cselect_b32 s9, -1, 0
	s_add_co_i32 s10, s21, s3
	s_delay_alu instid0(SALU_CYCLE_1) | instskip(SKIP_1) | instid1(SALU_CYCLE_1)
	s_cmp_lt_i32 s10, s6
	s_cselect_b32 s10, -1, 0
	s_and_b32 s9, s9, s10
	s_delay_alu instid0(SALU_CYCLE_1)
	s_and_not1_b32 vcc_lo, exec_lo, s9
	s_cbranch_vccnz .LBB20_24
; %bb.8:
	s_mul_i32 s4, s7, s4
	s_mul_i32 s6, s8, s6
	s_add_co_i32 s4, s4, s2
	s_load_b128 s[8:11], s[0:1], 0x0
	s_mul_i32 s4, s4, s5
	s_mul_i32 s1, s5, s15
	s_add_co_i32 s4, s4, s3
	s_lshl_b32 s1, s1, 11
	s_add_co_i32 s0, s4, s6
	s_lshl_b32 s15, s2, 2
	s_add_co_i32 s0, s0, s21
	s_add_co_i32 s15, s15, s3
	s_lshl_b32 s0, s0, 7
	v_cvt_f32_u32_e32 v4, s16
	s_add_co_i32 s1, s1, s0
	s_add_co_i32 s34, ttmp9, -1
	v_or_b32_e32 v1, s1, v0
	s_add_nc_u64 s[0:1], s[16:17], 0
	v_rcp_iflag_f32_e32 v4, v4
	s_wait_alu 0xfffe
	s_xor_b64 s[6:7], s[0:1], 0
	s_lshl_b32 s0, ttmp9, 6
	v_ashrrev_i32_e32 v2, 31, v1
	s_wait_alu 0xfffe
	s_cvt_f32_u32 s1, s6
	s_cvt_f32_u32 s2, s7
	s_add_co_i32 s0, s15, s0
	v_lshl_or_b32 v0, s15, 7, v0
	v_lshlrev_b64_e32 v[1:2], 2, v[1:2]
	s_wait_alu 0xfffe
	s_fmamk_f32 s2, s2, 0x4f800000, s1
	s_ashr_i32 s1, s0, 31
	s_sub_nc_u64 s[30:31], 0, s[6:7]
	s_wait_alu 0xfffe
	s_lshl_b64 s[0:1], s[0:1], 3
	v_s_rcp_f32 s2, s2
	s_wait_kmcnt 0x0
	v_add_co_u32 v1, vcc_lo, s8, v1
	s_delay_alu instid0(VALU_DEP_1)
	v_add_co_ci_u32_e64 v2, null, s9, v2, vcc_lo
	s_wait_alu 0xfffe
	s_add_nc_u64 s[0:1], s[10:11], s[0:1]
	s_mov_b32 s8, 0
	s_load_b64 s[26:27], s[0:1], 0x0
	global_load_b32 v3, v[1:2], off
	s_mul_f32 s2, s2, 0x5f7ffffc
	v_mul_f32_e32 v4, 0x4f7ffffe, v4
	s_lshl_b32 s0, s16, 8
	s_wait_alu 0xfffe
	s_mul_f32 s1, s2, 0x2f800000
	s_wait_alu 0xfffe
	s_delay_alu instid0(SALU_CYCLE_2)
	s_trunc_f32 s3, s1
	s_mov_b32 s1, s8
	s_wait_alu 0xfffe
	s_lshl_b64 s[0:1], s[0:1], 2
	s_fmamk_f32 s2, s3, 0xcf800000, s2
	s_cvt_u32_f32 s29, s3
	s_wait_alu 0xfffe
	s_add_nc_u64 s[24:25], s[10:11], s[0:1]
	s_cvt_u32_f32 s28, s2
	s_wait_kmcnt 0x0
	v_mov_b32_e32 v5, s27
	v_cvt_u32_f32_e32 v4, v4
.LBB20_9:                               ; =>This Inner Loop Header: Depth=1
	s_wait_alu 0xfffe
	s_ashr_i32 s35, s34, 31
	s_mov_b32 s2, -1
	s_wait_alu 0xfffe
	s_mul_u64 s[0:1], s[34:35], s[18:19]
                                        ; implicit-def: $sgpr38_sgpr39
	s_wait_alu 0xfffe
	s_mov_b32 s9, s1
	s_wait_alu 0xfffe
	s_cmp_lg_u64 s[8:9], 0
	s_cbranch_scc0 .LBB20_11
; %bb.10:                               ;   in Loop: Header=BB20_9 Depth=1
	s_mul_u64 s[2:3], s[30:31], s[28:29]
	s_mov_b32 s37, s8
	s_wait_alu 0xfffe
	s_mul_hi_u32 s5, s28, s3
	s_mul_i32 s4, s28, s3
	s_mul_hi_u32 s36, s28, s2
	s_mul_hi_u32 s9, s29, s2
	s_wait_alu 0xfffe
	s_add_nc_u64 s[4:5], s[36:37], s[4:5]
	s_mul_i32 s2, s29, s2
	s_mul_hi_u32 s17, s29, s3
	s_wait_alu 0xfffe
	s_add_co_u32 s2, s4, s2
	s_add_co_ci_u32 s2, s5, s9
	s_add_co_ci_u32 s5, s17, 0
	s_mul_i32 s4, s29, s3
	s_mov_b32 s3, s8
	s_mov_b32 s39, s8
	s_wait_alu 0xfffe
	s_add_nc_u64 s[2:3], s[2:3], s[4:5]
	s_wait_alu 0xfffe
	s_add_co_u32 s2, s28, s2
	s_cselect_b32 s4, -1, 0
	s_wait_alu 0xfffe
	s_cmp_lg_u32 s4, 0
	s_add_co_ci_u32 s3, s29, s3
	s_wait_alu 0xfffe
	s_mul_u64 s[4:5], s[30:31], s[2:3]
	s_wait_alu 0xfffe
	s_mul_hi_u32 s37, s2, s5
	s_mul_i32 s36, s2, s5
	s_mul_hi_u32 s38, s2, s4
	s_mul_hi_u32 s9, s3, s4
	s_mul_i32 s4, s3, s4
	s_wait_alu 0xfffe
	s_add_nc_u64 s[36:37], s[38:39], s[36:37]
	s_mul_hi_u32 s17, s3, s5
	s_wait_alu 0xfffe
	s_add_co_u32 s4, s36, s4
	s_add_co_ci_u32 s4, s37, s9
	s_add_co_ci_u32 s37, s17, 0
	s_mul_i32 s36, s3, s5
	s_mov_b32 s5, s8
	s_wait_alu 0xfffe
	s_add_nc_u64 s[4:5], s[4:5], s[36:37]
	s_mov_b32 s37, s8
	s_wait_alu 0xfffe
	s_add_co_u32 s9, s2, s4
	s_cselect_b32 s2, -1, 0
	s_wait_alu 0xfffe
	s_cmp_lg_u32 s2, 0
	s_add_co_ci_u32 s17, s3, s5
	s_ashr_i32 s2, s1, 31
	s_wait_alu 0xfffe
	s_mov_b32 s3, s2
	s_wait_alu 0xfffe
	s_add_nc_u64 s[4:5], s[0:1], s[2:3]
	s_wait_alu 0xfffe
	s_xor_b64 s[4:5], s[4:5], s[2:3]
	s_wait_alu 0xfffe
	s_mul_hi_u32 s39, s4, s17
	s_mul_i32 s38, s4, s17
	s_mul_hi_u32 s36, s4, s9
	s_mul_i32 s21, s5, s9
	s_wait_alu 0xfffe
	s_add_nc_u64 s[36:37], s[36:37], s[38:39]
	s_mul_hi_u32 s9, s5, s9
	s_mul_hi_u32 s1, s5, s17
	s_wait_alu 0xfffe
	s_add_co_u32 s21, s36, s21
	s_add_co_ci_u32 s36, s37, s9
	s_add_co_ci_u32 s39, s1, 0
	s_mul_i32 s38, s5, s17
	s_mov_b32 s37, s8
	s_wait_alu 0xfffe
	s_add_nc_u64 s[36:37], s[36:37], s[38:39]
	s_wait_alu 0xfffe
	s_mul_u64 s[38:39], s[6:7], s[36:37]
	s_add_nc_u64 s[40:41], s[36:37], 1
	s_sub_co_u32 s1, s4, s38
	s_cselect_b32 s4, -1, 0
	s_sub_co_i32 s9, s5, s39
	s_wait_alu 0xfffe
	s_cmp_lg_u32 s4, 0
	s_add_nc_u64 s[42:43], s[36:37], 2
	s_sub_co_ci_u32 s9, s9, s7
	s_sub_co_u32 s17, s1, s6
	s_cselect_b32 s21, -1, 0
	s_delay_alu instid0(SALU_CYCLE_1)
	s_cmp_lg_u32 s21, 0
	s_wait_alu 0xfffe
	s_sub_co_ci_u32 s9, s9, 0
	s_wait_alu 0xfffe
	s_cmp_ge_u32 s9, s7
	s_cselect_b32 s21, -1, 0
	s_cmp_ge_u32 s17, s6
	s_cselect_b32 s17, -1, 0
	s_cmp_eq_u32 s9, s7
	s_wait_alu 0xfffe
	s_cselect_b32 s9, s17, s21
	s_wait_alu 0xfffe
	s_cmp_lg_u32 s9, 0
	s_cselect_b32 s9, s42, s40
	s_cselect_b32 s17, s43, s41
	s_cmp_lg_u32 s4, 0
	s_sub_co_ci_u32 s4, s5, s39
	s_wait_alu 0xfffe
	s_cmp_ge_u32 s4, s7
	s_cselect_b32 s5, -1, 0
	s_cmp_ge_u32 s1, s6
	s_cselect_b32 s1, -1, 0
	s_cmp_eq_u32 s4, s7
	s_wait_alu 0xfffe
	s_cselect_b32 s1, s1, s5
	s_wait_alu 0xfffe
	s_cmp_lg_u32 s1, 0
	s_cselect_b32 s5, s17, s37
	s_cselect_b32 s4, s9, s36
	s_xor_b64 s[2:3], s[2:3], 0
	s_wait_alu 0xfffe
	s_xor_b64 s[4:5], s[4:5], s[2:3]
	s_wait_alu 0xfffe
	s_sub_nc_u64 s[38:39], s[4:5], s[2:3]
	s_mov_b32 s2, 0
.LBB20_11:                              ;   in Loop: Header=BB20_9 Depth=1
	s_wait_alu 0xfffe
	s_and_not1_b32 vcc_lo, exec_lo, s2
	s_wait_alu 0xfffe
	s_cbranch_vccnz .LBB20_13
; %bb.12:                               ;   in Loop: Header=BB20_9 Depth=1
	v_readfirstlane_b32 s1, v4
	s_sub_co_i32 s2, 0, s16
	s_wait_alu 0xfffe
	s_mul_i32 s2, s2, s1
	s_wait_alu 0xfffe
	s_mul_hi_u32 s2, s1, s2
	s_wait_alu 0xfffe
	s_add_co_i32 s1, s1, s2
	s_wait_alu 0xfffe
	s_mul_hi_u32 s1, s0, s1
	s_wait_alu 0xfffe
	s_mul_i32 s2, s1, s16
	s_wait_alu 0xfffe
	s_sub_co_i32 s0, s0, s2
	s_add_co_i32 s2, s1, 1
	s_wait_alu 0xfffe
	s_sub_co_i32 s3, s0, s16
	s_cmp_ge_u32 s0, s16
	s_cselect_b32 s1, s2, s1
	s_wait_alu 0xfffe
	s_cselect_b32 s0, s3, s0
	s_add_co_i32 s2, s1, 1
	s_wait_alu 0xfffe
	s_cmp_ge_u32 s0, s16
	s_cselect_b32 s38, s2, s1
.LBB20_13:                              ;   in Loop: Header=BB20_9 Depth=1
	v_readfirstlane_b32 s9, v0
	s_cmp_lg_u32 s20, s38
	s_mov_b32 s0, -1
                                        ; implicit-def: $sgpr21
                                        ; implicit-def: $vgpr6
                                        ; implicit-def: $vgpr7
                                        ; implicit-def: $sgpr17
                                        ; implicit-def: $sgpr27
	s_cbranch_scc1 .LBB20_16
; %bb.14:                               ;   in Loop: Header=BB20_9 Depth=1
	s_wait_alu 0xfffe
	s_and_not1_b32 vcc_lo, exec_lo, s0
	s_wait_alu 0xfffe
	s_cbranch_vccz .LBB20_19
.LBB20_15:                              ;   in Loop: Header=BB20_9 Depth=1
	s_and_not1_b32 vcc_lo, exec_lo, s21
	s_wait_alu 0xfffe
	s_cbranch_vccnz .LBB20_20
	s_branch .LBB20_23
.LBB20_16:                              ;   in Loop: Header=BB20_9 Depth=1
	s_add_co_i32 s0, s34, s16
	s_mov_b32 s1, s8
	s_wait_alu 0xfffe
	s_lshl_b32 s0, s0, 6
	v_max_num_f32_e64 v6, s26, s26
	s_wait_alu 0xfffe
	s_add_co_i32 s0, s0, s15
	s_mov_b32 s39, s8
	s_wait_alu 0xfffe
	s_lshl_b64 s[0:1], s[0:1], 3
	s_mul_u64 s[40:41], s[38:39], s[22:23]
	s_wait_alu 0xfffe
	s_add_nc_u64 s[0:1], s[10:11], s[0:1]
	s_mov_b32 s27, s20
	s_load_b64 s[36:37], s[0:1], 0x0
	v_readfirstlane_b32 s0, v6
	s_wait_kmcnt 0x0
	v_max_num_f32_e64 v7, s36, s36
	s_delay_alu instid0(VALU_DEP_1) | instskip(SKIP_2) | instid1(SALU_CYCLE_2)
	v_readfirstlane_b32 s1, v7
	s_max_num_f32 s9, s0, s1
	s_wait_alu 0xfffe
	s_sub_f32 s33, s26, s9
	s_sub_f32 s35, s36, s9
	s_wait_alu 0xfffe
	s_delay_alu instid0(SALU_CYCLE_1)
	s_cmp_nlt_f32 s33, 0xc2ce8ed0
	s_cselect_b32 s0, -1, 0
	s_cmp_ngt_f32 s33, 0x42b17218
	s_cselect_b32 s1, -1, 0
	s_cmp_ge_f32 s33, 0xc1a00000
	s_cselect_b32 s2, -1, 0
	s_cmp_nlt_f32 s35, 0xc2ce8ed0
	s_cselect_b32 s3, -1, 0
	s_cmp_ngt_f32 s35, 0x42b17218
	s_cselect_b32 s4, -1, 0
	s_cmp_ge_f32 s35, 0xc1a00000
	s_cselect_b32 s5, -1, 0
	s_add_co_i32 s17, s41, s38
	s_wait_alu 0xfffe
	s_lshr_b32 s17, s17, s13
	s_wait_alu 0xfffe
	s_mul_i32 s21, s17, s14
	s_delay_alu instid0(SALU_CYCLE_1)
	s_cmp_eq_u32 s21, s38
	s_cselect_b32 s21, -1, 0
	s_cmp_lt_u32 s17, s12
	s_cselect_b32 s17, -1, 0
	s_wait_alu 0xfffe
	s_or_b32 s17, s17, s21
	s_mov_b32 s21, -1
	s_wait_alu 0xfffe
	s_and_b32 vcc_lo, exec_lo, s17
	s_mov_b32 s17, s34
	s_wait_alu 0xfffe
	s_cbranch_vccnz .LBB20_18
; %bb.17:                               ;   in Loop: Header=BB20_9 Depth=1
	s_add_co_i32 s17, s34, -1
	s_mov_b32 s21, 0
	s_mov_b32 s27, s38
.LBB20_18:                              ;   in Loop: Header=BB20_9 Depth=1
	v_lshl_add_u32 v6, s34, 13, v0
	s_mul_f32 s36, s35, 0x3fb8aa3b
	s_mul_f32 s38, s33, 0x3fb8aa3b
	s_wait_alu 0xfffe
	s_delay_alu instid0(SALU_CYCLE_1)
	s_xor_b32 s39, s36, 0x80000000
	v_ashrrev_i32_e32 v7, 31, v6
	s_rndne_f32 s40, s36
	s_fmamk_f32 s39, s35, 0x3fb8aa3b, s39
	s_xor_b32 s41, s38, 0x80000000
	s_rndne_f32 s42, s38
	v_lshlrev_b64_e32 v[6:7], 2, v[6:7]
	s_sub_f32 s36, s36, s40
	s_fmamk_f32 s35, s35, 0x32a5705f, s39
	s_fmamk_f32 s39, s33, 0x3fb8aa3b, s41
	s_sub_f32 s38, s38, s42
	s_delay_alu instid0(VALU_DEP_1)
	v_add_co_u32 v6, vcc_lo, s24, v6
	s_wait_alu 0xfffd
	v_add_co_ci_u32_e64 v7, null, s25, v7, vcc_lo
	s_wait_alu 0xfffe
	s_add_f32 s35, s36, s35
	s_fmamk_f32 s33, s33, 0x32a5705f, s39
	s_cvt_i32_f32 s36, s40
	global_load_b32 v6, v[6:7], off
	s_wait_alu 0xfffe
	v_s_exp_f32 s35, s35
	s_add_f32 s33, s38, s33
	s_wait_alu 0xfffe
	s_delay_alu instid0(SALU_CYCLE_2) | instskip(NEXT) | instid1(TRANS32_DEP_2)
	v_s_exp_f32 s33, s33
	v_ldexp_f32 v7, s35, s36
	s_cvt_i32_f32 s35, s42
	s_wait_alu 0xf1fe
	s_delay_alu instid0(TRANS32_DEP_1) | instid1(SALU_CYCLE_2)
	v_ldexp_f32 v8, s33, s35
	s_delay_alu instid0(VALU_DEP_2) | instskip(NEXT) | instid1(VALU_DEP_2)
	v_cndmask_b32_e64 v7, 0, v7, s3
	v_cndmask_b32_e64 v8, 0, v8, s0
	s_delay_alu instid0(VALU_DEP_2) | instskip(NEXT) | instid1(VALU_DEP_2)
	v_cndmask_b32_e64 v7, 0x7f800000, v7, s4
	v_cndmask_b32_e64 v8, 0x7f800000, v8, s1
	;; [unrolled: 3-line block ×3, first 2 shown]
	s_wait_loadcnt 0x0
	s_delay_alu instid0(VALU_DEP_2) | instskip(SKIP_1) | instid1(VALU_DEP_1)
	v_mul_f32_e32 v6, v6, v7
	v_mul_f32_e32 v7, s37, v7
	v_fmac_f32_e32 v7, v5, v8
	s_delay_alu instid0(VALU_DEP_3)
	v_fmac_f32_e32 v6, v3, v8
	s_cbranch_execnz .LBB20_15
.LBB20_19:                              ;   in Loop: Header=BB20_9 Depth=1
	s_wait_loadcnt 0x0
	v_dual_mov_b32 v7, v5 :: v_dual_mov_b32 v6, v3
	s_add_co_i32 s17, s34, -1
	s_mov_b32 s27, s20
	s_mov_b32 s9, s26
	s_cbranch_execz .LBB20_23
.LBB20_20:                              ;   in Loop: Header=BB20_9 Depth=1
	v_mov_b32_e32 v5, v7
	s_wait_loadcnt 0x0
	v_mov_b32_e32 v3, v6
	s_wait_alu 0xfffe
	s_mov_b32 s20, s27
	s_mov_b32 s34, s17
	;; [unrolled: 1-line block ×3, first 2 shown]
	s_branch .LBB20_9
.LBB20_21:
                                        ; implicit-def: $sgpr20_sgpr21
	s_branch .LBB20_2
.LBB20_22:
                                        ; implicit-def: $sgpr10_sgpr11
	s_load_b96 s[12:14], s[0:1], 0x44
	s_branch .LBB20_5
.LBB20_23:
	v_div_scale_f32 v0, null, v7, v7, v6
	s_wait_loadcnt 0x0
	s_delay_alu instid0(VALU_DEP_1) | instskip(NEXT) | instid1(TRANS32_DEP_1)
	v_rcp_f32_e32 v3, v0
	v_fma_f32 v4, -v0, v3, 1.0
	s_delay_alu instid0(VALU_DEP_1) | instskip(SKIP_1) | instid1(VALU_DEP_1)
	v_fmac_f32_e32 v3, v4, v3
	v_div_scale_f32 v4, vcc_lo, v6, v7, v6
	v_mul_f32_e32 v5, v4, v3
	s_delay_alu instid0(VALU_DEP_1) | instskip(NEXT) | instid1(VALU_DEP_1)
	v_fma_f32 v8, -v0, v5, v4
	v_fmac_f32_e32 v5, v8, v3
	s_delay_alu instid0(VALU_DEP_1) | instskip(SKIP_1) | instid1(VALU_DEP_1)
	v_fma_f32 v0, -v0, v5, v4
	s_wait_alu 0xfffd
	v_div_fmas_f32 v0, v0, v3, v5
	s_delay_alu instid0(VALU_DEP_1)
	v_div_fixup_f32 v0, v0, v7, v6
	global_store_b32 v[1:2], v0, off
.LBB20_24:
	s_endpgm
	.section	.rodata,"a",@progbits
	.p2align	6, 0x0
	.amdhsa_kernel _ZL33flash_attn_stream_k_fixup_generalILi128ELi16ELi4EEvPfPK15HIP_vector_typeIfLj2EEiiiiS1_IjLj3EES5_S5_S5_
		.amdhsa_group_segment_fixed_size 0
		.amdhsa_private_segment_fixed_size 0
		.amdhsa_kernarg_size 336
		.amdhsa_user_sgpr_count 2
		.amdhsa_user_sgpr_dispatch_ptr 0
		.amdhsa_user_sgpr_queue_ptr 0
		.amdhsa_user_sgpr_kernarg_segment_ptr 1
		.amdhsa_user_sgpr_dispatch_id 0
		.amdhsa_user_sgpr_private_segment_size 0
		.amdhsa_wavefront_size32 1
		.amdhsa_uses_dynamic_stack 0
		.amdhsa_enable_private_segment 0
		.amdhsa_system_sgpr_workgroup_id_x 1
		.amdhsa_system_sgpr_workgroup_id_y 1
		.amdhsa_system_sgpr_workgroup_id_z 1
		.amdhsa_system_sgpr_workgroup_info 0
		.amdhsa_system_vgpr_workitem_id 0
		.amdhsa_next_free_vgpr 9
		.amdhsa_next_free_sgpr 44
		.amdhsa_reserve_vcc 1
		.amdhsa_float_round_mode_32 0
		.amdhsa_float_round_mode_16_64 0
		.amdhsa_float_denorm_mode_32 3
		.amdhsa_float_denorm_mode_16_64 3
		.amdhsa_fp16_overflow 0
		.amdhsa_workgroup_processor_mode 1
		.amdhsa_memory_ordered 1
		.amdhsa_forward_progress 1
		.amdhsa_inst_pref_size 28
		.amdhsa_round_robin_scheduling 0
		.amdhsa_exception_fp_ieee_invalid_op 0
		.amdhsa_exception_fp_denorm_src 0
		.amdhsa_exception_fp_ieee_div_zero 0
		.amdhsa_exception_fp_ieee_overflow 0
		.amdhsa_exception_fp_ieee_underflow 0
		.amdhsa_exception_fp_ieee_inexact 0
		.amdhsa_exception_int_div_zero 0
	.end_amdhsa_kernel
	.section	.text._ZL33flash_attn_stream_k_fixup_generalILi128ELi16ELi4EEvPfPK15HIP_vector_typeIfLj2EEiiiiS1_IjLj3EES5_S5_S5_,"axG",@progbits,_ZL33flash_attn_stream_k_fixup_generalILi128ELi16ELi4EEvPfPK15HIP_vector_typeIfLj2EEiiiiS1_IjLj3EES5_S5_S5_,comdat
.Lfunc_end20:
	.size	_ZL33flash_attn_stream_k_fixup_generalILi128ELi16ELi4EEvPfPK15HIP_vector_typeIfLj2EEiiiiS1_IjLj3EES5_S5_S5_, .Lfunc_end20-_ZL33flash_attn_stream_k_fixup_generalILi128ELi16ELi4EEvPfPK15HIP_vector_typeIfLj2EEiiiiS1_IjLj3EES5_S5_S5_
                                        ; -- End function
	.set _ZL33flash_attn_stream_k_fixup_generalILi128ELi16ELi4EEvPfPK15HIP_vector_typeIfLj2EEiiiiS1_IjLj3EES5_S5_S5_.num_vgpr, 9
	.set _ZL33flash_attn_stream_k_fixup_generalILi128ELi16ELi4EEvPfPK15HIP_vector_typeIfLj2EEiiiiS1_IjLj3EES5_S5_S5_.num_agpr, 0
	.set _ZL33flash_attn_stream_k_fixup_generalILi128ELi16ELi4EEvPfPK15HIP_vector_typeIfLj2EEiiiiS1_IjLj3EES5_S5_S5_.numbered_sgpr, 44
	.set _ZL33flash_attn_stream_k_fixup_generalILi128ELi16ELi4EEvPfPK15HIP_vector_typeIfLj2EEiiiiS1_IjLj3EES5_S5_S5_.num_named_barrier, 0
	.set _ZL33flash_attn_stream_k_fixup_generalILi128ELi16ELi4EEvPfPK15HIP_vector_typeIfLj2EEiiiiS1_IjLj3EES5_S5_S5_.private_seg_size, 0
	.set _ZL33flash_attn_stream_k_fixup_generalILi128ELi16ELi4EEvPfPK15HIP_vector_typeIfLj2EEiiiiS1_IjLj3EES5_S5_S5_.uses_vcc, 1
	.set _ZL33flash_attn_stream_k_fixup_generalILi128ELi16ELi4EEvPfPK15HIP_vector_typeIfLj2EEiiiiS1_IjLj3EES5_S5_S5_.uses_flat_scratch, 0
	.set _ZL33flash_attn_stream_k_fixup_generalILi128ELi16ELi4EEvPfPK15HIP_vector_typeIfLj2EEiiiiS1_IjLj3EES5_S5_S5_.has_dyn_sized_stack, 0
	.set _ZL33flash_attn_stream_k_fixup_generalILi128ELi16ELi4EEvPfPK15HIP_vector_typeIfLj2EEiiiiS1_IjLj3EES5_S5_S5_.has_recursion, 0
	.set _ZL33flash_attn_stream_k_fixup_generalILi128ELi16ELi4EEvPfPK15HIP_vector_typeIfLj2EEiiiiS1_IjLj3EES5_S5_S5_.has_indirect_call, 0
	.section	.AMDGPU.csdata,"",@progbits
; Kernel info:
; codeLenInByte = 3548
; TotalNumSgprs: 46
; NumVgprs: 9
; ScratchSize: 0
; MemoryBound: 0
; FloatMode: 240
; IeeeMode: 1
; LDSByteSize: 0 bytes/workgroup (compile time only)
; SGPRBlocks: 0
; VGPRBlocks: 1
; NumSGPRsForWavesPerEU: 46
; NumVGPRsForWavesPerEU: 9
; Occupancy: 16
; WaveLimiterHint : 0
; COMPUTE_PGM_RSRC2:SCRATCH_EN: 0
; COMPUTE_PGM_RSRC2:USER_SGPR: 2
; COMPUTE_PGM_RSRC2:TRAP_HANDLER: 0
; COMPUTE_PGM_RSRC2:TGID_X_EN: 1
; COMPUTE_PGM_RSRC2:TGID_Y_EN: 1
; COMPUTE_PGM_RSRC2:TGID_Z_EN: 1
; COMPUTE_PGM_RSRC2:TIDIG_COMP_CNT: 0
	.section	.text._ZL15flash_attn_tileILi128ELi128ELi8ELi4ELb0EEvPKcS1_S1_S1_S1_PKiPfP15HIP_vector_typeIfLj2EEffffjfiS5_IjLj3EEiiiiiiiiiiiliiliiiiil,"axG",@progbits,_ZL15flash_attn_tileILi128ELi128ELi8ELi4ELb0EEvPKcS1_S1_S1_S1_PKiPfP15HIP_vector_typeIfLj2EEffffjfiS5_IjLj3EEiiiiiiiiiiiliiliiiiil,comdat
	.globl	_ZL15flash_attn_tileILi128ELi128ELi8ELi4ELb0EEvPKcS1_S1_S1_S1_PKiPfP15HIP_vector_typeIfLj2EEffffjfiS5_IjLj3EEiiiiiiiiiiiliiliiiiil ; -- Begin function _ZL15flash_attn_tileILi128ELi128ELi8ELi4ELb0EEvPKcS1_S1_S1_S1_PKiPfP15HIP_vector_typeIfLj2EEffffjfiS5_IjLj3EEiiiiiiiiiiiliiliiiiil
	.p2align	8
	.type	_ZL15flash_attn_tileILi128ELi128ELi8ELi4ELb0EEvPKcS1_S1_S1_S1_PKiPfP15HIP_vector_typeIfLj2EEffffjfiS5_IjLj3EEiiiiiiiiiiiliiliiiiil,@function
_ZL15flash_attn_tileILi128ELi128ELi8ELi4ELb0EEvPKcS1_S1_S1_S1_PKiPfP15HIP_vector_typeIfLj2EEffffjfiS5_IjLj3EEiiiiiiiiiiiliiliiiiil: ; @_ZL15flash_attn_tileILi128ELi128ELi8ELi4ELb0EEvPKcS1_S1_S1_S1_PKiPfP15HIP_vector_typeIfLj2EEffffjfiS5_IjLj3EEiiiiiiiiiiiliiliiiiil
; %bb.0:
	s_clause 0x1
	s_load_b128 s[20:23], s[0:1], 0x5c
	s_load_b64 s[34:35], s[0:1], 0x80
	s_lshr_b32 s5, ttmp7, 16
	s_load_b64 s[38:39], s[0:1], 0xb8
	s_mov_b64 s[36:37], 0
	s_wait_kmcnt 0x0
	s_ashr_i32 s2, s23, 31
	s_delay_alu instid0(SALU_CYCLE_1) | instskip(NEXT) | instid1(SALU_CYCLE_1)
	s_lshr_b32 s2, s2, 30
	s_add_co_i32 s2, s23, s2
	s_delay_alu instid0(SALU_CYCLE_1) | instskip(NEXT) | instid1(SALU_CYCLE_1)
	s_ashr_i32 s2, s2, 2
	s_cvt_f32_u32 s3, s2
	s_sub_co_i32 s4, 0, s2
	s_delay_alu instid0(SALU_CYCLE_2) | instskip(NEXT) | instid1(TRANS32_DEP_1)
	v_rcp_iflag_f32_e32 v1, s3
	v_readfirstlane_b32 s3, v1
	s_mul_f32 s3, s3, 0x4f7ffffe
	s_wait_alu 0xfffe
	s_delay_alu instid0(SALU_CYCLE_2) | instskip(SKIP_1) | instid1(SALU_CYCLE_2)
	s_cvt_u32_f32 s3, s3
	s_wait_alu 0xfffe
	s_mul_i32 s4, s4, s3
	s_delay_alu instid0(SALU_CYCLE_1) | instskip(NEXT) | instid1(SALU_CYCLE_1)
	s_mul_hi_u32 s4, s3, s4
	s_add_co_i32 s3, s3, s4
	s_wait_alu 0xfffe
	s_mul_hi_u32 s3, s5, s3
	s_wait_alu 0xfffe
	s_mul_i32 s4, s3, s2
	s_add_co_i32 s6, s3, 1
	s_sub_co_i32 s4, s5, s4
	s_delay_alu instid0(SALU_CYCLE_1)
	s_sub_co_i32 s7, s4, s2
	s_cmp_ge_u32 s4, s2
	s_cselect_b32 s3, s6, s3
	s_cselect_b32 s4, s7, s4
	s_wait_alu 0xfffe
	s_add_co_i32 s6, s3, 1
	s_cmp_ge_u32 s4, s2
	s_cselect_b32 s28, s6, s3
	s_abs_i32 s2, s35
	s_abs_i32 s7, s23
	s_wait_alu 0xfffe
	s_cvt_f32_u32 s3, s2
	s_sub_co_i32 s4, 0, s2
	s_lshl_b32 s5, s5, 2
	s_mul_i32 s6, s28, s23
	s_wait_alu 0xfffe
	v_rcp_iflag_f32_e32 v1, s3
	s_sub_co_i32 s30, s5, s6
	s_delay_alu instid0(TRANS32_DEP_1) | instskip(SKIP_2) | instid1(SALU_CYCLE_2)
	v_readfirstlane_b32 s3, v1
	s_mul_f32 s3, s3, 0x4f7ffffe
	s_wait_alu 0xfffe
	s_cvt_u32_f32 s3, s3
	s_wait_alu 0xfffe
	s_delay_alu instid0(SALU_CYCLE_2) | instskip(NEXT) | instid1(SALU_CYCLE_1)
	s_mul_i32 s4, s4, s3
	s_mul_hi_u32 s4, s3, s4
	s_delay_alu instid0(SALU_CYCLE_1)
	s_add_co_i32 s3, s3, s4
	s_xor_b32 s4, s23, s35
	s_wait_alu 0xfffe
	s_mul_hi_u32 s3, s7, s3
	s_ashr_i32 s24, s4, 31
	s_wait_alu 0xfffe
	s_mul_i32 s5, s3, s2
	s_delay_alu instid0(SALU_CYCLE_1)
	s_sub_co_i32 s4, s7, s5
	s_add_co_i32 s5, s3, 1
	s_sub_co_i32 s6, s4, s2
	s_cmp_ge_u32 s4, s2
	s_cselect_b32 s3, s5, s3
	s_cselect_b32 s4, s6, s4
	s_wait_alu 0xfffe
	s_add_co_i32 s5, s3, 1
	s_cmp_ge_u32 s4, s2
	s_cselect_b32 s2, s5, s3
	s_load_b512 s[4:19], s[0:1], 0x0
	s_xor_b32 s2, s2, s24
	s_mov_b32 s3, 0
	s_wait_alu 0xfffe
	s_sub_co_i32 s33, s2, s24
	s_delay_alu instid0(SALU_CYCLE_1) | instskip(NEXT) | instid1(SALU_CYCLE_1)
	s_abs_i32 s31, s33
	s_cvt_f32_u32 s2, s31
	s_wait_alu 0xfffe
	s_delay_alu instid0(SALU_CYCLE_2) | instskip(SKIP_2) | instid1(TRANS32_DEP_1)
	v_rcp_iflag_f32_e32 v1, s2
	s_wait_kmcnt 0x0
	s_cmp_eq_u64 s[10:11], 0
	v_readfirstlane_b32 s2, v1
	s_cbranch_scc1 .LBB21_2
; %bb.1:
	s_abs_i32 s26, s38
	s_delay_alu instid0(SALU_CYCLE_1) | instskip(NEXT) | instid1(SALU_CYCLE_3)
	s_cvt_f32_u32 s24, s26
	v_rcp_iflag_f32_e32 v1, s24
	s_delay_alu instid0(TRANS32_DEP_1) | instskip(SKIP_2) | instid1(SALU_CYCLE_2)
	v_readfirstlane_b32 s24, v1
	s_mul_f32 s24, s24, 0x4f7ffffe
	s_wait_alu 0xfffe
	s_cvt_u32_f32 s27, s24
	s_sub_co_i32 s24, 0, s26
	s_wait_alu 0xfffe
	s_delay_alu instid0(SALU_CYCLE_1) | instskip(SKIP_4) | instid1(SALU_CYCLE_1)
	s_mul_i32 s24, s24, s27
	s_wait_alu 0xfffe
	s_mul_hi_u32 s29, s27, s24
	s_load_b64 s[24:25], s[0:1], 0xc8
	s_add_co_i32 s27, s27, s29
	s_mul_hi_u32 s27, s28, s27
	s_delay_alu instid0(SALU_CYCLE_1) | instskip(NEXT) | instid1(SALU_CYCLE_1)
	s_mul_i32 s27, s27, s26
	s_sub_co_i32 s27, s28, s27
	s_delay_alu instid0(SALU_CYCLE_1) | instskip(SKIP_2) | instid1(SALU_CYCLE_1)
	s_sub_co_i32 s29, s27, s26
	s_cmp_ge_u32 s27, s26
	s_cselect_b32 s27, s29, s27
	s_sub_co_i32 s29, s27, s26
	s_cmp_ge_u32 s27, s26
	s_cselect_b32 s26, s29, s27
	s_delay_alu instid0(SALU_CYCLE_1)
	s_ashr_i32 s27, s26, 31
	s_wait_kmcnt 0x0
	s_mul_u64 s[24:25], s[24:25], s[26:27]
	s_wait_alu 0xfffe
	s_add_nc_u64 s[36:37], s[10:11], s[24:25]
.LBB21_2:
	v_bfe_u32 v2, v0, 10, 10
	s_load_b96 s[24:26], s[0:1], 0x70
	v_and_b32_e32 v13, 0x3ff, v0
	s_delay_alu instid0(VALU_DEP_2) | instskip(NEXT) | instid1(VALU_DEP_2)
	v_lshl_add_u32 v12, ttmp9, 3, v2
	v_lshlrev_b32_e32 v0, 4, v13
	v_lshlrev_b32_e32 v11, 3, v13
	s_delay_alu instid0(VALU_DEP_3) | instskip(NEXT) | instid1(VALU_DEP_1)
	v_mul_hi_u32 v1, s20, v12
	v_add_nc_u32_e32 v1, v12, v1
	s_wait_kmcnt 0x0
	s_ashr_i32 s11, s24, 31
	s_mov_b32 s10, s24
	s_delay_alu instid0(VALU_DEP_1) | instskip(SKIP_2) | instid1(VALU_DEP_1)
	v_lshrrev_b32_e32 v1, s21, v1
	s_lshr_b64 s[20:21], s[10:11], 2
	s_lshr_b32 s10, s11, 2
	v_mul_lo_u32 v1, v1, s22
	s_delay_alu instid0(VALU_DEP_1) | instskip(SKIP_1) | instid1(VALU_DEP_1)
	v_sub_nc_u32_e32 v1, v12, v1
	s_wait_alu 0xfffe
	v_mad_co_u64_u32 v[3:4], null, s20, v1, 0
	s_mul_i32 s20, s30, s25
	s_wait_alu 0xfffe
	s_ashr_i32 s21, s20, 31
	v_mad_co_u64_u32 v[4:5], null, s10, v1, v[4:5]
	s_mul_i32 s10, s28, s26
	s_wait_alu 0xfffe
	s_ashr_i32 s11, s10, 31
	s_wait_alu 0xfffe
	s_add_nc_u64 s[4:5], s[4:5], s[10:11]
	s_ashr_i32 s11, s25, 31
	v_lshlrev_b64_e32 v[3:4], 2, v[3:4]
	s_add_nc_u64 s[4:5], s[4:5], s[20:21]
	s_mov_b32 s10, s25
	s_delay_alu instid0(VALU_DEP_1) | instskip(NEXT) | instid1(VALU_DEP_1)
	v_add_co_u32 v3, vcc_lo, s4, v3
	v_add_co_ci_u32_e64 v4, null, s5, v4, vcc_lo
	s_wait_alu 0xfffe
	s_lshr_b64 s[4:5], s[10:11], 2
	s_delay_alu instid0(VALU_DEP_2)
	v_add_co_u32 v7, vcc_lo, v3, v0
	s_wait_alu 0xfffd
	v_add_co_ci_u32_e64 v8, null, 0, v4, vcc_lo
	s_and_b32 s10, s25, -4
	s_wait_alu 0xfffe
	s_lshl_b64 s[20:21], s[4:5], 3
	v_add_co_u32 v9, vcc_lo, v7, s10
	v_mad_co_u64_u32 v[18:19], null, s4, 12, v[7:8]
	s_wait_alu 0xfffd
	v_add_co_ci_u32_e64 v10, null, s11, v8, vcc_lo
	s_wait_alu 0xfffe
	v_add_co_u32 v14, vcc_lo, v7, s20
	global_load_b128 v[3:6], v[7:8], off
	s_wait_alu 0xfffd
	v_add_co_ci_u32_e64 v15, null, s21, v8, vcc_lo
	v_mov_b32_e32 v0, v19
	s_load_b32 s4, s[0:1], 0x40
	s_cmp_eq_u64 s[14:15], 0
	s_clause 0x1
	global_load_b128 v[14:17], v[14:15], off
	global_load_b128 v[7:10], v[9:10], off
	v_mad_co_u64_u32 v[19:20], null, s11, 12, v[0:1]
	v_lshlrev_b32_e32 v0, 10, v2
	s_delay_alu instid0(VALU_DEP_1)
	v_add_nc_u32_e32 v33, 0x6800, v0
	global_load_b128 v[18:21], v[18:19], off
	v_add_nc_u32_e32 v22, v33, v11
	s_wait_loadcnt 0x3
	s_wait_kmcnt 0x0
	v_fma_mixlo_f16 v4, s4, v4, 0
	v_fma_mixlo_f16 v3, s4, v3, 0
	v_fma_mixlo_f16 v6, s4, v6, 0
	v_fma_mixlo_f16 v5, s4, v5, 0
	s_delay_alu instid0(VALU_DEP_4) | instskip(NEXT) | instid1(VALU_DEP_4)
	v_lshlrev_b32_e32 v4, 16, v4
	v_and_b32_e32 v3, 0xffff, v3
	s_delay_alu instid0(VALU_DEP_4) | instskip(NEXT) | instid1(VALU_DEP_4)
	v_lshlrev_b32_e32 v6, 16, v6
	v_and_b32_e32 v5, 0xffff, v5
	s_wait_loadcnt 0x1
	v_fma_mixlo_f16 v7, s4, v7, 0
	v_fma_mixlo_f16 v8, s4, v8, 0
	;; [unrolled: 1-line block ×8, first 2 shown]
	v_or_b32_e32 v3, v4, v3
	v_or3_b32 v4, v6, v5, 0
	v_lshlrev_b32_e32 v5, 16, v8
	v_and_b32_e32 v6, 0xffff, v7
	v_lshlrev_b32_e32 v7, 16, v10
	v_and_b32_e32 v8, 0xffff, v9
	;; [unrolled: 2-line block ×4, first 2 shown]
	s_wait_loadcnt 0x0
	v_fma_mixlo_f16 v16, s4, v19, 0
	v_fma_mixlo_f16 v17, s4, v18, 0
	v_fma_mixlo_f16 v18, s4, v20, 0
	v_fma_mixlo_f16 v19, s4, v21, 0
	v_or_b32_e32 v5, v5, v6
	v_lshlrev_b32_e32 v16, 16, v16
	v_and_b32_e32 v17, 0xffff, v17
	v_or3_b32 v6, v7, v8, 0
	v_or_b32_e32 v7, v9, v10
	v_lshlrev_b32_e32 v9, 16, v19
	v_and_b32_e32 v10, 0xffff, v18
	v_or_b32_e32 v16, v16, v17
	v_or3_b32 v3, 0, 0, v3
	v_or3_b32 v5, 0, 0, v5
	;; [unrolled: 1-line block ×6, first 2 shown]
	ds_store_2addr_b64 v22, v[3:4], v[5:6] offset1:32
	ds_store_2addr_b64 v22, v[7:8], v[9:10] offset0:64 offset1:96
	s_wait_dscnt 0x0
	s_barrier_signal -1
	s_barrier_wait -1
	global_inv scope:SCOPE_SE
	s_cbranch_scc1 .LBB21_4
; %bb.3:
	s_load_b32 s4, s[0:1], 0xd0
	s_mov_b32 s5, 0
	s_wait_kmcnt 0x0
	s_mul_i32 s4, s4, s28
	s_wait_alu 0xfffe
	s_add_co_i32 s4, s4, ttmp9
	s_wait_alu 0xfffe
	s_lshl_b64 s[4:5], s[4:5], 2
	s_wait_alu 0xfffe
	s_add_nc_u64 s[4:5], s[14:15], s[4:5]
	s_load_b32 s34, s[4:5], 0x0
.LBB21_4:
	s_and_b32 s10, ttmp7, 0xffff
	v_mbcnt_lo_u32_b32 v34, -1, 0
	s_wait_alu 0xfffe
	s_lshl_b32 s14, s10, 7
	s_wait_kmcnt 0x0
	s_cmp_lt_i32 s14, s34
	s_cbranch_scc1 .LBB21_7
; %bb.5:
	v_mbcnt_lo_u32_b32 v4, -1, 0
	v_mov_b32_e32 v35, 32
	s_delay_alu instid0(VALU_DEP_2)
	v_xor_b32_e32 v40, 16, v4
	v_xor_b32_e32 v39, 8, v4
	;; [unrolled: 1-line block ×5, first 2 shown]
	v_lshlrev_b32_e32 v32, 2, v13
	s_mov_b32 s29, 0
	s_cbranch_execz .LBB21_8
; %bb.6:
	v_dual_mov_b32 v71, 0 :: v_dual_mov_b32 v2, 0xfeffffff
	v_dual_mov_b32 v41, 0 :: v_dual_mov_b32 v0, 0xfeffffff
	v_dual_mov_b32 v3, 0xfeffffff :: v_dual_mov_b32 v42, 0
	v_dual_mov_b32 v1, 0xfeffffff :: v_dual_mov_b32 v44, 0
	v_dual_mov_b32 v43, 0 :: v_dual_mov_b32 v72, 0
	v_dual_mov_b32 v70, 0 :: v_dual_mov_b32 v69, 0
	v_dual_mov_b32 v68, 0 :: v_dual_mov_b32 v67, 0
	v_dual_mov_b32 v66, 0 :: v_dual_mov_b32 v65, 0
	s_branch .LBB21_11
.LBB21_7:
                                        ; implicit-def: $vgpr4
                                        ; implicit-def: $vgpr35
                                        ; implicit-def: $vgpr40
                                        ; implicit-def: $vgpr39
                                        ; implicit-def: $vgpr38
                                        ; implicit-def: $vgpr37
                                        ; implicit-def: $vgpr36
	v_lshlrev_b32_e32 v32, 2, v13
	s_mov_b32 s29, 0
.LBB21_8:
	s_mul_f32 s2, s2, 0x4f7ffffe
	s_clause 0x1
	s_load_b128 s[24:27], s[0:1], 0x98
	s_load_b64 s[4:5], s[0:1], 0x8c
	s_sub_co_i32 s15, 0, s31
	s_mov_b32 s21, s3
	s_cvt_u32_f32 s11, s2
	s_abs_i32 s2, s30
	s_load_b64 s[40:41], s[0:1], 0xa8
	s_ashr_i32 s35, s30, 31
	s_mul_i32 s15, s15, s11
	s_ashr_i32 s33, s33, 31
	s_mul_hi_u32 s15, s11, s15
	v_lshrrev_b32_e32 v3, 3, v13
	s_add_co_i32 s20, s11, s15
	s_ashr_i32 s11, s39, 1
	s_wait_alu 0xfffe
	s_mul_u64 s[20:21], s[2:3], s[20:21]
	s_xor_b32 s15, s35, s33
	s_wait_alu 0xfffe
	s_mul_i32 s3, s21, s31
	s_add_co_i32 s33, s21, 1
	s_wait_alu 0xfffe
	s_sub_co_i32 s2, s2, s3
	v_lshl_add_u32 v4, v2, 2, v3
	s_wait_kmcnt 0x0
	s_ashr_i32 s20, s26, 2
	s_ashr_i32 s26, s4, 2
	s_wait_alu 0xfffe
	s_sub_co_i32 s3, s2, s31
	s_cmp_ge_u32 s2, s31
	v_and_b32_e32 v7, 28, v32
	s_cselect_b32 s4, s33, s21
	s_wait_alu 0xfffe
	s_cselect_b32 s2, s3, s2
	s_add_co_i32 s21, s4, 1
	s_wait_alu 0xfffe
	s_cmp_ge_u32 s2, s31
	v_mul_lo_u32 v3, s26, v4
	s_cselect_b32 s4, s21, s4
	s_mul_u64 s[2:3], s[24:25], s[28:29]
	s_wait_alu 0xfffe
	s_xor_b32 s4, s4, s15
	v_lshrrev_b32_e32 v6, 4, v13
	s_wait_alu 0xfffe
	s_sub_co_i32 s15, s4, s15
	v_dual_mov_b32 v72, 0 :: v_dual_add_nc_u32 v51, 0x4800, v0
	s_mul_i32 s4, s15, s5
	v_dual_mov_b32 v0, 0xfeffffff :: v_dual_lshlrev_b32 v5, 2, v7
	v_mov_b32_e32 v66, 0
	s_mul_u64 s[24:25], s[40:41], s[28:29]
	s_add_nc_u64 s[2:3], s[6:7], s[2:3]
	s_wait_alu 0xfffe
	s_ashr_i32 s5, s4, 31
	s_add_nc_u64 s[6:7], s[8:9], s[24:25]
	s_wait_alu 0xfffe
	s_add_nc_u64 s[24:25], s[2:3], s[4:5]
	s_lshl_b32 s2, s26, 5
	v_lshl_add_u32 v2, v2, 1, v6
	v_mad_u32_u24 v45, 0x90, v4, v5
	s_wait_alu 0xfffe
	v_dual_mov_b32 v68, 0 :: v_dual_add_nc_u32 v5, s2, v3
	v_mov_b32_e32 v35, 32
	v_mul_lo_u32 v20, s20, v2
	v_dual_mov_b32 v67, 0 :: v_dual_and_b32 v26, 60, v32
	s_delay_alu instid0(VALU_DEP_4) | instskip(SKIP_1) | instid1(VALU_DEP_3)
	v_add_nc_u32_e32 v16, s2, v5
	v_ashrrev_i32_e32 v4, 31, v3
	v_dual_mov_b32 v71, 0 :: v_dual_lshlrev_b32 v8, 2, v26
	v_ashrrev_i32_e32 v6, 31, v5
	s_delay_alu instid0(VALU_DEP_4) | instskip(SKIP_1) | instid1(VALU_DEP_3)
	v_dual_mov_b32 v69, 0 :: v_dual_add_nc_u32 v18, s2, v16
	s_lshl_b32 s2, s20, 4
	v_lshl_or_b32 v50, v2, 8, v8
	s_wait_alu 0xfffe
	v_add_nc_u32_e32 v22, s2, v20
	v_mad_co_u64_u32 v[8:9], null, v1, s11, v[13:14]
	v_lshlrev_b64_e32 v[9:10], 2, v[3:4]
	s_delay_alu instid0(VALU_DEP_3)
	v_dual_mov_b32 v3, 0xfeffffff :: v_dual_add_nc_u32 v24, s2, v22
	v_ashrrev_i32_e32 v17, 31, v16
	v_ashrrev_i32_e32 v19, 31, v18
	;; [unrolled: 1-line block ×3, first 2 shown]
	v_lshlrev_b32_e32 v57, 2, v26
	v_add_nc_u32_e32 v1, s2, v24
	v_ashrrev_i32_e32 v25, 31, v24
	s_mul_i32 s8, s15, s27
	v_lshlrev_b64_e32 v[14:15], 2, v[5:6]
	v_lshlrev_b64_e32 v[16:17], 2, v[16:17]
	v_ashrrev_i32_e32 v2, 31, v1
	v_lshlrev_b64_e32 v[18:19], 2, v[18:19]
	v_lshlrev_b64_e32 v[20:21], 2, v[20:21]
	;; [unrolled: 1-line block ×3, first 2 shown]
	v_dual_mov_b32 v65, 0 :: v_dual_add_nc_u32 v46, 0x1200, v45
	v_lshlrev_b64_e32 v[26:27], 2, v[1:2]
	v_mov_b32_e32 v1, 0xfeffffff
	v_ashrrev_i32_e32 v23, 31, v22
	v_dual_mov_b32 v70, 0 :: v_dual_add_nc_u32 v47, 0x2400, v45
	v_dual_mov_b32 v43, 0 :: v_dual_add_nc_u32 v48, 0x3600, v45
	s_delay_alu instid0(VALU_DEP_3)
	v_lshlrev_b64_e32 v[22:23], 2, v[22:23]
	v_mul_u32_u24_e32 v49, 0x90, v13
	v_dual_mov_b32 v41, 0 :: v_dual_add_nc_u32 v52, 0x1000, v50
	v_dual_mov_b32 v44, 0 :: v_dual_add_nc_u32 v53, 0x2000, v50
	v_add_nc_u32_e32 v54, 0x3000, v50
	v_dual_mov_b32 v42, 0 :: v_dual_lshlrev_b32 v55, 2, v7
	v_xor_b32_e32 v40, 16, v34
	v_xor_b32_e32 v39, 8, v34
	;; [unrolled: 1-line block ×5, first 2 shown]
	v_add_nc_u32_e32 v56, v51, v11
	v_add_nc_u32_e32 v58, 0x800, v11
	;; [unrolled: 1-line block ×8, first 2 shown]
	v_mov_b32_e32 v2, 0xfeffffff
	s_ashr_i32 s9, s8, 31
	s_ashr_i32 s27, s26, 31
	s_add_nc_u64 s[38:39], s[6:7], s[8:9]
	s_ashr_i32 s21, s20, 31
	s_add_nc_u64 s[40:41], s[0:1], 0xd0
.LBB21_9:                               ; =>This Inner Loop Header: Depth=1
	s_ashr_i32 s15, s14, 31
	v_mov_b32_e32 v80, 0
	s_wait_alu 0xfffe
	s_mul_u64 s[2:3], s[14:15], s[26:27]
	v_mov_b32_e32 v87, 0
	s_wait_alu 0xfffe
	s_lshl_b64 s[2:3], s[2:3], 2
	v_mov_b32_e32 v85, 0
	s_wait_alu 0xfffe
	s_add_nc_u64 s[2:3], s[24:25], s[2:3]
	v_mov_b32_e32 v86, 0
	s_wait_alu 0xfffe
	v_add_co_u32 v4, vcc_lo, s2, v9
	s_wait_alu 0xfffd
	v_add_co_ci_u32_e64 v5, null, s3, v10, vcc_lo
	v_mov_b32_e32 v88, 0
	s_delay_alu instid0(VALU_DEP_3) | instskip(SKIP_1) | instid1(VALU_DEP_3)
	v_add_co_u32 v4, vcc_lo, v4, v55
	s_wait_alu 0xfffd
	v_add_co_ci_u32_e64 v5, null, 0, v5, vcc_lo
	v_add_co_u32 v6, vcc_lo, s2, v14
	s_wait_alu 0xfffd
	v_add_co_ci_u32_e64 v7, null, s3, v15, vcc_lo
	global_load_b128 v[28:31], v[4:5], off
	v_add_co_u32 v6, vcc_lo, v6, v55
	s_wait_alu 0xfffd
	v_add_co_ci_u32_e64 v7, null, 0, v7, vcc_lo
	s_wait_loadcnt 0x0
	ds_store_b128 v45, v[28:31]
	global_load_b128 v[28:31], v[6:7], off
	s_wait_loadcnt 0x0
	ds_store_b128 v46, v[28:31]
	v_add_co_u32 v28, vcc_lo, s2, v16
	s_wait_alu 0xfffd
	v_add_co_ci_u32_e64 v29, null, s3, v17, vcc_lo
	s_delay_alu instid0(VALU_DEP_2) | instskip(SKIP_1) | instid1(VALU_DEP_2)
	v_add_co_u32 v28, vcc_lo, v28, v55
	s_wait_alu 0xfffd
	v_add_co_ci_u32_e64 v29, null, 0, v29, vcc_lo
	v_add_co_u32 v30, vcc_lo, s2, v18
	s_wait_alu 0xfffd
	v_add_co_ci_u32_e64 v31, null, s3, v19, vcc_lo
	global_load_b128 v[73:76], v[28:29], off
	v_add_co_u32 v30, vcc_lo, v30, v55
	s_wait_alu 0xfffd
	v_add_co_ci_u32_e64 v31, null, 0, v31, vcc_lo
	s_wait_loadcnt 0x0
	ds_store_b128 v47, v[73:76]
	global_load_b128 v[73:76], v[30:31], off
	s_wait_loadcnt 0x0
	ds_store_b128 v48, v[73:76]
	s_wait_dscnt 0x0
	s_barrier_signal -1
	s_barrier_wait -1
	global_inv scope:SCOPE_SE
	ds_load_b128 v[76:79], v49
	ds_load_b128 v[89:92], v33
	ds_load_b128 v[93:96], v33 offset:256
	ds_load_b128 v[97:100], v33 offset:512
	;; [unrolled: 1-line block ×6, first 2 shown]
	v_mov_b32_e32 v75, 0
	s_wait_dscnt 0x6
	;;#ASMSTART
	v_dot2_f32_f16 v80, v76, v89, v80
	;;#ASMEND
	;;#ASMSTART
	v_dot2_f32_f16 v80, v77, v90, v80
	;;#ASMEND
	;; [unrolled: 3-line block ×4, first 2 shown]
	s_wait_dscnt 0x5
	;;#ASMSTART
	v_dot2_f32_f16 v75, v76, v93, v75
	;;#ASMEND
	;;#ASMSTART
	v_dot2_f32_f16 v75, v77, v94, v75
	;;#ASMEND
	;; [unrolled: 3-line block ×3, first 2 shown]
	v_dual_mov_b32 v74, 0 :: v_dual_mov_b32 v73, 0
	;;#ASMSTART
	v_dot2_f32_f16 v75, v79, v96, v75
	;;#ASMEND
	s_wait_dscnt 0x4
	;;#ASMSTART
	v_dot2_f32_f16 v74, v76, v97, v74
	;;#ASMEND
	;;#ASMSTART
	v_dot2_f32_f16 v74, v77, v98, v74
	;;#ASMEND
	;; [unrolled: 3-line block ×4, first 2 shown]
	s_wait_dscnt 0x3
	;;#ASMSTART
	v_dot2_f32_f16 v73, v76, v101, v73
	;;#ASMEND
	;;#ASMSTART
	v_dot2_f32_f16 v73, v77, v102, v73
	;;#ASMEND
	;; [unrolled: 3-line block ×4, first 2 shown]
	v_mov_b32_e32 v78, 0
	s_wait_dscnt 0x2
	;;#ASMSTART
	v_dot2_f32_f16 v87, v81, v89, v87
	;;#ASMEND
	;;#ASMSTART
	v_dot2_f32_f16 v87, v82, v90, v87
	;;#ASMEND
	;; [unrolled: 3-line block ×7, first 2 shown]
	v_dual_mov_b32 v77, 0 :: v_dual_mov_b32 v76, 0
	;;#ASMSTART
	v_dot2_f32_f16 v78, v84, v96, v78
	;;#ASMEND
	;;#ASMSTART
	v_dot2_f32_f16 v77, v81, v97, v77
	;;#ASMEND
	;; [unrolled: 3-line block ×8, first 2 shown]
	v_dual_mov_b32 v83, 0 :: v_dual_mov_b32 v82, 0
	;;#ASMSTART
	v_dot2_f32_f16 v76, v84, v104, v76
	;;#ASMEND
	s_wait_dscnt 0x1
	;;#ASMSTART
	v_dot2_f32_f16 v83, v105, v89, v83
	;;#ASMEND
	;;#ASMSTART
	v_dot2_f32_f16 v83, v106, v90, v83
	;;#ASMEND
	;; [unrolled: 3-line block ×7, first 2 shown]
	v_mov_b32_e32 v81, 0
	;;#ASMSTART
	v_dot2_f32_f16 v82, v108, v96, v82
	;;#ASMEND
	;;#ASMSTART
	v_dot2_f32_f16 v81, v105, v97, v81
	;;#ASMEND
	;; [unrolled: 3-line block ×4, first 2 shown]
	v_mov_b32_e32 v79, 0
	;;#ASMSTART
	v_dot2_f32_f16 v81, v108, v100, v81
	;;#ASMEND
	;;#ASMSTART
	v_dot2_f32_f16 v79, v105, v101, v79
	;;#ASMEND
	;;#ASMSTART
	v_dot2_f32_f16 v79, v106, v102, v79
	;;#ASMEND
	;;#ASMSTART
	v_dot2_f32_f16 v79, v107, v103, v79
	;;#ASMEND
	;;#ASMSTART
	v_dot2_f32_f16 v79, v108, v104, v79
	;;#ASMEND
	s_wait_dscnt 0x0
	;;#ASMSTART
	v_dot2_f32_f16 v88, v109, v89, v88
	;;#ASMEND
	;;#ASMSTART
	v_dot2_f32_f16 v88, v110, v90, v88
	;;#ASMEND
	;; [unrolled: 3-line block ×8, first 2 shown]
	v_mov_b32_e32 v84, 0
	;;#ASMSTART
	v_dot2_f32_f16 v85, v109, v97, v85
	;;#ASMEND
	;;#ASMSTART
	v_dot2_f32_f16 v85, v110, v98, v85
	;;#ASMEND
	;; [unrolled: 3-line block ×8, first 2 shown]
	ds_load_b128 v[89:92], v49 offset:16
	ds_load_b128 v[93:96], v33 offset:16
	ds_load_b128 v[97:100], v33 offset:272
	ds_load_b128 v[101:104], v33 offset:528
	ds_load_b128 v[105:108], v33 offset:784
	ds_load_b128 v[109:112], v49 offset:4624
	ds_load_b128 v[113:116], v49 offset:9232
	ds_load_b128 v[117:120], v49 offset:13840
	s_wait_dscnt 0x6
	;;#ASMSTART
	v_dot2_f32_f16 v80, v89, v93, v80
	;;#ASMEND
	;;#ASMSTART
	v_dot2_f32_f16 v80, v90, v94, v80
	;;#ASMEND
	;;#ASMSTART
	v_dot2_f32_f16 v80, v91, v95, v80
	;;#ASMEND
	;;#ASMSTART
	v_dot2_f32_f16 v80, v92, v96, v80
	;;#ASMEND
	s_wait_dscnt 0x5
	;;#ASMSTART
	v_dot2_f32_f16 v75, v89, v97, v75
	;;#ASMEND
	;;#ASMSTART
	v_dot2_f32_f16 v75, v90, v98, v75
	;;#ASMEND
	;;#ASMSTART
	v_dot2_f32_f16 v75, v91, v99, v75
	;;#ASMEND
	;;#ASMSTART
	v_dot2_f32_f16 v75, v92, v100, v75
	;;#ASMEND
	;; [unrolled: 13-line block ×5, first 2 shown]
	;;#ASMSTART
	v_dot2_f32_f16 v78, v109, v97, v78
	;;#ASMEND
	;;#ASMSTART
	v_dot2_f32_f16 v78, v110, v98, v78
	;;#ASMEND
	;; [unrolled: 3-line block ×12, first 2 shown]
	s_wait_dscnt 0x1
	;;#ASMSTART
	v_dot2_f32_f16 v83, v113, v93, v83
	;;#ASMEND
	;;#ASMSTART
	v_dot2_f32_f16 v83, v114, v94, v83
	;;#ASMEND
	;; [unrolled: 3-line block ×16, first 2 shown]
	s_wait_dscnt 0x0
	;;#ASMSTART
	v_dot2_f32_f16 v88, v117, v93, v88
	;;#ASMEND
	;;#ASMSTART
	v_dot2_f32_f16 v88, v118, v94, v88
	;;#ASMEND
	;; [unrolled: 3-line block ×16, first 2 shown]
	ds_load_b128 v[89:92], v49 offset:32
	ds_load_b128 v[93:96], v33 offset:32
	;; [unrolled: 1-line block ×8, first 2 shown]
	s_wait_dscnt 0x6
	;;#ASMSTART
	v_dot2_f32_f16 v80, v89, v93, v80
	;;#ASMEND
	;;#ASMSTART
	v_dot2_f32_f16 v80, v90, v94, v80
	;;#ASMEND
	;;#ASMSTART
	v_dot2_f32_f16 v80, v91, v95, v80
	;;#ASMEND
	;;#ASMSTART
	v_dot2_f32_f16 v80, v92, v96, v80
	;;#ASMEND
	s_wait_dscnt 0x5
	;;#ASMSTART
	v_dot2_f32_f16 v75, v89, v97, v75
	;;#ASMEND
	;;#ASMSTART
	v_dot2_f32_f16 v75, v90, v98, v75
	;;#ASMEND
	;;#ASMSTART
	v_dot2_f32_f16 v75, v91, v99, v75
	;;#ASMEND
	;;#ASMSTART
	v_dot2_f32_f16 v75, v92, v100, v75
	;;#ASMEND
	;; [unrolled: 13-line block ×5, first 2 shown]
	;;#ASMSTART
	v_dot2_f32_f16 v78, v109, v97, v78
	;;#ASMEND
	;;#ASMSTART
	v_dot2_f32_f16 v78, v110, v98, v78
	;;#ASMEND
	;; [unrolled: 3-line block ×12, first 2 shown]
	s_wait_dscnt 0x1
	;;#ASMSTART
	v_dot2_f32_f16 v83, v113, v93, v83
	;;#ASMEND
	;;#ASMSTART
	v_dot2_f32_f16 v83, v114, v94, v83
	;;#ASMEND
	;; [unrolled: 3-line block ×16, first 2 shown]
	s_wait_dscnt 0x0
	;;#ASMSTART
	v_dot2_f32_f16 v88, v117, v93, v88
	;;#ASMEND
	;;#ASMSTART
	v_dot2_f32_f16 v88, v118, v94, v88
	;;#ASMEND
	;; [unrolled: 3-line block ×16, first 2 shown]
	ds_load_b128 v[89:92], v49 offset:48
	ds_load_b128 v[93:96], v33 offset:48
	;; [unrolled: 1-line block ×8, first 2 shown]
	s_wait_dscnt 0x6
	;;#ASMSTART
	v_dot2_f32_f16 v80, v89, v93, v80
	;;#ASMEND
	;;#ASMSTART
	v_dot2_f32_f16 v80, v90, v94, v80
	;;#ASMEND
	;;#ASMSTART
	v_dot2_f32_f16 v80, v91, v95, v80
	;;#ASMEND
	;;#ASMSTART
	v_dot2_f32_f16 v80, v92, v96, v80
	;;#ASMEND
	s_wait_dscnt 0x5
	;;#ASMSTART
	v_dot2_f32_f16 v75, v89, v97, v75
	;;#ASMEND
	;;#ASMSTART
	v_dot2_f32_f16 v75, v90, v98, v75
	;;#ASMEND
	;;#ASMSTART
	v_dot2_f32_f16 v75, v91, v99, v75
	;;#ASMEND
	;;#ASMSTART
	v_dot2_f32_f16 v75, v92, v100, v75
	;;#ASMEND
	;; [unrolled: 13-line block ×5, first 2 shown]
	;;#ASMSTART
	v_dot2_f32_f16 v78, v109, v97, v78
	;;#ASMEND
	;;#ASMSTART
	v_dot2_f32_f16 v78, v110, v98, v78
	;;#ASMEND
	;; [unrolled: 3-line block ×12, first 2 shown]
	s_wait_dscnt 0x1
	;;#ASMSTART
	v_dot2_f32_f16 v83, v113, v93, v83
	;;#ASMEND
	;;#ASMSTART
	v_dot2_f32_f16 v83, v114, v94, v83
	;;#ASMEND
	;; [unrolled: 3-line block ×16, first 2 shown]
	s_wait_dscnt 0x0
	;;#ASMSTART
	v_dot2_f32_f16 v88, v117, v93, v88
	;;#ASMEND
	;;#ASMSTART
	v_dot2_f32_f16 v88, v118, v94, v88
	;;#ASMEND
	;; [unrolled: 3-line block ×16, first 2 shown]
	ds_load_b128 v[89:92], v49 offset:64
	ds_load_b128 v[93:96], v33 offset:64
	;; [unrolled: 1-line block ×8, first 2 shown]
	s_wait_dscnt 0x6
	;;#ASMSTART
	v_dot2_f32_f16 v80, v89, v93, v80
	;;#ASMEND
	;;#ASMSTART
	v_dot2_f32_f16 v80, v90, v94, v80
	;;#ASMEND
	;;#ASMSTART
	v_dot2_f32_f16 v80, v91, v95, v80
	;;#ASMEND
	;;#ASMSTART
	v_dot2_f32_f16 v80, v92, v96, v80
	;;#ASMEND
	s_wait_dscnt 0x5
	;;#ASMSTART
	v_dot2_f32_f16 v75, v89, v97, v75
	;;#ASMEND
	;;#ASMSTART
	v_dot2_f32_f16 v75, v90, v98, v75
	;;#ASMEND
	;;#ASMSTART
	v_dot2_f32_f16 v75, v91, v99, v75
	;;#ASMEND
	;;#ASMSTART
	v_dot2_f32_f16 v75, v92, v100, v75
	;;#ASMEND
	;; [unrolled: 13-line block ×5, first 2 shown]
	;;#ASMSTART
	v_dot2_f32_f16 v78, v109, v97, v78
	;;#ASMEND
	;;#ASMSTART
	v_dot2_f32_f16 v78, v110, v98, v78
	;;#ASMEND
	;; [unrolled: 3-line block ×12, first 2 shown]
	s_wait_dscnt 0x1
	;;#ASMSTART
	v_dot2_f32_f16 v83, v113, v93, v83
	;;#ASMEND
	;;#ASMSTART
	v_dot2_f32_f16 v83, v114, v94, v83
	;;#ASMEND
	;; [unrolled: 3-line block ×16, first 2 shown]
	s_wait_dscnt 0x0
	;;#ASMSTART
	v_dot2_f32_f16 v88, v117, v93, v88
	;;#ASMEND
	;;#ASMSTART
	v_dot2_f32_f16 v88, v118, v94, v88
	;;#ASMEND
	;; [unrolled: 3-line block ×16, first 2 shown]
	ds_load_b128 v[89:92], v49 offset:80
	ds_load_b128 v[93:96], v33 offset:80
	;; [unrolled: 1-line block ×8, first 2 shown]
	s_wait_dscnt 0x6
	;;#ASMSTART
	v_dot2_f32_f16 v80, v89, v93, v80
	;;#ASMEND
	;;#ASMSTART
	v_dot2_f32_f16 v80, v90, v94, v80
	;;#ASMEND
	;;#ASMSTART
	v_dot2_f32_f16 v80, v91, v95, v80
	;;#ASMEND
	;;#ASMSTART
	v_dot2_f32_f16 v80, v92, v96, v80
	;;#ASMEND
	s_wait_dscnt 0x5
	;;#ASMSTART
	v_dot2_f32_f16 v75, v89, v97, v75
	;;#ASMEND
	;;#ASMSTART
	v_dot2_f32_f16 v75, v90, v98, v75
	;;#ASMEND
	;;#ASMSTART
	v_dot2_f32_f16 v75, v91, v99, v75
	;;#ASMEND
	;;#ASMSTART
	v_dot2_f32_f16 v75, v92, v100, v75
	;;#ASMEND
	;; [unrolled: 13-line block ×5, first 2 shown]
	;;#ASMSTART
	v_dot2_f32_f16 v78, v109, v97, v78
	;;#ASMEND
	;;#ASMSTART
	v_dot2_f32_f16 v78, v110, v98, v78
	;;#ASMEND
	;; [unrolled: 3-line block ×12, first 2 shown]
	s_wait_dscnt 0x1
	;;#ASMSTART
	v_dot2_f32_f16 v83, v113, v93, v83
	;;#ASMEND
	;;#ASMSTART
	v_dot2_f32_f16 v83, v114, v94, v83
	;;#ASMEND
	;; [unrolled: 3-line block ×16, first 2 shown]
	s_wait_dscnt 0x0
	;;#ASMSTART
	v_dot2_f32_f16 v88, v117, v93, v88
	;;#ASMEND
	;;#ASMSTART
	v_dot2_f32_f16 v88, v118, v94, v88
	;;#ASMEND
	;; [unrolled: 3-line block ×16, first 2 shown]
	ds_load_b128 v[89:92], v49 offset:96
	ds_load_b128 v[93:96], v33 offset:96
	;; [unrolled: 1-line block ×8, first 2 shown]
	s_wait_dscnt 0x6
	;;#ASMSTART
	v_dot2_f32_f16 v80, v89, v93, v80
	;;#ASMEND
	;;#ASMSTART
	v_dot2_f32_f16 v80, v90, v94, v80
	;;#ASMEND
	;;#ASMSTART
	v_dot2_f32_f16 v80, v91, v95, v80
	;;#ASMEND
	;;#ASMSTART
	v_dot2_f32_f16 v80, v92, v96, v80
	;;#ASMEND
	s_wait_dscnt 0x5
	;;#ASMSTART
	v_dot2_f32_f16 v75, v89, v97, v75
	;;#ASMEND
	;;#ASMSTART
	v_dot2_f32_f16 v75, v90, v98, v75
	;;#ASMEND
	;;#ASMSTART
	v_dot2_f32_f16 v75, v91, v99, v75
	;;#ASMEND
	;;#ASMSTART
	v_dot2_f32_f16 v75, v92, v100, v75
	;;#ASMEND
	;; [unrolled: 13-line block ×5, first 2 shown]
	;;#ASMSTART
	v_dot2_f32_f16 v78, v109, v97, v78
	;;#ASMEND
	;;#ASMSTART
	v_dot2_f32_f16 v78, v110, v98, v78
	;;#ASMEND
	;; [unrolled: 3-line block ×12, first 2 shown]
	s_wait_dscnt 0x1
	;;#ASMSTART
	v_dot2_f32_f16 v83, v113, v93, v83
	;;#ASMEND
	;;#ASMSTART
	v_dot2_f32_f16 v83, v114, v94, v83
	;;#ASMEND
	;; [unrolled: 3-line block ×16, first 2 shown]
	s_wait_dscnt 0x0
	;;#ASMSTART
	v_dot2_f32_f16 v88, v117, v93, v88
	;;#ASMEND
	;;#ASMSTART
	v_dot2_f32_f16 v88, v118, v94, v88
	;;#ASMEND
	;; [unrolled: 3-line block ×16, first 2 shown]
	ds_load_b128 v[89:92], v49 offset:112
	ds_load_b128 v[93:96], v33 offset:112
	;; [unrolled: 1-line block ×8, first 2 shown]
	s_wait_dscnt 0x6
	;;#ASMSTART
	v_dot2_f32_f16 v80, v89, v93, v80
	;;#ASMEND
	;;#ASMSTART
	v_dot2_f32_f16 v80, v90, v94, v80
	;;#ASMEND
	;;#ASMSTART
	v_dot2_f32_f16 v80, v91, v95, v80
	;;#ASMEND
	;;#ASMSTART
	v_dot2_f32_f16 v80, v92, v96, v80
	;;#ASMEND
	s_wait_dscnt 0x5
	;;#ASMSTART
	v_dot2_f32_f16 v75, v89, v97, v75
	;;#ASMEND
	;;#ASMSTART
	v_dot2_f32_f16 v75, v90, v98, v75
	;;#ASMEND
	;;#ASMSTART
	v_dot2_f32_f16 v75, v91, v99, v75
	;;#ASMEND
	;;#ASMSTART
	v_dot2_f32_f16 v75, v92, v100, v75
	;;#ASMEND
	;; [unrolled: 13-line block ×5, first 2 shown]
	;;#ASMSTART
	v_dot2_f32_f16 v78, v109, v97, v78
	;;#ASMEND
	;;#ASMSTART
	v_dot2_f32_f16 v78, v110, v98, v78
	;;#ASMEND
	;; [unrolled: 3-line block ×12, first 2 shown]
	s_wait_dscnt 0x1
	;;#ASMSTART
	v_dot2_f32_f16 v83, v113, v93, v83
	;;#ASMEND
	;;#ASMSTART
	v_dot2_f32_f16 v83, v114, v94, v83
	;;#ASMEND
	;; [unrolled: 3-line block ×16, first 2 shown]
	s_wait_dscnt 0x0
	;;#ASMSTART
	v_dot2_f32_f16 v88, v117, v93, v88
	;;#ASMEND
	;;#ASMSTART
	v_dot2_f32_f16 v88, v118, v94, v88
	;;#ASMEND
	;; [unrolled: 3-line block ×16, first 2 shown]
	s_wait_loadcnt 0x0
	s_barrier_signal -1
	s_barrier_wait -1
	global_inv scope:SCOPE_SE
	s_clause 0x1
	global_load_b128 v[89:92], v[4:5], off offset:128
	global_load_b128 v[4:7], v[6:7], off offset:128
	s_wait_loadcnt 0x1
	ds_store_b128 v45, v[89:92]
	s_wait_loadcnt 0x0
	ds_store_b128 v46, v[4:7]
	global_load_b128 v[4:7], v[28:29], off offset:128
	s_wait_loadcnt 0x0
	ds_store_b128 v47, v[4:7]
	global_load_b128 v[4:7], v[30:31], off offset:128
	s_wait_loadcnt 0x0
	ds_store_b128 v48, v[4:7]
	s_wait_dscnt 0x0
	s_barrier_signal -1
	s_barrier_wait -1
	global_inv scope:SCOPE_SE
	ds_load_b128 v[4:7], v49
	ds_load_b128 v[28:31], v33 offset:128
	ds_load_b128 v[89:92], v33 offset:384
	;; [unrolled: 1-line block ×7, first 2 shown]
	s_wait_dscnt 0x6
	;;#ASMSTART
	v_dot2_f32_f16 v80, v4, v28, v80
	;;#ASMEND
	;;#ASMSTART
	v_dot2_f32_f16 v80, v5, v29, v80
	;;#ASMEND
	;;#ASMSTART
	v_dot2_f32_f16 v80, v6, v30, v80
	;;#ASMEND
	;;#ASMSTART
	v_dot2_f32_f16 v80, v7, v31, v80
	;;#ASMEND
	s_wait_dscnt 0x5
	;;#ASMSTART
	v_dot2_f32_f16 v75, v4, v89, v75
	;;#ASMEND
	;;#ASMSTART
	v_dot2_f32_f16 v75, v5, v90, v75
	;;#ASMEND
	;;#ASMSTART
	v_dot2_f32_f16 v75, v6, v91, v75
	;;#ASMEND
	;;#ASMSTART
	v_dot2_f32_f16 v75, v7, v92, v75
	;;#ASMEND
	;; [unrolled: 13-line block ×5, first 2 shown]
	;;#ASMSTART
	v_dot2_f32_f16 v78, v101, v89, v78
	;;#ASMEND
	;;#ASMSTART
	v_dot2_f32_f16 v78, v102, v90, v78
	;;#ASMEND
	;; [unrolled: 3-line block ×12, first 2 shown]
	s_wait_dscnt 0x1
	;;#ASMSTART
	v_dot2_f32_f16 v83, v105, v28, v83
	;;#ASMEND
	;;#ASMSTART
	v_dot2_f32_f16 v83, v106, v29, v83
	;;#ASMEND
	;; [unrolled: 3-line block ×16, first 2 shown]
	s_wait_dscnt 0x0
	;;#ASMSTART
	v_dot2_f32_f16 v88, v109, v28, v88
	;;#ASMEND
	;;#ASMSTART
	v_dot2_f32_f16 v88, v110, v29, v88
	;;#ASMEND
	;; [unrolled: 3-line block ×16, first 2 shown]
	ds_load_b128 v[4:7], v49 offset:16
	ds_load_b128 v[28:31], v33 offset:144
	;; [unrolled: 1-line block ×8, first 2 shown]
	s_wait_dscnt 0x6
	;;#ASMSTART
	v_dot2_f32_f16 v80, v4, v28, v80
	;;#ASMEND
	;;#ASMSTART
	v_dot2_f32_f16 v80, v5, v29, v80
	;;#ASMEND
	;;#ASMSTART
	v_dot2_f32_f16 v80, v6, v30, v80
	;;#ASMEND
	;;#ASMSTART
	v_dot2_f32_f16 v80, v7, v31, v80
	;;#ASMEND
	s_wait_dscnt 0x5
	;;#ASMSTART
	v_dot2_f32_f16 v75, v4, v89, v75
	;;#ASMEND
	;;#ASMSTART
	v_dot2_f32_f16 v75, v5, v90, v75
	;;#ASMEND
	;;#ASMSTART
	v_dot2_f32_f16 v75, v6, v91, v75
	;;#ASMEND
	;;#ASMSTART
	v_dot2_f32_f16 v75, v7, v92, v75
	;;#ASMEND
	;; [unrolled: 13-line block ×5, first 2 shown]
	;;#ASMSTART
	v_dot2_f32_f16 v78, v101, v89, v78
	;;#ASMEND
	;;#ASMSTART
	v_dot2_f32_f16 v78, v102, v90, v78
	;;#ASMEND
	;; [unrolled: 3-line block ×12, first 2 shown]
	s_wait_dscnt 0x1
	;;#ASMSTART
	v_dot2_f32_f16 v83, v105, v28, v83
	;;#ASMEND
	;;#ASMSTART
	v_dot2_f32_f16 v83, v106, v29, v83
	;;#ASMEND
	;; [unrolled: 3-line block ×16, first 2 shown]
	s_wait_dscnt 0x0
	;;#ASMSTART
	v_dot2_f32_f16 v88, v109, v28, v88
	;;#ASMEND
	;;#ASMSTART
	v_dot2_f32_f16 v88, v110, v29, v88
	;;#ASMEND
	;; [unrolled: 3-line block ×16, first 2 shown]
	ds_load_b128 v[4:7], v49 offset:32
	ds_load_b128 v[28:31], v33 offset:160
	;; [unrolled: 1-line block ×8, first 2 shown]
	s_wait_dscnt 0x6
	;;#ASMSTART
	v_dot2_f32_f16 v80, v4, v28, v80
	;;#ASMEND
	;;#ASMSTART
	v_dot2_f32_f16 v80, v5, v29, v80
	;;#ASMEND
	;;#ASMSTART
	v_dot2_f32_f16 v80, v6, v30, v80
	;;#ASMEND
	;;#ASMSTART
	v_dot2_f32_f16 v80, v7, v31, v80
	;;#ASMEND
	s_wait_dscnt 0x5
	;;#ASMSTART
	v_dot2_f32_f16 v75, v4, v89, v75
	;;#ASMEND
	;;#ASMSTART
	v_dot2_f32_f16 v75, v5, v90, v75
	;;#ASMEND
	;;#ASMSTART
	v_dot2_f32_f16 v75, v6, v91, v75
	;;#ASMEND
	;;#ASMSTART
	v_dot2_f32_f16 v75, v7, v92, v75
	;;#ASMEND
	;; [unrolled: 13-line block ×5, first 2 shown]
	;;#ASMSTART
	v_dot2_f32_f16 v78, v101, v89, v78
	;;#ASMEND
	;;#ASMSTART
	v_dot2_f32_f16 v78, v102, v90, v78
	;;#ASMEND
	;; [unrolled: 3-line block ×12, first 2 shown]
	s_wait_dscnt 0x1
	;;#ASMSTART
	v_dot2_f32_f16 v83, v105, v28, v83
	;;#ASMEND
	;;#ASMSTART
	v_dot2_f32_f16 v83, v106, v29, v83
	;;#ASMEND
	;; [unrolled: 3-line block ×16, first 2 shown]
	s_wait_dscnt 0x0
	;;#ASMSTART
	v_dot2_f32_f16 v88, v109, v28, v88
	;;#ASMEND
	;;#ASMSTART
	v_dot2_f32_f16 v88, v110, v29, v88
	;;#ASMEND
	;; [unrolled: 3-line block ×16, first 2 shown]
	ds_load_b128 v[4:7], v49 offset:48
	ds_load_b128 v[28:31], v33 offset:176
	;; [unrolled: 1-line block ×8, first 2 shown]
	s_wait_dscnt 0x6
	;;#ASMSTART
	v_dot2_f32_f16 v80, v4, v28, v80
	;;#ASMEND
	;;#ASMSTART
	v_dot2_f32_f16 v80, v5, v29, v80
	;;#ASMEND
	;;#ASMSTART
	v_dot2_f32_f16 v80, v6, v30, v80
	;;#ASMEND
	;;#ASMSTART
	v_dot2_f32_f16 v80, v7, v31, v80
	;;#ASMEND
	s_wait_dscnt 0x5
	;;#ASMSTART
	v_dot2_f32_f16 v75, v4, v89, v75
	;;#ASMEND
	;;#ASMSTART
	v_dot2_f32_f16 v75, v5, v90, v75
	;;#ASMEND
	;;#ASMSTART
	v_dot2_f32_f16 v75, v6, v91, v75
	;;#ASMEND
	;;#ASMSTART
	v_dot2_f32_f16 v75, v7, v92, v75
	;;#ASMEND
	;; [unrolled: 13-line block ×5, first 2 shown]
	;;#ASMSTART
	v_dot2_f32_f16 v78, v101, v89, v78
	;;#ASMEND
	;;#ASMSTART
	v_dot2_f32_f16 v78, v102, v90, v78
	;;#ASMEND
	;; [unrolled: 3-line block ×12, first 2 shown]
	s_wait_dscnt 0x1
	;;#ASMSTART
	v_dot2_f32_f16 v83, v105, v28, v83
	;;#ASMEND
	;;#ASMSTART
	v_dot2_f32_f16 v83, v106, v29, v83
	;;#ASMEND
	;;#ASMSTART
	v_dot2_f32_f16 v83, v107, v30, v83
	;;#ASMEND
	;;#ASMSTART
	v_dot2_f32_f16 v83, v108, v31, v83
	;;#ASMEND
	;;#ASMSTART
	v_dot2_f32_f16 v82, v105, v89, v82
	;;#ASMEND
	;;#ASMSTART
	v_dot2_f32_f16 v82, v106, v90, v82
	;;#ASMEND
	;;#ASMSTART
	v_dot2_f32_f16 v82, v107, v91, v82
	;;#ASMEND
	;;#ASMSTART
	v_dot2_f32_f16 v82, v108, v92, v82
	;;#ASMEND
	;;#ASMSTART
	v_dot2_f32_f16 v81, v105, v93, v81
	;;#ASMEND
	;;#ASMSTART
	v_dot2_f32_f16 v81, v106, v94, v81
	;;#ASMEND
	;;#ASMSTART
	v_dot2_f32_f16 v81, v107, v95, v81
	;;#ASMEND
	;;#ASMSTART
	v_dot2_f32_f16 v81, v108, v96, v81
	;;#ASMEND
	;;#ASMSTART
	v_dot2_f32_f16 v79, v105, v97, v79
	;;#ASMEND
	;;#ASMSTART
	v_dot2_f32_f16 v79, v106, v98, v79
	;;#ASMEND
	;;#ASMSTART
	v_dot2_f32_f16 v79, v107, v99, v79
	;;#ASMEND
	;;#ASMSTART
	v_dot2_f32_f16 v79, v108, v100, v79
	;;#ASMEND
	s_wait_dscnt 0x0
	;;#ASMSTART
	v_dot2_f32_f16 v88, v109, v28, v88
	;;#ASMEND
	;;#ASMSTART
	v_dot2_f32_f16 v88, v110, v29, v88
	;;#ASMEND
	;; [unrolled: 3-line block ×16, first 2 shown]
	ds_load_b128 v[4:7], v49 offset:64
	ds_load_b128 v[28:31], v33 offset:192
	;; [unrolled: 1-line block ×8, first 2 shown]
	s_wait_dscnt 0x6
	;;#ASMSTART
	v_dot2_f32_f16 v80, v4, v28, v80
	;;#ASMEND
	;;#ASMSTART
	v_dot2_f32_f16 v80, v5, v29, v80
	;;#ASMEND
	;;#ASMSTART
	v_dot2_f32_f16 v80, v6, v30, v80
	;;#ASMEND
	;;#ASMSTART
	v_dot2_f32_f16 v80, v7, v31, v80
	;;#ASMEND
	s_wait_dscnt 0x5
	;;#ASMSTART
	v_dot2_f32_f16 v75, v4, v89, v75
	;;#ASMEND
	;;#ASMSTART
	v_dot2_f32_f16 v75, v5, v90, v75
	;;#ASMEND
	;;#ASMSTART
	v_dot2_f32_f16 v75, v6, v91, v75
	;;#ASMEND
	;;#ASMSTART
	v_dot2_f32_f16 v75, v7, v92, v75
	;;#ASMEND
	;; [unrolled: 13-line block ×5, first 2 shown]
	;;#ASMSTART
	v_dot2_f32_f16 v78, v101, v89, v78
	;;#ASMEND
	;;#ASMSTART
	v_dot2_f32_f16 v78, v102, v90, v78
	;;#ASMEND
	;; [unrolled: 3-line block ×12, first 2 shown]
	s_wait_dscnt 0x1
	;;#ASMSTART
	v_dot2_f32_f16 v83, v105, v28, v83
	;;#ASMEND
	;;#ASMSTART
	v_dot2_f32_f16 v83, v106, v29, v83
	;;#ASMEND
	;; [unrolled: 3-line block ×16, first 2 shown]
	s_wait_dscnt 0x0
	;;#ASMSTART
	v_dot2_f32_f16 v88, v109, v28, v88
	;;#ASMEND
	;;#ASMSTART
	v_dot2_f32_f16 v88, v110, v29, v88
	;;#ASMEND
	;; [unrolled: 3-line block ×16, first 2 shown]
	ds_load_b128 v[4:7], v49 offset:80
	ds_load_b128 v[28:31], v33 offset:208
	;; [unrolled: 1-line block ×8, first 2 shown]
	s_wait_dscnt 0x6
	;;#ASMSTART
	v_dot2_f32_f16 v80, v4, v28, v80
	;;#ASMEND
	;;#ASMSTART
	v_dot2_f32_f16 v80, v5, v29, v80
	;;#ASMEND
	;;#ASMSTART
	v_dot2_f32_f16 v80, v6, v30, v80
	;;#ASMEND
	;;#ASMSTART
	v_dot2_f32_f16 v80, v7, v31, v80
	;;#ASMEND
	s_wait_dscnt 0x5
	;;#ASMSTART
	v_dot2_f32_f16 v75, v4, v89, v75
	;;#ASMEND
	;;#ASMSTART
	v_dot2_f32_f16 v75, v5, v90, v75
	;;#ASMEND
	;;#ASMSTART
	v_dot2_f32_f16 v75, v6, v91, v75
	;;#ASMEND
	;;#ASMSTART
	v_dot2_f32_f16 v75, v7, v92, v75
	;;#ASMEND
	;; [unrolled: 13-line block ×5, first 2 shown]
	;;#ASMSTART
	v_dot2_f32_f16 v78, v101, v89, v78
	;;#ASMEND
	;;#ASMSTART
	v_dot2_f32_f16 v78, v102, v90, v78
	;;#ASMEND
	;; [unrolled: 3-line block ×12, first 2 shown]
	s_wait_dscnt 0x1
	;;#ASMSTART
	v_dot2_f32_f16 v83, v105, v28, v83
	;;#ASMEND
	;;#ASMSTART
	v_dot2_f32_f16 v83, v106, v29, v83
	;;#ASMEND
	;;#ASMSTART
	v_dot2_f32_f16 v83, v107, v30, v83
	;;#ASMEND
	;;#ASMSTART
	v_dot2_f32_f16 v83, v108, v31, v83
	;;#ASMEND
	;;#ASMSTART
	v_dot2_f32_f16 v82, v105, v89, v82
	;;#ASMEND
	;;#ASMSTART
	v_dot2_f32_f16 v82, v106, v90, v82
	;;#ASMEND
	;;#ASMSTART
	v_dot2_f32_f16 v82, v107, v91, v82
	;;#ASMEND
	;;#ASMSTART
	v_dot2_f32_f16 v82, v108, v92, v82
	;;#ASMEND
	;;#ASMSTART
	v_dot2_f32_f16 v81, v105, v93, v81
	;;#ASMEND
	;;#ASMSTART
	v_dot2_f32_f16 v81, v106, v94, v81
	;;#ASMEND
	;;#ASMSTART
	v_dot2_f32_f16 v81, v107, v95, v81
	;;#ASMEND
	;;#ASMSTART
	v_dot2_f32_f16 v81, v108, v96, v81
	;;#ASMEND
	;;#ASMSTART
	v_dot2_f32_f16 v79, v105, v97, v79
	;;#ASMEND
	;;#ASMSTART
	v_dot2_f32_f16 v79, v106, v98, v79
	;;#ASMEND
	;;#ASMSTART
	v_dot2_f32_f16 v79, v107, v99, v79
	;;#ASMEND
	;;#ASMSTART
	v_dot2_f32_f16 v79, v108, v100, v79
	;;#ASMEND
	s_wait_dscnt 0x0
	;;#ASMSTART
	v_dot2_f32_f16 v88, v109, v28, v88
	;;#ASMEND
	;;#ASMSTART
	v_dot2_f32_f16 v88, v110, v29, v88
	;;#ASMEND
	;; [unrolled: 3-line block ×16, first 2 shown]
	ds_load_b128 v[4:7], v49 offset:96
	ds_load_b128 v[28:31], v33 offset:224
	;; [unrolled: 1-line block ×8, first 2 shown]
	s_wait_dscnt 0x6
	;;#ASMSTART
	v_dot2_f32_f16 v80, v4, v28, v80
	;;#ASMEND
	;;#ASMSTART
	v_dot2_f32_f16 v80, v5, v29, v80
	;;#ASMEND
	;;#ASMSTART
	v_dot2_f32_f16 v80, v6, v30, v80
	;;#ASMEND
	;;#ASMSTART
	v_dot2_f32_f16 v80, v7, v31, v80
	;;#ASMEND
	s_wait_dscnt 0x5
	;;#ASMSTART
	v_dot2_f32_f16 v75, v4, v89, v75
	;;#ASMEND
	;;#ASMSTART
	v_dot2_f32_f16 v75, v5, v90, v75
	;;#ASMEND
	;;#ASMSTART
	v_dot2_f32_f16 v75, v6, v91, v75
	;;#ASMEND
	;;#ASMSTART
	v_dot2_f32_f16 v75, v7, v92, v75
	;;#ASMEND
	s_wait_dscnt 0x4
	;;#ASMSTART
	v_dot2_f32_f16 v74, v4, v93, v74
	;;#ASMEND
	;;#ASMSTART
	v_dot2_f32_f16 v74, v5, v94, v74
	;;#ASMEND
	;;#ASMSTART
	v_dot2_f32_f16 v74, v6, v95, v74
	;;#ASMEND
	;;#ASMSTART
	v_dot2_f32_f16 v74, v7, v96, v74
	;;#ASMEND
	s_wait_dscnt 0x3
	;;#ASMSTART
	v_dot2_f32_f16 v73, v4, v97, v73
	;;#ASMEND
	;;#ASMSTART
	v_dot2_f32_f16 v73, v5, v98, v73
	;;#ASMEND
	;;#ASMSTART
	v_dot2_f32_f16 v73, v6, v99, v73
	;;#ASMEND
	;;#ASMSTART
	v_dot2_f32_f16 v73, v7, v100, v73
	;;#ASMEND
	s_wait_dscnt 0x2
	;;#ASMSTART
	v_dot2_f32_f16 v87, v101, v28, v87
	;;#ASMEND
	;;#ASMSTART
	v_dot2_f32_f16 v87, v102, v29, v87
	;;#ASMEND
	;;#ASMSTART
	v_dot2_f32_f16 v87, v103, v30, v87
	;;#ASMEND
	;;#ASMSTART
	v_dot2_f32_f16 v87, v104, v31, v87
	;;#ASMEND
	;;#ASMSTART
	v_dot2_f32_f16 v78, v101, v89, v78
	;;#ASMEND
	;;#ASMSTART
	v_dot2_f32_f16 v78, v102, v90, v78
	;;#ASMEND
	;; [unrolled: 3-line block ×12, first 2 shown]
	s_wait_dscnt 0x1
	;;#ASMSTART
	v_dot2_f32_f16 v83, v105, v28, v83
	;;#ASMEND
	;;#ASMSTART
	v_dot2_f32_f16 v83, v106, v29, v83
	;;#ASMEND
	;; [unrolled: 3-line block ×16, first 2 shown]
	s_wait_dscnt 0x0
	;;#ASMSTART
	v_dot2_f32_f16 v88, v109, v28, v88
	;;#ASMEND
	;;#ASMSTART
	v_dot2_f32_f16 v88, v110, v29, v88
	;;#ASMEND
	;; [unrolled: 3-line block ×16, first 2 shown]
	ds_load_b128 v[4:7], v49 offset:112
	ds_load_b128 v[28:31], v33 offset:240
	;; [unrolled: 1-line block ×8, first 2 shown]
	s_wait_dscnt 0x6
	;;#ASMSTART
	v_dot2_f32_f16 v80, v4, v28, v80
	;;#ASMEND
	;;#ASMSTART
	v_dot2_f32_f16 v80, v5, v29, v80
	;;#ASMEND
	;;#ASMSTART
	v_dot2_f32_f16 v80, v6, v30, v80
	;;#ASMEND
	;;#ASMSTART
	v_dot2_f32_f16 v80, v7, v31, v80
	;;#ASMEND
	s_wait_dscnt 0x5
	;;#ASMSTART
	v_dot2_f32_f16 v75, v4, v89, v75
	;;#ASMEND
	;;#ASMSTART
	v_dot2_f32_f16 v75, v5, v90, v75
	;;#ASMEND
	;;#ASMSTART
	v_dot2_f32_f16 v75, v6, v91, v75
	;;#ASMEND
	;;#ASMSTART
	v_dot2_f32_f16 v75, v7, v92, v75
	;;#ASMEND
	;; [unrolled: 13-line block ×5, first 2 shown]
	;;#ASMSTART
	v_dot2_f32_f16 v78, v101, v89, v78
	;;#ASMEND
	;;#ASMSTART
	v_dot2_f32_f16 v78, v102, v90, v78
	;;#ASMEND
	;; [unrolled: 3-line block ×12, first 2 shown]
	s_wait_dscnt 0x1
	;;#ASMSTART
	v_dot2_f32_f16 v83, v105, v28, v83
	;;#ASMEND
	;;#ASMSTART
	v_dot2_f32_f16 v83, v106, v29, v83
	;;#ASMEND
	v_dual_mov_b32 v6, v1 :: v_dual_mov_b32 v7, v0
	v_add_nc_u32_e32 v0, s14, v8
	;;#ASMSTART
	v_dot2_f32_f16 v83, v107, v30, v83
	;;#ASMEND
	;;#ASMSTART
	v_dot2_f32_f16 v83, v108, v31, v83
	;;#ASMEND
	;; [unrolled: 3-line block ×7, first 2 shown]
	v_ashrrev_i32_e32 v1, 31, v0
	;;#ASMSTART
	v_dot2_f32_f16 v81, v106, v94, v81
	;;#ASMEND
	;;#ASMSTART
	v_dot2_f32_f16 v81, v107, v95, v81
	;;#ASMEND
	;; [unrolled: 3-line block ×6, first 2 shown]
	v_lshlrev_b64_e32 v[0:1], 1, v[0:1]
	;;#ASMSTART
	v_dot2_f32_f16 v79, v108, v100, v79
	;;#ASMEND
	s_wait_dscnt 0x0
	;;#ASMSTART
	v_dot2_f32_f16 v88, v109, v28, v88
	;;#ASMEND
	;;#ASMSTART
	v_dot2_f32_f16 v88, v110, v29, v88
	;;#ASMEND
	;; [unrolled: 3-line block ×7, first 2 shown]
	v_add_co_u32 v0, vcc_lo, s36, v0
	;;#ASMSTART
	v_dot2_f32_f16 v86, v112, v92, v86
	;;#ASMEND
	;;#ASMSTART
	v_dot2_f32_f16 v85, v109, v93, v85
	;;#ASMEND
	;;#ASMSTART
	v_dot2_f32_f16 v85, v110, v94, v85
	;;#ASMEND
	s_wait_alu 0xfffd
	v_add_co_ci_u32_e64 v1, null, s37, v1, vcc_lo
	;;#ASMSTART
	v_dot2_f32_f16 v85, v111, v95, v85
	;;#ASMEND
	;;#ASMSTART
	v_dot2_f32_f16 v85, v112, v96, v85
	;;#ASMEND
	;; [unrolled: 3-line block ×6, first 2 shown]
	v_dual_mov_b32 v4, v3 :: v_dual_mov_b32 v5, v2
	s_clause 0x3
	global_load_u16 v2, v[0:1], off
	global_load_u16 v3, v[0:1], off offset:64
	global_load_u16 v28, v[0:1], off offset:128
	;; [unrolled: 1-line block ×3, first 2 shown]
	v_cmp_gt_i32_e32 vcc_lo, 32, v40
	s_wait_loadcnt 0x0
	s_barrier_signal -1
	s_barrier_wait -1
	global_inv scope:SCOPE_SE
	v_cvt_f32_f16_e32 v1, v2
	v_cvt_f32_f16_e32 v2, v3
	;; [unrolled: 1-line block ×4, first 2 shown]
	s_delay_alu instid0(VALU_DEP_4) | instskip(NEXT) | instid1(VALU_DEP_3)
	v_add_f32_e32 v29, v80, v1
	v_dual_add_f32 v74, v74, v1 :: v_dual_add_f32 v79, v79, v28
	v_add_f32_e32 v80, v83, v28
	s_delay_alu instid0(VALU_DEP_4) | instskip(SKIP_1) | instid1(VALU_DEP_2)
	v_add_f32_e32 v83, v88, v0
	v_dual_add_f32 v73, v73, v1 :: v_dual_add_f32 v76, v76, v2
	v_dual_add_f32 v84, v84, v0 :: v_dual_add_f32 v31, 0x40051340, v83
	v_add_f32_e32 v87, v87, v2
	s_delay_alu instid0(VALU_DEP_1) | instskip(NEXT) | instid1(VALU_DEP_1)
	v_dual_add_f32 v3, 0x40051340, v29 :: v_dual_add_f32 v30, 0x40051340, v87
	v_max3_num_f32 v3, v7, v3, v30
	v_add_f32_e32 v30, 0x40051340, v80
	s_delay_alu instid0(VALU_DEP_1) | instskip(SKIP_2) | instid1(VALU_DEP_2)
	v_max3_num_f32 v3, v3, v30, v31
	v_dual_add_f32 v30, v75, v1 :: v_dual_add_f32 v75, v78, v2
	v_add_f32_e32 v1, 0x40051340, v76
	v_dual_add_f32 v31, 0x40051340, v30 :: v_dual_add_f32 v78, 0x40051340, v75
	s_delay_alu instid0(VALU_DEP_1) | instskip(SKIP_2) | instid1(VALU_DEP_2)
	v_max3_num_f32 v31, v6, v31, v78
	v_add_f32_e32 v78, v82, v28
	v_add_f32_e32 v82, v86, v0
	v_add_f32_e32 v86, 0x40051340, v78
	s_delay_alu instid0(VALU_DEP_2) | instskip(NEXT) | instid1(VALU_DEP_1)
	v_add_f32_e32 v88, 0x40051340, v82
	v_max3_num_f32 v31, v31, v86, v88
	v_add_f32_e32 v88, v77, v2
	s_delay_alu instid0(VALU_DEP_1) | instskip(NEXT) | instid1(VALU_DEP_1)
	v_dual_add_f32 v77, 0x40051340, v74 :: v_dual_add_f32 v86, 0x40051340, v88
	v_max3_num_f32 v86, v5, v77, v86
	v_add_f32_e32 v77, v81, v28
	v_dual_add_f32 v81, v85, v0 :: v_dual_add_f32 v0, 0x40051340, v73
	s_delay_alu instid0(VALU_DEP_2) | instskip(NEXT) | instid1(VALU_DEP_2)
	v_add_f32_e32 v85, 0x40051340, v77
	v_add_f32_e32 v89, 0x40051340, v81
	s_delay_alu instid0(VALU_DEP_3) | instskip(SKIP_1) | instid1(VALU_DEP_3)
	v_max3_num_f32 v0, v4, v0, v1
	v_dual_add_f32 v1, 0x40051340, v79 :: v_dual_add_f32 v2, 0x40051340, v84
	v_max3_num_f32 v85, v86, v85, v89
	s_delay_alu instid0(VALU_DEP_2) | instskip(SKIP_3) | instid1(VALU_DEP_2)
	v_max3_num_f32 v28, v0, v1, v2
	s_wait_alu 0xfffd
	v_cndmask_b32_e32 v0, v34, v40, vcc_lo
	v_cmp_gt_i32_e32 vcc_lo, 32, v39
	v_lshlrev_b32_e32 v86, 2, v0
	s_wait_alu 0xfffd
	v_cndmask_b32_e32 v2, v34, v39, vcc_lo
	v_cmp_gt_i32_e32 vcc_lo, 32, v38
	ds_bpermute_b32 v0, v86, v3
	ds_bpermute_b32 v1, v86, v31
	s_wait_dscnt 0x0
	v_dual_max_num_f32 v0, v0, v0 :: v_dual_max_num_f32 v1, v1, v1
	s_delay_alu instid0(VALU_DEP_1) | instskip(NEXT) | instid1(VALU_DEP_2)
	v_dual_max_num_f32 v0, v3, v0 :: v_dual_lshlrev_b32 v3, 2, v2
	v_max_num_f32_e32 v1, v31, v1
	ds_bpermute_b32 v2, v3, v0
	s_wait_dscnt 0x0
	v_max_num_f32_e32 v2, v2, v2
	s_delay_alu instid0(VALU_DEP_1) | instskip(SKIP_3) | instid1(VALU_DEP_1)
	v_max_num_f32_e32 v0, v0, v2
	ds_bpermute_b32 v2, v3, v1
	s_wait_dscnt 0x0
	v_max_num_f32_e32 v2, v2, v2
	v_max_num_f32_e32 v1, v1, v2
	s_wait_alu 0xfffd
	v_cndmask_b32_e32 v2, v34, v38, vcc_lo
	v_cmp_gt_i32_e32 vcc_lo, 32, v37
	s_delay_alu instid0(VALU_DEP_2) | instskip(SKIP_3) | instid1(VALU_DEP_1)
	v_lshlrev_b32_e32 v31, 2, v2
	ds_bpermute_b32 v2, v31, v0
	s_wait_dscnt 0x0
	v_max_num_f32_e32 v2, v2, v2
	v_max_num_f32_e32 v0, v0, v2
	ds_bpermute_b32 v2, v31, v1
	s_wait_dscnt 0x0
	v_max_num_f32_e32 v2, v2, v2
	s_wait_alu 0xfffd
	s_delay_alu instid0(VALU_DEP_1) | instskip(SKIP_1) | instid1(VALU_DEP_2)
	v_dual_max_num_f32 v1, v1, v2 :: v_dual_cndmask_b32 v2, v34, v37
	v_cmp_gt_i32_e32 vcc_lo, 32, v36
	v_lshlrev_b32_e32 v89, 2, v2
	ds_bpermute_b32 v2, v89, v0
	s_wait_dscnt 0x0
	v_max_num_f32_e32 v2, v2, v2
	s_delay_alu instid0(VALU_DEP_1) | instskip(SKIP_4) | instid1(VALU_DEP_1)
	v_max_num_f32_e32 v0, v0, v2
	ds_bpermute_b32 v2, v89, v1
	s_wait_dscnt 0x0
	v_max_num_f32_e32 v2, v2, v2
	s_wait_alu 0xfffd
	v_dual_max_num_f32 v1, v1, v2 :: v_dual_cndmask_b32 v2, v34, v36
	s_delay_alu instid0(VALU_DEP_1) | instskip(SKIP_3) | instid1(VALU_DEP_1)
	v_lshlrev_b32_e32 v90, 2, v2
	ds_bpermute_b32 v2, v90, v0
	s_wait_dscnt 0x0
	v_max_num_f32_e32 v2, v2, v2
	v_max_num_f32_e32 v0, v0, v2
	ds_bpermute_b32 v2, v86, v85
	s_wait_dscnt 0x0
	v_max_num_f32_e32 v2, v2, v2
	s_delay_alu instid0(VALU_DEP_1) | instskip(SKIP_3) | instid1(VALU_DEP_1)
	v_max_num_f32_e32 v2, v85, v2
	ds_bpermute_b32 v85, v3, v2
	s_wait_dscnt 0x0
	v_max_num_f32_e32 v85, v85, v85
	v_max_num_f32_e32 v2, v2, v85
	ds_bpermute_b32 v85, v31, v2
	s_wait_dscnt 0x0
	v_max_num_f32_e32 v85, v85, v85
	s_delay_alu instid0(VALU_DEP_1) | instskip(SKIP_3) | instid1(VALU_DEP_1)
	v_max_num_f32_e32 v2, v2, v85
	;; [unrolled: 9-line block ×5, first 2 shown]
	ds_bpermute_b32 v28, v90, v3
	s_wait_dscnt 0x0
	v_max_num_f32_e32 v28, v28, v28
	v_max_num_f32_e32 v3, v3, v28
	ds_bpermute_b32 v91, v90, v1
	v_sub_f32_e32 v28, v29, v0
	s_delay_alu instid0(VALU_DEP_1) | instskip(SKIP_2) | instid1(VALU_DEP_3)
	v_dual_sub_f32 v4, v4, v3 :: v_dual_mul_f32 v29, 0x3fb8aa3b, v28
	v_cmp_ngt_f32_e32 vcc_lo, 0xc2ce8ed0, v28
	v_cmp_nlt_f32_e64 s2, 0x42b17218, v28
	v_fma_f32 v31, 0x3fb8aa3b, v28, -v29
	s_delay_alu instid0(VALU_DEP_1)
	v_fmac_f32_e32 v31, 0x32a5705f, v28
	v_sub_f32_e32 v80, v80, v0
	v_sub_f32_e32 v83, v83, v0
	;; [unrolled: 1-line block ×3, first 2 shown]
	s_wait_dscnt 0x0
	v_max_num_f32_e32 v91, v91, v91
	s_delay_alu instid0(VALU_DEP_1) | instskip(NEXT) | instid1(VALU_DEP_1)
	v_max_num_f32_e32 v1, v1, v91
	v_sub_f32_e32 v28, v30, v1
	v_sub_f32_e32 v78, v78, v1
	;; [unrolled: 1-line block ×4, first 2 shown]
	s_delay_alu instid0(VALU_DEP_4) | instskip(SKIP_2) | instid1(VALU_DEP_3)
	v_mul_f32_e32 v30, 0x3fb8aa3b, v28
	v_cmp_ngt_f32_e64 s3, 0xc2ce8ed0, v28
	v_cmp_nlt_f32_e64 s4, 0x42b17218, v28
	v_fma_f32 v85, 0x3fb8aa3b, v28, -v30
	s_delay_alu instid0(VALU_DEP_1) | instskip(NEXT) | instid1(VALU_DEP_1)
	v_dual_fmac_f32 v85, 0x32a5705f, v28 :: v_dual_sub_f32 v28, v74, v2
	v_mul_f32_e32 v74, 0x3fb8aa3b, v28
	v_cmp_ngt_f32_e64 s5, 0xc2ce8ed0, v28
	v_cmp_nlt_f32_e64 s6, 0x42b17218, v28
	s_delay_alu instid0(VALU_DEP_3) | instskip(NEXT) | instid1(VALU_DEP_1)
	v_fma_f32 v86, 0x3fb8aa3b, v28, -v74
	v_fmac_f32_e32 v86, 0x32a5705f, v28
	v_sub_f32_e32 v28, v73, v3
	s_delay_alu instid0(VALU_DEP_1) | instskip(SKIP_2) | instid1(VALU_DEP_3)
	v_mul_f32_e32 v73, 0x3fb8aa3b, v28
	v_cmp_ngt_f32_e64 s7, 0xc2ce8ed0, v28
	v_cmp_nlt_f32_e64 s8, 0x42b17218, v28
	v_fma_f32 v89, 0x3fb8aa3b, v28, -v73
	s_delay_alu instid0(VALU_DEP_1) | instskip(SKIP_1) | instid1(VALU_DEP_1)
	v_fmac_f32_e32 v89, 0x32a5705f, v28
	v_rndne_f32_e32 v28, v29
	v_sub_f32_e32 v29, v29, v28
	v_cvt_i32_f32_e32 v28, v28
	s_delay_alu instid0(VALU_DEP_2)
	v_add_f32_e32 v29, v29, v31
	v_rndne_f32_e32 v31, v30
	v_sub_f32_e32 v77, v77, v2
	v_sub_f32_e32 v81, v81, v2
	v_sub_f32_e32 v5, v5, v2
	v_exp_f32_e32 v29, v29
	s_delay_alu instid0(TRANS32_DEP_1) | instskip(SKIP_2) | instid1(VALU_DEP_2)
	v_ldexp_f32 v28, v29, v28
	v_sub_f32_e32 v30, v30, v31
	v_cvt_i32_f32_e32 v31, v31
	v_add_f32_e32 v30, v30, v85
	v_rndne_f32_e32 v85, v74
	s_delay_alu instid0(VALU_DEP_2) | instskip(NEXT) | instid1(VALU_DEP_1)
	v_exp_f32_e32 v30, v30
	v_sub_f32_e32 v74, v74, v85
	v_cvt_i32_f32_e32 v29, v85
	s_delay_alu instid0(VALU_DEP_2) | instskip(SKIP_1) | instid1(TRANS32_DEP_1)
	v_add_f32_e32 v74, v74, v86
	v_rndne_f32_e32 v86, v73
	v_ldexp_f32 v30, v30, v31
	s_delay_alu instid0(VALU_DEP_3) | instskip(NEXT) | instid1(VALU_DEP_2)
	v_exp_f32_e32 v74, v74
	v_sub_f32_e32 v73, v73, v86
	s_wait_alu 0xf1ff
	s_delay_alu instid0(VALU_DEP_2) | instskip(NEXT) | instid1(VALU_DEP_2)
	v_cndmask_b32_e64 v30, 0, v30, s3
	v_add_f32_e32 v73, v73, v89
	s_delay_alu instid0(VALU_DEP_2) | instskip(NEXT) | instid1(TRANS32_DEP_1)
	v_cndmask_b32_e64 v30, 0x7f800000, v30, s4
	v_ldexp_f32 v29, v74, v29
	s_delay_alu instid0(VALU_DEP_3) | instskip(SKIP_1) | instid1(VALU_DEP_2)
	v_exp_f32_e32 v73, v73
	v_cvt_i32_f32_e32 v74, v86
	v_cndmask_b32_e64 v29, 0, v29, s5
	s_delay_alu instid0(TRANS32_DEP_1) | instid1(VALU_DEP_2)
	v_ldexp_f32 v73, v73, v74
	s_delay_alu instid0(VALU_DEP_1) | instskip(SKIP_3) | instid1(VALU_DEP_3)
	v_cndmask_b32_e64 v31, 0, v73, s7
	s_wait_alu 0xfffd
	v_cndmask_b32_e32 v73, 0, v28, vcc_lo
	v_cndmask_b32_e64 v28, 0x7f800000, v29, s6
	v_cndmask_b32_e64 v29, 0x7f800000, v31, s8
	s_delay_alu instid0(VALU_DEP_3) | instskip(NEXT) | instid1(VALU_DEP_3)
	v_cndmask_b32_e64 v31, 0x7f800000, v73, s2
	v_cvt_f16_f32_e32 v73, v28
	s_delay_alu instid0(VALU_DEP_3) | instskip(NEXT) | instid1(VALU_DEP_1)
	v_cvt_f16_f32_e32 v74, v29
	v_pack_b32_f16 v86, v73, v74
	s_delay_alu instid0(VALU_DEP_4) | instskip(SKIP_1) | instid1(VALU_DEP_1)
	v_cvt_f16_f32_e32 v73, v31
	v_cvt_f16_f32_e32 v74, v30
	v_pack_b32_f16 v85, v73, v74
	v_sub_f32_e32 v73, v87, v0
	s_delay_alu instid0(VALU_DEP_1) | instskip(SKIP_2) | instid1(VALU_DEP_3)
	v_mul_f32_e32 v74, 0x3fb8aa3b, v73
	v_cmp_ngt_f32_e32 vcc_lo, 0xc2ce8ed0, v73
	v_cmp_nlt_f32_e64 s2, 0x42b17218, v73
	v_fma_f32 v87, 0x3fb8aa3b, v73, -v74
	s_delay_alu instid0(VALU_DEP_1) | instskip(SKIP_1) | instid1(VALU_DEP_1)
	v_fmac_f32_e32 v87, 0x32a5705f, v73
	v_sub_f32_e32 v73, v75, v1
	v_mul_f32_e32 v75, 0x3fb8aa3b, v73
	v_cmp_ngt_f32_e64 s3, 0xc2ce8ed0, v73
	v_cmp_nlt_f32_e64 s4, 0x42b17218, v73
	s_delay_alu instid0(VALU_DEP_3) | instskip(NEXT) | instid1(VALU_DEP_1)
	v_fma_f32 v89, 0x3fb8aa3b, v73, -v75
	v_fmac_f32_e32 v89, 0x32a5705f, v73
	v_sub_f32_e32 v73, v88, v2
	s_delay_alu instid0(VALU_DEP_1) | instskip(SKIP_2) | instid1(VALU_DEP_3)
	v_mul_f32_e32 v88, 0x3fb8aa3b, v73
	v_cmp_ngt_f32_e64 s5, 0xc2ce8ed0, v73
	v_cmp_nlt_f32_e64 s6, 0x42b17218, v73
	v_fma_f32 v90, 0x3fb8aa3b, v73, -v88
	s_delay_alu instid0(VALU_DEP_1) | instskip(NEXT) | instid1(VALU_DEP_1)
	v_dual_fmac_f32 v90, 0x32a5705f, v73 :: v_dual_sub_f32 v73, v76, v3
	v_mul_f32_e32 v76, 0x3fb8aa3b, v73
	v_cmp_ngt_f32_e64 s7, 0xc2ce8ed0, v73
	v_cmp_nlt_f32_e64 s8, 0x42b17218, v73
	s_delay_alu instid0(VALU_DEP_3) | instskip(NEXT) | instid1(VALU_DEP_1)
	v_fma_f32 v91, 0x3fb8aa3b, v73, -v76
	v_fmac_f32_e32 v91, 0x32a5705f, v73
	v_rndne_f32_e32 v73, v74
	s_delay_alu instid0(VALU_DEP_1) | instskip(SKIP_1) | instid1(VALU_DEP_2)
	v_sub_f32_e32 v74, v74, v73
	v_cvt_i32_f32_e32 v73, v73
	v_add_f32_e32 v74, v74, v87
	v_rndne_f32_e32 v87, v75
	s_delay_alu instid0(VALU_DEP_2) | instskip(NEXT) | instid1(VALU_DEP_1)
	v_exp_f32_e32 v74, v74
	v_sub_f32_e32 v75, v75, v87
	v_cvt_i32_f32_e32 v87, v87
	s_delay_alu instid0(VALU_DEP_2) | instskip(SKIP_1) | instid1(TRANS32_DEP_1)
	v_add_f32_e32 v75, v75, v89
	v_rndne_f32_e32 v89, v88
	v_ldexp_f32 v73, v74, v73
	s_delay_alu instid0(VALU_DEP_3) | instskip(NEXT) | instid1(VALU_DEP_2)
	v_exp_f32_e32 v75, v75
	v_sub_f32_e32 v88, v88, v89
	v_cvt_i32_f32_e32 v74, v89
	s_delay_alu instid0(VALU_DEP_2) | instskip(SKIP_1) | instid1(TRANS32_DEP_1)
	v_add_f32_e32 v88, v88, v90
	v_rndne_f32_e32 v90, v76
	v_ldexp_f32 v75, v75, v87
	s_delay_alu instid0(VALU_DEP_3) | instskip(SKIP_1) | instid1(VALU_DEP_2)
	v_exp_f32_e32 v88, v88
	s_wait_alu 0xfffd
	v_dual_sub_f32 v76, v76, v90 :: v_dual_cndmask_b32 v87, 0, v73
	v_cmp_ngt_f32_e32 vcc_lo, 0xc2ce8ed0, v80
	s_wait_alu 0xf1ff
	v_cndmask_b32_e64 v75, 0, v75, s3
	v_cmp_ngt_f32_e64 s3, 0xc2ce8ed0, v78
	v_add_f32_e32 v76, v76, v91
	s_delay_alu instid0(VALU_DEP_3) | instskip(NEXT) | instid1(TRANS32_DEP_1)
	v_cndmask_b32_e64 v75, 0x7f800000, v75, s4
	v_ldexp_f32 v74, v88, v74
	s_delay_alu instid0(VALU_DEP_3)
	v_exp_f32_e32 v76, v76
	v_cvt_i32_f32_e32 v88, v90
	v_cmp_nlt_f32_e64 s4, 0x42b17218, v78
	v_cvt_f16_f32_e32 v89, v75
	v_cndmask_b32_e64 v74, 0, v74, s5
	v_cmp_ngt_f32_e64 s5, 0xc2ce8ed0, v77
	s_delay_alu instid0(VALU_DEP_2) | instskip(NEXT) | instid1(TRANS32_DEP_1)
	v_cndmask_b32_e64 v74, 0x7f800000, v74, s6
	v_ldexp_f32 v76, v76, v88
	v_cmp_nlt_f32_e64 s6, 0x42b17218, v77
	s_delay_alu instid0(VALU_DEP_2) | instskip(NEXT) | instid1(VALU_DEP_1)
	v_cndmask_b32_e64 v76, 0, v76, s7
	v_cndmask_b32_e64 v73, 0x7f800000, v76, s8
	;; [unrolled: 1-line block ×3, first 2 shown]
	v_cvt_f16_f32_e32 v87, v74
	v_cmp_nlt_f32_e64 s2, 0x42b17218, v80
	s_delay_alu instid0(VALU_DEP_4) | instskip(NEXT) | instid1(VALU_DEP_1)
	v_cvt_f16_f32_e32 v88, v73
	v_pack_b32_f16 v88, v87, v88
	v_cvt_f16_f32_e32 v87, v76
	s_delay_alu instid0(VALU_DEP_1) | instskip(SKIP_2) | instid1(VALU_DEP_1)
	v_pack_b32_f16 v87, v87, v89
	ds_store_2addr_b64 v56, v[85:86], v[87:88] offset1:32
	v_mul_f32_e32 v85, 0x3fb8aa3b, v80
	v_fma_f32 v86, 0x3fb8aa3b, v80, -v85
	s_delay_alu instid0(VALU_DEP_1) | instskip(SKIP_1) | instid1(VALU_DEP_1)
	v_fmac_f32_e32 v86, 0x32a5705f, v80
	v_mul_f32_e32 v80, 0x3fb8aa3b, v78
	v_fma_f32 v87, 0x3fb8aa3b, v78, -v80
	s_delay_alu instid0(VALU_DEP_1) | instskip(SKIP_1) | instid1(VALU_DEP_1)
	v_fmac_f32_e32 v87, 0x32a5705f, v78
	v_mul_f32_e32 v78, 0x3fb8aa3b, v77
	v_fma_f32 v88, 0x3fb8aa3b, v77, -v78
	s_delay_alu instid0(VALU_DEP_1) | instskip(NEXT) | instid1(VALU_DEP_1)
	v_dual_fmac_f32 v88, 0x32a5705f, v77 :: v_dual_sub_f32 v77, v79, v3
	v_mul_f32_e32 v79, 0x3fb8aa3b, v77
	v_cmp_ngt_f32_e64 s7, 0xc2ce8ed0, v77
	v_cmp_nlt_f32_e64 s8, 0x42b17218, v77
	s_delay_alu instid0(VALU_DEP_3) | instskip(NEXT) | instid1(VALU_DEP_1)
	v_fma_f32 v89, 0x3fb8aa3b, v77, -v79
	v_fmac_f32_e32 v89, 0x32a5705f, v77
	v_rndne_f32_e32 v77, v85
	s_delay_alu instid0(VALU_DEP_1) | instskip(SKIP_1) | instid1(VALU_DEP_2)
	v_sub_f32_e32 v85, v85, v77
	v_cvt_i32_f32_e32 v77, v77
	v_add_f32_e32 v85, v85, v86
	v_rndne_f32_e32 v86, v80
	s_delay_alu instid0(VALU_DEP_2) | instskip(NEXT) | instid1(VALU_DEP_1)
	v_exp_f32_e32 v85, v85
	v_sub_f32_e32 v80, v80, v86
	s_delay_alu instid0(VALU_DEP_1) | instskip(SKIP_1) | instid1(TRANS32_DEP_1)
	v_add_f32_e32 v80, v80, v87
	v_rndne_f32_e32 v87, v78
	v_ldexp_f32 v77, v85, v77
	s_delay_alu instid0(VALU_DEP_3) | instskip(NEXT) | instid1(VALU_DEP_2)
	v_exp_f32_e32 v80, v80
	v_sub_f32_e32 v78, v78, v87
	v_cvt_i32_f32_e32 v85, v87
	s_delay_alu instid0(VALU_DEP_2) | instskip(SKIP_1) | instid1(VALU_DEP_2)
	v_add_f32_e32 v78, v78, v88
	v_rndne_f32_e32 v88, v79
	v_exp_f32_e32 v78, v78
	s_delay_alu instid0(VALU_DEP_1) | instskip(NEXT) | instid1(VALU_DEP_1)
	v_sub_f32_e32 v79, v79, v88
	v_add_f32_e32 v79, v79, v89
	s_delay_alu instid0(TRANS32_DEP_1) | instskip(NEXT) | instid1(VALU_DEP_2)
	v_ldexp_f32 v78, v78, v85
	v_exp_f32_e32 v79, v79
	v_cvt_i32_f32_e32 v85, v88
	s_wait_alu 0xf1ff
	s_delay_alu instid0(VALU_DEP_2) | instskip(SKIP_1) | instid1(VALU_DEP_2)
	v_cndmask_b32_e64 v78, 0, v78, s5
	v_cmp_ngt_f32_e64 s5, 0xc2ce8ed0, v81
	v_cndmask_b32_e64 v78, 0x7f800000, v78, s6
	s_delay_alu instid0(TRANS32_DEP_1) | instskip(SKIP_2) | instid1(VALU_DEP_3)
	v_ldexp_f32 v79, v79, v85
	v_cvt_i32_f32_e32 v85, v86
	v_cmp_nlt_f32_e64 s6, 0x42b17218, v81
	v_cndmask_b32_e64 v79, 0, v79, s7
	s_delay_alu instid0(VALU_DEP_3)
	v_ldexp_f32 v80, v80, v85
	s_wait_alu 0xfffd
	v_cndmask_b32_e32 v85, 0, v77, vcc_lo
	v_cmp_ngt_f32_e32 vcc_lo, 0xc2ce8ed0, v83
	v_cndmask_b32_e64 v77, 0x7f800000, v79, s8
	v_cndmask_b32_e64 v86, 0, v80, s3
	s_delay_alu instid0(VALU_DEP_4)
	v_cndmask_b32_e64 v80, 0x7f800000, v85, s2
	v_cvt_f16_f32_e32 v85, v78
	v_cmp_nlt_f32_e64 s2, 0x42b17218, v83
	v_cmp_ngt_f32_e64 s3, 0xc2ce8ed0, v82
	v_cndmask_b32_e64 v79, 0x7f800000, v86, s4
	v_cvt_f16_f32_e32 v86, v77
	v_cmp_nlt_f32_e64 s4, 0x42b17218, v82
	s_delay_alu instid0(VALU_DEP_3) | instskip(NEXT) | instid1(VALU_DEP_3)
	v_cvt_f16_f32_e32 v87, v79
	v_pack_b32_f16 v86, v85, v86
	v_cvt_f16_f32_e32 v85, v80
	s_delay_alu instid0(VALU_DEP_1) | instskip(SKIP_1) | instid1(VALU_DEP_1)
	v_pack_b32_f16 v85, v85, v87
	v_mul_f32_e32 v87, 0x3fb8aa3b, v83
	v_fma_f32 v88, 0x3fb8aa3b, v83, -v87
	s_delay_alu instid0(VALU_DEP_1) | instskip(SKIP_1) | instid1(VALU_DEP_1)
	v_fmac_f32_e32 v88, 0x32a5705f, v83
	v_mul_f32_e32 v83, 0x3fb8aa3b, v82
	v_fma_f32 v89, 0x3fb8aa3b, v82, -v83
	s_delay_alu instid0(VALU_DEP_1) | instskip(SKIP_1) | instid1(VALU_DEP_1)
	v_fmac_f32_e32 v89, 0x32a5705f, v82
	v_mul_f32_e32 v82, 0x3fb8aa3b, v81
	v_fma_f32 v90, 0x3fb8aa3b, v81, -v82
	s_delay_alu instid0(VALU_DEP_1) | instskip(NEXT) | instid1(VALU_DEP_1)
	v_dual_fmac_f32 v90, 0x32a5705f, v81 :: v_dual_sub_f32 v81, v84, v3
	v_mul_f32_e32 v84, 0x3fb8aa3b, v81
	v_cmp_ngt_f32_e64 s7, 0xc2ce8ed0, v81
	v_cmp_nlt_f32_e64 s8, 0x42b17218, v81
	s_delay_alu instid0(VALU_DEP_3) | instskip(NEXT) | instid1(VALU_DEP_1)
	v_fma_f32 v91, 0x3fb8aa3b, v81, -v84
	v_fmac_f32_e32 v91, 0x32a5705f, v81
	v_rndne_f32_e32 v81, v87
	s_delay_alu instid0(VALU_DEP_1) | instskip(SKIP_1) | instid1(VALU_DEP_2)
	v_sub_f32_e32 v87, v87, v81
	v_cvt_i32_f32_e32 v81, v81
	v_add_f32_e32 v87, v87, v88
	v_rndne_f32_e32 v88, v83
	s_delay_alu instid0(VALU_DEP_2) | instskip(NEXT) | instid1(VALU_DEP_1)
	v_exp_f32_e32 v87, v87
	v_sub_f32_e32 v83, v83, v88
	s_delay_alu instid0(VALU_DEP_1) | instskip(SKIP_1) | instid1(TRANS32_DEP_1)
	v_add_f32_e32 v83, v83, v89
	v_rndne_f32_e32 v89, v82
	v_ldexp_f32 v81, v87, v81
	s_delay_alu instid0(VALU_DEP_3) | instskip(NEXT) | instid1(VALU_DEP_2)
	v_exp_f32_e32 v83, v83
	v_sub_f32_e32 v82, v82, v89
	v_cvt_i32_f32_e32 v87, v89
	s_delay_alu instid0(VALU_DEP_2) | instskip(SKIP_1) | instid1(VALU_DEP_2)
	v_add_f32_e32 v82, v82, v90
	v_rndne_f32_e32 v90, v84
	v_exp_f32_e32 v82, v82
	s_delay_alu instid0(VALU_DEP_1) | instskip(NEXT) | instid1(VALU_DEP_1)
	v_sub_f32_e32 v84, v84, v90
	v_add_f32_e32 v84, v84, v91
	s_delay_alu instid0(TRANS32_DEP_1) | instskip(NEXT) | instid1(VALU_DEP_2)
	v_ldexp_f32 v82, v82, v87
	v_exp_f32_e32 v84, v84
	v_cvt_i32_f32_e32 v87, v90
	s_wait_alu 0xf1ff
	s_delay_alu instid0(VALU_DEP_2) | instskip(SKIP_1) | instid1(VALU_DEP_2)
	v_cndmask_b32_e64 v82, 0, v82, s5
	v_cmp_ngt_f32_e64 s5, 0xc2ce8ed0, v6
	v_cndmask_b32_e64 v82, 0x7f800000, v82, s6
	s_delay_alu instid0(TRANS32_DEP_1) | instskip(SKIP_2) | instid1(VALU_DEP_3)
	v_ldexp_f32 v84, v84, v87
	v_cvt_i32_f32_e32 v87, v88
	v_cmp_nlt_f32_e64 s6, 0x42b17218, v6
	v_cndmask_b32_e64 v84, 0, v84, s7
	s_delay_alu instid0(VALU_DEP_3)
	v_ldexp_f32 v83, v83, v87
	s_wait_alu 0xfffd
	v_cndmask_b32_e32 v87, 0, v81, vcc_lo
	v_cmp_ngt_f32_e64 s7, 0xc2ce8ed0, v4
	v_cndmask_b32_e64 v81, 0x7f800000, v84, s8
	v_cndmask_b32_e64 v83, 0, v83, s3
	s_delay_alu instid0(VALU_DEP_4)
	v_cndmask_b32_e64 v84, 0x7f800000, v87, s2
	v_cvt_f16_f32_e32 v87, v82
	s_mul_u64 s[2:3], s[14:15], s[20:21]
	v_cvt_f16_f32_e32 v88, v81
	v_cndmask_b32_e64 v83, 0x7f800000, v83, s4
	s_wait_alu 0xfffe
	s_lshl_b64 s[2:3], s[2:3], 2
	v_cmp_nlt_f32_e64 s4, 0x42b17218, v7
	s_wait_alu 0xfffe
	s_add_nc_u64 s[2:3], s[38:39], s[2:3]
	v_pack_b32_f16 v88, v87, v88
	v_cvt_f16_f32_e32 v87, v84
	v_cvt_f16_f32_e32 v89, v83
	v_cmp_nlt_f32_e64 s8, 0x42b17218, v4
	s_delay_alu instid0(VALU_DEP_2)
	v_pack_b32_f16 v87, v87, v89
	ds_store_2addr_b64 v56, v[85:86], v[87:88] offset0:64 offset1:96
	s_wait_alu 0xfffe
	v_add_co_u32 v85, vcc_lo, s2, v20
	s_wait_alu 0xfffd
	v_add_co_ci_u32_e64 v86, null, s3, v21, vcc_lo
	s_delay_alu instid0(VALU_DEP_2) | instskip(SKIP_1) | instid1(VALU_DEP_2)
	v_add_co_u32 v85, vcc_lo, v85, v57
	s_wait_alu 0xfffd
	v_add_co_ci_u32_e64 v86, null, 0, v86, vcc_lo
	global_load_b128 v[85:88], v[85:86], off
	s_wait_loadcnt 0x0
	ds_store_b128 v50, v[85:88]
	v_add_co_u32 v85, vcc_lo, s2, v22
	s_wait_alu 0xfffd
	v_add_co_ci_u32_e64 v86, null, s3, v23, vcc_lo
	s_delay_alu instid0(VALU_DEP_2) | instskip(SKIP_1) | instid1(VALU_DEP_2)
	v_add_co_u32 v85, vcc_lo, v85, v57
	s_wait_alu 0xfffd
	v_add_co_ci_u32_e64 v86, null, 0, v86, vcc_lo
	global_load_b128 v[85:88], v[85:86], off
	s_wait_loadcnt 0x0
	ds_store_b128 v52, v[85:88]
	v_add_co_u32 v85, vcc_lo, s2, v24
	s_wait_alu 0xfffd
	v_add_co_ci_u32_e64 v86, null, s3, v25, vcc_lo
	s_delay_alu instid0(VALU_DEP_2) | instskip(SKIP_1) | instid1(VALU_DEP_2)
	v_add_co_u32 v85, vcc_lo, v85, v57
	s_wait_alu 0xfffd
	v_add_co_ci_u32_e64 v86, null, 0, v86, vcc_lo
	global_load_b128 v[85:88], v[85:86], off
	s_wait_loadcnt 0x0
	ds_store_b128 v53, v[85:88]
	v_add_co_u32 v85, vcc_lo, s2, v26
	s_wait_alu 0xfffd
	v_add_co_ci_u32_e64 v86, null, s3, v27, vcc_lo
	v_cmp_ngt_f32_e64 s3, 0xc2ce8ed0, v7
	s_delay_alu instid0(VALU_DEP_3) | instskip(SKIP_1) | instid1(VALU_DEP_3)
	v_add_co_u32 v85, vcc_lo, v85, v57
	s_wait_alu 0xfffd
	v_add_co_ci_u32_e64 v86, null, 0, v86, vcc_lo
	v_cmp_ngt_f32_e32 vcc_lo, 0xc2ce8ed0, v5
	v_cmp_nlt_f32_e64 s2, 0x42b17218, v5
	global_load_b128 v[85:88], v[85:86], off
	s_wait_loadcnt 0x0
	ds_store_b128 v54, v[85:88]
	s_wait_dscnt 0x0
	s_barrier_signal -1
	s_barrier_wait -1
	global_inv scope:SCOPE_SE
	ds_load_b128 v[85:88], v51
	s_wait_dscnt 0x0
	v_lshrrev_b32_e32 v89, 16, v85
	v_and_b32_e32 v91, 0xffff, v85
	v_mul_f32_e32 v85, 0x3fb8aa3b, v7
	v_lshrrev_b32_e32 v90, 16, v86
	v_and_b32_e32 v92, 0xffff, v86
	v_lshrrev_b32_e32 v93, 16, v87
	v_and_b32_e32 v95, 0xffff, v87
	v_fma_f32 v86, 0x3fb8aa3b, v7, -v85
	v_and_b32_e32 v96, 0xffff, v88
	v_lshrrev_b32_e32 v94, 16, v88
	v_mul_u32_u24_e32 v91, 0x10001, v91
	v_mul_u32_u24_e32 v89, 0x10001, v89
	v_fmac_f32_e32 v86, 0x32a5705f, v7
	v_mul_f32_e32 v7, 0x3fb8aa3b, v6
	v_mul_u32_u24_e32 v90, 0x10001, v90
	s_delay_alu instid0(VALU_DEP_2) | instskip(NEXT) | instid1(VALU_DEP_1)
	v_fma_f32 v87, 0x3fb8aa3b, v6, -v7
	v_fmac_f32_e32 v87, 0x32a5705f, v6
	v_mul_f32_e32 v6, 0x3fb8aa3b, v5
	s_delay_alu instid0(VALU_DEP_1) | instskip(NEXT) | instid1(VALU_DEP_1)
	v_fma_f32 v88, 0x3fb8aa3b, v5, -v6
	v_fmac_f32_e32 v88, 0x32a5705f, v5
	v_mul_f32_e32 v5, 0x3fb8aa3b, v4
	s_delay_alu instid0(VALU_DEP_1) | instskip(NEXT) | instid1(VALU_DEP_1)
	v_fma_f32 v97, 0x3fb8aa3b, v4, -v5
	v_fmac_f32_e32 v97, 0x32a5705f, v4
	v_rndne_f32_e32 v4, v85
	s_delay_alu instid0(VALU_DEP_1) | instskip(SKIP_2) | instid1(VALU_DEP_3)
	v_sub_f32_e32 v85, v85, v4
	v_cvt_i32_f32_e32 v4, v4
	v_mul_u32_u24_e32 v92, 0x10001, v92
	v_add_f32_e32 v85, v85, v86
	v_rndne_f32_e32 v86, v7
	s_delay_alu instid0(VALU_DEP_2) | instskip(NEXT) | instid1(VALU_DEP_1)
	v_exp_f32_e32 v85, v85
	v_sub_f32_e32 v7, v7, v86
	s_delay_alu instid0(VALU_DEP_1) | instskip(SKIP_1) | instid1(TRANS32_DEP_1)
	v_add_f32_e32 v7, v7, v87
	v_rndne_f32_e32 v87, v6
	v_ldexp_f32 v4, v85, v4
	s_delay_alu instid0(VALU_DEP_3) | instskip(NEXT) | instid1(VALU_DEP_2)
	v_exp_f32_e32 v7, v7
	v_sub_f32_e32 v6, v6, v87
	v_cvt_i32_f32_e32 v85, v86
	s_wait_alu 0xf1ff
	v_cndmask_b32_e64 v4, 0, v4, s3
	s_delay_alu instid0(VALU_DEP_3) | instskip(SKIP_1) | instid1(VALU_DEP_2)
	v_add_f32_e32 v6, v6, v88
	v_rndne_f32_e32 v88, v5
	v_exp_f32_e32 v6, v6
	s_delay_alu instid0(VALU_DEP_1) | instskip(NEXT) | instid1(VALU_DEP_1)
	v_sub_f32_e32 v5, v5, v88
	v_add_f32_e32 v5, v5, v97
	v_ldexp_f32 v97, v7, v85
	v_cndmask_b32_e64 v85, 0x7f800000, v4, s4
	v_cvt_i32_f32_e32 v7, v87
	s_delay_alu instid0(VALU_DEP_4) | instskip(NEXT) | instid1(VALU_DEP_2)
	v_exp_f32_e32 v5, v5
	v_cvt_f16_f32_e32 v4, v85
	s_delay_alu instid0(TRANS32_DEP_2) | instid1(VALU_DEP_2)
	v_ldexp_f32 v98, v6, v7
	v_cvt_i32_f32_e32 v6, v88
	s_delay_alu instid0(VALU_DEP_3)
	v_and_b32_e32 v4, 0xffff, v4
	s_delay_alu instid0(TRANS32_DEP_1) | instid1(VALU_DEP_2)
	v_ldexp_f32 v86, v5, v6
	s_delay_alu instid0(VALU_DEP_2) | instskip(SKIP_3) | instid1(VALU_DEP_2)
	v_mul_u32_u24_e32 v87, 0x10001, v4
	ds_load_2addr_b64 v[4:7], v11 offset1:32
	v_cndmask_b32_e64 v86, 0, v86, s7
	v_pk_mul_f16 v72, v72, v87
	v_cndmask_b32_e64 v86, 0x7f800000, v86, s8
	s_wait_dscnt 0x0
	v_pk_mul_f16 v88, v4, v91
	s_delay_alu instid0(VALU_DEP_3) | instskip(NEXT) | instid1(VALU_DEP_2)
	v_pk_fma_f16 v72, v5, v91, v72
	v_pk_fma_f16 v71, v71, v87, v88
	v_cvt_f16_f32_e32 v87, v86
	s_delay_alu instid0(VALU_DEP_1) | instskip(NEXT) | instid1(VALU_DEP_1)
	v_and_b32_e32 v87, 0xffff, v87
	v_mul_u32_u24_e32 v87, 0x10001, v87
	s_delay_alu instid0(VALU_DEP_1) | instskip(SKIP_3) | instid1(VALU_DEP_3)
	v_pk_mul_f16 v66, v66, v87
	v_pk_mul_f16 v65, v65, v87
	v_cndmask_b32_e64 v87, 0, v97, s5
	v_pk_mul_f16 v97, v4, v89
	v_pk_fma_f16 v65, v5, v90, v65
	s_delay_alu instid0(VALU_DEP_3) | instskip(NEXT) | instid1(VALU_DEP_1)
	v_cndmask_b32_e64 v87, 0x7f800000, v87, s6
	v_cvt_f16_f32_e32 v88, v87
	s_delay_alu instid0(VALU_DEP_1) | instskip(NEXT) | instid1(VALU_DEP_1)
	v_and_b32_e32 v88, 0xffff, v88
	v_mul_u32_u24_e32 v88, 0x10001, v88
	s_delay_alu instid0(VALU_DEP_1)
	v_pk_fma_f16 v70, v70, v88, v97
	v_pk_mul_f16 v69, v69, v88
	s_wait_alu 0xfffd
	v_cndmask_b32_e32 v88, 0, v98, vcc_lo
	v_pk_mul_f16 v98, v4, v92
	v_pk_fma_f16 v4, v4, v90, v66
	v_pk_fma_f16 v66, v5, v89, v69
	s_delay_alu instid0(VALU_DEP_4) | instskip(SKIP_3) | instid1(VALU_DEP_1)
	v_cndmask_b32_e64 v88, 0x7f800000, v88, s2
	s_or_b32 s2, s14, 64
	s_wait_alu 0xfffe
	s_ashr_i32 s3, s2, 31
	v_cvt_f16_f32_e32 v97, v88
	s_wait_alu 0xfffe
	s_mul_u64 s[2:3], s[2:3], s[20:21]
	s_wait_alu 0xfffe
	s_lshl_b64 s[2:3], s[2:3], 2
	v_and_b32_e32 v97, 0xffff, v97
	s_wait_alu 0xfffe
	s_add_nc_u64 s[2:3], s[38:39], s[2:3]
	s_delay_alu instid0(VALU_DEP_1) | instskip(NEXT) | instid1(VALU_DEP_1)
	v_mul_u32_u24_e32 v97, 0x10001, v97
	v_pk_mul_f16 v67, v67, v97
	v_pk_fma_f16 v68, v68, v97, v98
	s_delay_alu instid0(VALU_DEP_2) | instskip(SKIP_1) | instid1(VALU_DEP_1)
	v_pk_fma_f16 v5, v5, v92, v67
	v_mul_u32_u24_e32 v67, 0x10001, v94
	v_pk_fma_f16 v69, v6, v67, v4
	v_mul_u32_u24_e32 v4, 0x10001, v95
	v_pk_fma_f16 v65, v7, v67, v65
	s_delay_alu instid0(VALU_DEP_2) | instskip(SKIP_2) | instid1(VALU_DEP_1)
	v_pk_fma_f16 v67, v7, v4, v72
	v_pk_fma_f16 v71, v6, v4, v71
	v_mul_u32_u24_e32 v4, 0x10001, v93
	v_pk_fma_f16 v66, v7, v4, v66
	v_pk_fma_f16 v70, v6, v4, v70
	v_mul_u32_u24_e32 v4, 0x10001, v96
	s_delay_alu instid0(VALU_DEP_1)
	v_pk_fma_f16 v72, v7, v4, v5
	v_pk_fma_f16 v68, v6, v4, v68
	ds_load_b128 v[4:7], v51 offset:16
	s_wait_dscnt 0x0
	v_lshrrev_b32_e32 v89, 16, v4
	v_lshrrev_b32_e32 v90, 16, v5
	v_and_b32_e32 v91, 0xffff, v4
	v_and_b32_e32 v92, 0xffff, v5
	v_lshrrev_b32_e32 v93, 16, v6
	v_lshrrev_b32_e32 v94, 16, v7
	v_and_b32_e32 v95, 0xffff, v6
	v_and_b32_e32 v96, 0xffff, v7
	ds_load_2addr_b64 v[4:7], v11 offset0:64 offset1:96
	v_mul_u32_u24_e32 v90, 0x10001, v90
	v_mul_u32_u24_e32 v89, 0x10001, v89
	s_wait_dscnt 0x0
	s_delay_alu instid0(VALU_DEP_2)
	v_pk_fma_f16 v69, v4, v90, v69
	v_pk_fma_f16 v65, v5, v90, v65
	v_mul_u32_u24_e32 v90, 0x10001, v91
	v_pk_fma_f16 v66, v5, v89, v66
	v_pk_fma_f16 v70, v4, v89, v70
	v_mul_u32_u24_e32 v89, 0x10001, v92
	s_delay_alu instid0(VALU_DEP_4) | instskip(SKIP_1) | instid1(VALU_DEP_3)
	v_pk_fma_f16 v71, v4, v90, v71
	v_pk_fma_f16 v67, v5, v90, v67
	v_pk_fma_f16 v4, v4, v89, v68
	v_mul_u32_u24_e32 v68, 0x10001, v94
	v_pk_fma_f16 v5, v5, v89, v72
	s_delay_alu instid0(VALU_DEP_2) | instskip(SKIP_2) | instid1(VALU_DEP_1)
	v_pk_fma_f16 v69, v6, v68, v69
	v_pk_fma_f16 v65, v7, v68, v65
	v_mul_u32_u24_e32 v68, 0x10001, v95
	v_pk_fma_f16 v67, v7, v68, v67
	v_pk_fma_f16 v68, v6, v68, v71
	v_mul_u32_u24_e32 v71, 0x10001, v93
	s_delay_alu instid0(VALU_DEP_1) | instskip(SKIP_2) | instid1(VALU_DEP_1)
	v_pk_fma_f16 v66, v7, v71, v66
	v_pk_fma_f16 v70, v6, v71, v70
	v_mul_u32_u24_e32 v71, 0x10001, v96
	v_pk_fma_f16 v72, v7, v71, v5
	v_pk_fma_f16 v71, v6, v71, v4
	ds_load_b128 v[4:7], v51 offset:32
	s_wait_dscnt 0x0
	v_lshrrev_b32_e32 v89, 16, v4
	v_lshrrev_b32_e32 v90, 16, v5
	v_and_b32_e32 v91, 0xffff, v4
	v_and_b32_e32 v92, 0xffff, v5
	v_lshrrev_b32_e32 v93, 16, v6
	v_lshrrev_b32_e32 v94, 16, v7
	v_and_b32_e32 v95, 0xffff, v6
	v_and_b32_e32 v96, 0xffff, v7
	ds_load_2addr_b64 v[4:7], v11 offset0:128 offset1:160
	v_mul_u32_u24_e32 v90, 0x10001, v90
	v_mul_u32_u24_e32 v89, 0x10001, v89
	s_wait_dscnt 0x0
	s_delay_alu instid0(VALU_DEP_2)
	v_pk_fma_f16 v69, v4, v90, v69
	v_pk_fma_f16 v65, v5, v90, v65
	v_mul_u32_u24_e32 v90, 0x10001, v91
	v_pk_fma_f16 v66, v5, v89, v66
	v_pk_fma_f16 v70, v4, v89, v70
	v_mul_u32_u24_e32 v89, 0x10001, v92
	s_delay_alu instid0(VALU_DEP_4) | instskip(SKIP_1) | instid1(VALU_DEP_3)
	v_pk_fma_f16 v68, v4, v90, v68
	v_pk_fma_f16 v67, v5, v90, v67
	v_pk_fma_f16 v4, v4, v89, v71
	v_mul_u32_u24_e32 v71, 0x10001, v94
	v_pk_fma_f16 v5, v5, v89, v72
	s_delay_alu instid0(VALU_DEP_2) | instskip(SKIP_2) | instid1(VALU_DEP_1)
	v_pk_fma_f16 v69, v6, v71, v69
	v_pk_fma_f16 v65, v7, v71, v65
	v_mul_u32_u24_e32 v71, 0x10001, v95
	v_pk_fma_f16 v67, v7, v71, v67
	v_pk_fma_f16 v68, v6, v71, v68
	v_mul_u32_u24_e32 v71, 0x10001, v93
	s_delay_alu instid0(VALU_DEP_1) | instskip(SKIP_2) | instid1(VALU_DEP_1)
	v_pk_fma_f16 v66, v7, v71, v66
	v_pk_fma_f16 v70, v6, v71, v70
	v_mul_u32_u24_e32 v71, 0x10001, v96
	;; [unrolled: 40-line block ×3, first 2 shown]
	v_pk_fma_f16 v72, v7, v71, v5
	v_pk_fma_f16 v71, v6, v71, v4
	ds_load_b128 v[4:7], v51 offset:64
	s_wait_dscnt 0x0
	v_lshrrev_b32_e32 v89, 16, v4
	v_lshrrev_b32_e32 v90, 16, v5
	v_and_b32_e32 v91, 0xffff, v4
	v_and_b32_e32 v92, 0xffff, v5
	v_lshrrev_b32_e32 v93, 16, v6
	v_lshrrev_b32_e32 v94, 16, v7
	v_and_b32_e32 v95, 0xffff, v6
	v_and_b32_e32 v96, 0xffff, v7
	ds_load_2addr_b64 v[4:7], v58 offset1:32
	v_mul_u32_u24_e32 v90, 0x10001, v90
	v_mul_u32_u24_e32 v89, 0x10001, v89
	s_wait_dscnt 0x0
	s_delay_alu instid0(VALU_DEP_2)
	v_pk_fma_f16 v69, v4, v90, v69
	v_pk_fma_f16 v65, v5, v90, v65
	v_mul_u32_u24_e32 v90, 0x10001, v91
	v_pk_fma_f16 v66, v5, v89, v66
	v_pk_fma_f16 v70, v4, v89, v70
	v_mul_u32_u24_e32 v89, 0x10001, v92
	s_delay_alu instid0(VALU_DEP_4) | instskip(SKIP_1) | instid1(VALU_DEP_3)
	v_pk_fma_f16 v68, v4, v90, v68
	v_pk_fma_f16 v67, v5, v90, v67
	v_pk_fma_f16 v4, v4, v89, v71
	v_mul_u32_u24_e32 v71, 0x10001, v94
	v_pk_fma_f16 v5, v5, v89, v72
	s_delay_alu instid0(VALU_DEP_2) | instskip(SKIP_2) | instid1(VALU_DEP_1)
	v_pk_fma_f16 v69, v6, v71, v69
	v_pk_fma_f16 v65, v7, v71, v65
	v_mul_u32_u24_e32 v71, 0x10001, v95
	v_pk_fma_f16 v67, v7, v71, v67
	v_pk_fma_f16 v68, v6, v71, v68
	v_mul_u32_u24_e32 v71, 0x10001, v93
	s_delay_alu instid0(VALU_DEP_1) | instskip(SKIP_2) | instid1(VALU_DEP_1)
	v_pk_fma_f16 v66, v7, v71, v66
	v_pk_fma_f16 v70, v6, v71, v70
	v_mul_u32_u24_e32 v71, 0x10001, v96
	v_pk_fma_f16 v72, v7, v71, v5
	v_pk_fma_f16 v71, v6, v71, v4
	ds_load_b128 v[4:7], v51 offset:80
	s_wait_dscnt 0x0
	v_lshrrev_b32_e32 v89, 16, v4
	v_lshrrev_b32_e32 v90, 16, v5
	v_and_b32_e32 v91, 0xffff, v4
	v_and_b32_e32 v92, 0xffff, v5
	v_lshrrev_b32_e32 v93, 16, v6
	v_lshrrev_b32_e32 v94, 16, v7
	v_and_b32_e32 v95, 0xffff, v6
	v_and_b32_e32 v96, 0xffff, v7
	ds_load_2addr_b64 v[4:7], v58 offset0:64 offset1:96
	v_mul_u32_u24_e32 v90, 0x10001, v90
	v_mul_u32_u24_e32 v89, 0x10001, v89
	s_wait_dscnt 0x0
	s_delay_alu instid0(VALU_DEP_2)
	v_pk_fma_f16 v69, v4, v90, v69
	v_pk_fma_f16 v65, v5, v90, v65
	v_mul_u32_u24_e32 v90, 0x10001, v91
	v_pk_fma_f16 v66, v5, v89, v66
	v_pk_fma_f16 v70, v4, v89, v70
	v_mul_u32_u24_e32 v89, 0x10001, v92
	s_delay_alu instid0(VALU_DEP_4) | instskip(SKIP_1) | instid1(VALU_DEP_3)
	v_pk_fma_f16 v68, v4, v90, v68
	v_pk_fma_f16 v67, v5, v90, v67
	v_pk_fma_f16 v4, v4, v89, v71
	v_mul_u32_u24_e32 v71, 0x10001, v94
	v_pk_fma_f16 v5, v5, v89, v72
	s_delay_alu instid0(VALU_DEP_2) | instskip(SKIP_2) | instid1(VALU_DEP_1)
	v_pk_fma_f16 v69, v6, v71, v69
	v_pk_fma_f16 v65, v7, v71, v65
	v_mul_u32_u24_e32 v71, 0x10001, v95
	v_pk_fma_f16 v67, v7, v71, v67
	v_pk_fma_f16 v68, v6, v71, v68
	v_mul_u32_u24_e32 v71, 0x10001, v93
	s_delay_alu instid0(VALU_DEP_1) | instskip(SKIP_2) | instid1(VALU_DEP_1)
	v_pk_fma_f16 v66, v7, v71, v66
	v_pk_fma_f16 v70, v6, v71, v70
	v_mul_u32_u24_e32 v71, 0x10001, v96
	v_pk_fma_f16 v72, v7, v71, v5
	v_pk_fma_f16 v71, v6, v71, v4
	ds_load_b128 v[4:7], v51 offset:96
	s_wait_dscnt 0x0
	v_lshrrev_b32_e32 v89, 16, v4
	v_lshrrev_b32_e32 v90, 16, v5
	v_and_b32_e32 v91, 0xffff, v4
	v_and_b32_e32 v92, 0xffff, v5
	v_lshrrev_b32_e32 v93, 16, v6
	v_lshrrev_b32_e32 v94, 16, v7
	v_and_b32_e32 v95, 0xffff, v6
	v_and_b32_e32 v96, 0xffff, v7
	ds_load_2addr_b64 v[4:7], v58 offset0:128 offset1:160
	;; [unrolled: 40-line block ×3, first 2 shown]
	v_mul_u32_u24_e32 v90, 0x10001, v90
	v_mul_u32_u24_e32 v89, 0x10001, v89
	s_wait_dscnt 0x0
	s_delay_alu instid0(VALU_DEP_2)
	v_pk_fma_f16 v69, v4, v90, v69
	v_pk_fma_f16 v65, v5, v90, v65
	v_mul_u32_u24_e32 v90, 0x10001, v91
	v_pk_fma_f16 v66, v5, v89, v66
	v_pk_fma_f16 v70, v4, v89, v70
	v_mul_u32_u24_e32 v89, 0x10001, v92
	s_delay_alu instid0(VALU_DEP_4) | instskip(SKIP_1) | instid1(VALU_DEP_3)
	v_pk_fma_f16 v68, v4, v90, v68
	v_pk_fma_f16 v67, v5, v90, v67
	;; [unrolled: 1-line block ×3, first 2 shown]
	v_mul_u32_u24_e32 v71, 0x10001, v94
	v_pk_fma_f16 v5, v5, v89, v72
	s_delay_alu instid0(VALU_DEP_2) | instskip(SKIP_2) | instid1(VALU_DEP_1)
	v_pk_fma_f16 v69, v6, v71, v69
	v_pk_fma_f16 v65, v7, v71, v65
	v_mul_u32_u24_e32 v71, 0x10001, v95
	v_pk_fma_f16 v67, v7, v71, v67
	v_pk_fma_f16 v68, v6, v71, v68
	v_mul_u32_u24_e32 v71, 0x10001, v93
	s_delay_alu instid0(VALU_DEP_1) | instskip(SKIP_2) | instid1(VALU_DEP_1)
	v_pk_fma_f16 v66, v7, v71, v66
	v_pk_fma_f16 v70, v6, v71, v70
	v_mul_u32_u24_e32 v71, 0x10001, v96
	v_pk_fma_f16 v72, v7, v71, v5
	v_pk_fma_f16 v71, v6, v71, v4
	ds_load_b128 v[4:7], v51 offset:128
	s_wait_dscnt 0x0
	v_lshrrev_b32_e32 v89, 16, v4
	v_lshrrev_b32_e32 v90, 16, v5
	v_and_b32_e32 v91, 0xffff, v4
	v_and_b32_e32 v92, 0xffff, v5
	v_lshrrev_b32_e32 v93, 16, v6
	v_lshrrev_b32_e32 v94, 16, v7
	v_and_b32_e32 v95, 0xffff, v6
	v_and_b32_e32 v96, 0xffff, v7
	ds_load_2addr_b64 v[4:7], v59 offset1:32
	v_mul_u32_u24_e32 v90, 0x10001, v90
	v_mul_u32_u24_e32 v89, 0x10001, v89
	s_wait_dscnt 0x0
	s_delay_alu instid0(VALU_DEP_2)
	v_pk_fma_f16 v69, v4, v90, v69
	v_pk_fma_f16 v65, v5, v90, v65
	v_mul_u32_u24_e32 v90, 0x10001, v91
	v_pk_fma_f16 v66, v5, v89, v66
	v_pk_fma_f16 v70, v4, v89, v70
	v_mul_u32_u24_e32 v89, 0x10001, v92
	s_delay_alu instid0(VALU_DEP_4) | instskip(SKIP_1) | instid1(VALU_DEP_3)
	v_pk_fma_f16 v68, v4, v90, v68
	v_pk_fma_f16 v67, v5, v90, v67
	v_pk_fma_f16 v4, v4, v89, v71
	v_mul_u32_u24_e32 v71, 0x10001, v94
	v_pk_fma_f16 v5, v5, v89, v72
	s_delay_alu instid0(VALU_DEP_2) | instskip(SKIP_2) | instid1(VALU_DEP_1)
	v_pk_fma_f16 v69, v6, v71, v69
	v_pk_fma_f16 v65, v7, v71, v65
	v_mul_u32_u24_e32 v71, 0x10001, v95
	v_pk_fma_f16 v67, v7, v71, v67
	v_pk_fma_f16 v68, v6, v71, v68
	v_mul_u32_u24_e32 v71, 0x10001, v93
	s_delay_alu instid0(VALU_DEP_1) | instskip(SKIP_2) | instid1(VALU_DEP_1)
	v_pk_fma_f16 v66, v7, v71, v66
	v_pk_fma_f16 v70, v6, v71, v70
	v_mul_u32_u24_e32 v71, 0x10001, v96
	v_pk_fma_f16 v72, v7, v71, v5
	v_pk_fma_f16 v71, v6, v71, v4
	ds_load_b128 v[4:7], v51 offset:144
	s_wait_dscnt 0x0
	v_lshrrev_b32_e32 v89, 16, v4
	v_lshrrev_b32_e32 v90, 16, v5
	v_and_b32_e32 v91, 0xffff, v4
	v_and_b32_e32 v92, 0xffff, v5
	v_lshrrev_b32_e32 v93, 16, v6
	v_lshrrev_b32_e32 v94, 16, v7
	v_and_b32_e32 v95, 0xffff, v6
	v_and_b32_e32 v96, 0xffff, v7
	ds_load_2addr_b64 v[4:7], v59 offset0:64 offset1:96
	v_mul_u32_u24_e32 v90, 0x10001, v90
	v_mul_u32_u24_e32 v89, 0x10001, v89
	s_wait_dscnt 0x0
	s_delay_alu instid0(VALU_DEP_2)
	v_pk_fma_f16 v69, v4, v90, v69
	v_pk_fma_f16 v65, v5, v90, v65
	v_mul_u32_u24_e32 v90, 0x10001, v91
	v_pk_fma_f16 v66, v5, v89, v66
	v_pk_fma_f16 v70, v4, v89, v70
	v_mul_u32_u24_e32 v89, 0x10001, v92
	s_delay_alu instid0(VALU_DEP_4) | instskip(SKIP_1) | instid1(VALU_DEP_3)
	v_pk_fma_f16 v68, v4, v90, v68
	v_pk_fma_f16 v67, v5, v90, v67
	v_pk_fma_f16 v4, v4, v89, v71
	v_mul_u32_u24_e32 v71, 0x10001, v94
	v_pk_fma_f16 v5, v5, v89, v72
	s_delay_alu instid0(VALU_DEP_2) | instskip(SKIP_2) | instid1(VALU_DEP_1)
	v_pk_fma_f16 v69, v6, v71, v69
	v_pk_fma_f16 v65, v7, v71, v65
	v_mul_u32_u24_e32 v71, 0x10001, v95
	v_pk_fma_f16 v67, v7, v71, v67
	v_pk_fma_f16 v68, v6, v71, v68
	v_mul_u32_u24_e32 v71, 0x10001, v93
	s_delay_alu instid0(VALU_DEP_1) | instskip(SKIP_2) | instid1(VALU_DEP_1)
	v_pk_fma_f16 v66, v7, v71, v66
	v_pk_fma_f16 v70, v6, v71, v70
	v_mul_u32_u24_e32 v71, 0x10001, v96
	v_pk_fma_f16 v72, v7, v71, v5
	v_pk_fma_f16 v71, v6, v71, v4
	ds_load_b128 v[4:7], v51 offset:160
	s_wait_dscnt 0x0
	v_lshrrev_b32_e32 v89, 16, v4
	v_lshrrev_b32_e32 v90, 16, v5
	v_and_b32_e32 v91, 0xffff, v4
	v_and_b32_e32 v92, 0xffff, v5
	v_lshrrev_b32_e32 v93, 16, v6
	v_lshrrev_b32_e32 v94, 16, v7
	v_and_b32_e32 v95, 0xffff, v6
	v_and_b32_e32 v96, 0xffff, v7
	ds_load_2addr_b64 v[4:7], v59 offset0:128 offset1:160
	v_mul_u32_u24_e32 v90, 0x10001, v90
	v_mul_u32_u24_e32 v89, 0x10001, v89
	s_wait_dscnt 0x0
	s_delay_alu instid0(VALU_DEP_2)
	v_pk_fma_f16 v69, v4, v90, v69
	v_pk_fma_f16 v65, v5, v90, v65
	v_mul_u32_u24_e32 v90, 0x10001, v91
	v_pk_fma_f16 v66, v5, v89, v66
	v_pk_fma_f16 v70, v4, v89, v70
	v_mul_u32_u24_e32 v89, 0x10001, v92
	s_delay_alu instid0(VALU_DEP_4) | instskip(SKIP_1) | instid1(VALU_DEP_3)
	v_pk_fma_f16 v68, v4, v90, v68
	v_pk_fma_f16 v67, v5, v90, v67
	v_pk_fma_f16 v4, v4, v89, v71
	v_mul_u32_u24_e32 v71, 0x10001, v94
	v_pk_fma_f16 v5, v5, v89, v72
	s_delay_alu instid0(VALU_DEP_2) | instskip(SKIP_2) | instid1(VALU_DEP_1)
	v_pk_fma_f16 v69, v6, v71, v69
	v_pk_fma_f16 v65, v7, v71, v65
	v_mul_u32_u24_e32 v71, 0x10001, v95
	v_pk_fma_f16 v67, v7, v71, v67
	v_pk_fma_f16 v68, v6, v71, v68
	v_mul_u32_u24_e32 v71, 0x10001, v93
	s_delay_alu instid0(VALU_DEP_1) | instskip(SKIP_2) | instid1(VALU_DEP_1)
	v_pk_fma_f16 v66, v7, v71, v66
	v_pk_fma_f16 v70, v6, v71, v70
	v_mul_u32_u24_e32 v71, 0x10001, v96
	v_pk_fma_f16 v72, v7, v71, v5
	v_pk_fma_f16 v71, v6, v71, v4
	ds_load_b128 v[4:7], v51 offset:176
	s_wait_dscnt 0x0
	v_lshrrev_b32_e32 v89, 16, v4
	v_lshrrev_b32_e32 v90, 16, v5
	v_and_b32_e32 v91, 0xffff, v4
	v_and_b32_e32 v92, 0xffff, v5
	v_lshrrev_b32_e32 v93, 16, v6
	v_lshrrev_b32_e32 v94, 16, v7
	v_and_b32_e32 v95, 0xffff, v6
	v_and_b32_e32 v96, 0xffff, v7
	ds_load_2addr_b64 v[4:7], v59 offset0:192 offset1:224
	v_mul_u32_u24_e32 v90, 0x10001, v90
	v_mul_u32_u24_e32 v89, 0x10001, v89
	s_wait_dscnt 0x0
	s_delay_alu instid0(VALU_DEP_2)
	v_pk_fma_f16 v69, v4, v90, v69
	v_pk_fma_f16 v65, v5, v90, v65
	v_mul_u32_u24_e32 v90, 0x10001, v91
	v_pk_fma_f16 v66, v5, v89, v66
	v_pk_fma_f16 v70, v4, v89, v70
	v_mul_u32_u24_e32 v89, 0x10001, v92
	s_delay_alu instid0(VALU_DEP_4) | instskip(SKIP_1) | instid1(VALU_DEP_3)
	v_pk_fma_f16 v68, v4, v90, v68
	v_pk_fma_f16 v67, v5, v90, v67
	;; [unrolled: 1-line block ×3, first 2 shown]
	v_mul_u32_u24_e32 v71, 0x10001, v94
	v_pk_fma_f16 v5, v5, v89, v72
	s_delay_alu instid0(VALU_DEP_2) | instskip(SKIP_2) | instid1(VALU_DEP_1)
	v_pk_fma_f16 v69, v6, v71, v69
	v_pk_fma_f16 v65, v7, v71, v65
	v_mul_u32_u24_e32 v71, 0x10001, v95
	v_pk_fma_f16 v67, v7, v71, v67
	v_pk_fma_f16 v68, v6, v71, v68
	v_mul_u32_u24_e32 v71, 0x10001, v93
	s_delay_alu instid0(VALU_DEP_1) | instskip(SKIP_2) | instid1(VALU_DEP_1)
	v_pk_fma_f16 v66, v7, v71, v66
	v_pk_fma_f16 v70, v6, v71, v70
	v_mul_u32_u24_e32 v71, 0x10001, v96
	v_pk_fma_f16 v72, v7, v71, v5
	v_pk_fma_f16 v71, v6, v71, v4
	ds_load_b128 v[4:7], v51 offset:192
	s_wait_dscnt 0x0
	v_lshrrev_b32_e32 v89, 16, v4
	v_lshrrev_b32_e32 v90, 16, v5
	v_and_b32_e32 v91, 0xffff, v4
	v_and_b32_e32 v92, 0xffff, v5
	v_lshrrev_b32_e32 v93, 16, v6
	v_lshrrev_b32_e32 v94, 16, v7
	v_and_b32_e32 v95, 0xffff, v6
	v_and_b32_e32 v96, 0xffff, v7
	ds_load_2addr_b64 v[4:7], v60 offset1:32
	v_mul_u32_u24_e32 v90, 0x10001, v90
	v_mul_u32_u24_e32 v89, 0x10001, v89
	s_wait_dscnt 0x0
	s_delay_alu instid0(VALU_DEP_2)
	v_pk_fma_f16 v69, v4, v90, v69
	v_pk_fma_f16 v65, v5, v90, v65
	v_mul_u32_u24_e32 v90, 0x10001, v91
	v_pk_fma_f16 v66, v5, v89, v66
	v_pk_fma_f16 v70, v4, v89, v70
	v_mul_u32_u24_e32 v89, 0x10001, v92
	s_delay_alu instid0(VALU_DEP_4) | instskip(SKIP_1) | instid1(VALU_DEP_3)
	v_pk_fma_f16 v68, v4, v90, v68
	v_pk_fma_f16 v67, v5, v90, v67
	v_pk_fma_f16 v4, v4, v89, v71
	v_mul_u32_u24_e32 v71, 0x10001, v94
	v_pk_fma_f16 v5, v5, v89, v72
	s_delay_alu instid0(VALU_DEP_2) | instskip(SKIP_2) | instid1(VALU_DEP_1)
	v_pk_fma_f16 v69, v6, v71, v69
	v_pk_fma_f16 v65, v7, v71, v65
	v_mul_u32_u24_e32 v71, 0x10001, v95
	v_pk_fma_f16 v67, v7, v71, v67
	v_pk_fma_f16 v68, v6, v71, v68
	v_mul_u32_u24_e32 v71, 0x10001, v93
	s_delay_alu instid0(VALU_DEP_1) | instskip(SKIP_2) | instid1(VALU_DEP_1)
	v_pk_fma_f16 v66, v7, v71, v66
	v_pk_fma_f16 v70, v6, v71, v70
	v_mul_u32_u24_e32 v71, 0x10001, v96
	v_pk_fma_f16 v72, v7, v71, v5
	v_pk_fma_f16 v71, v6, v71, v4
	ds_load_b128 v[4:7], v51 offset:208
	s_wait_dscnt 0x0
	v_lshrrev_b32_e32 v89, 16, v4
	v_lshrrev_b32_e32 v90, 16, v5
	v_and_b32_e32 v91, 0xffff, v4
	v_and_b32_e32 v92, 0xffff, v5
	v_lshrrev_b32_e32 v93, 16, v6
	v_lshrrev_b32_e32 v94, 16, v7
	v_and_b32_e32 v95, 0xffff, v6
	v_and_b32_e32 v96, 0xffff, v7
	ds_load_2addr_b64 v[4:7], v60 offset0:64 offset1:96
	v_mul_u32_u24_e32 v90, 0x10001, v90
	v_mul_u32_u24_e32 v89, 0x10001, v89
	s_wait_dscnt 0x0
	s_delay_alu instid0(VALU_DEP_2)
	v_pk_fma_f16 v69, v4, v90, v69
	v_pk_fma_f16 v65, v5, v90, v65
	v_mul_u32_u24_e32 v90, 0x10001, v91
	v_pk_fma_f16 v66, v5, v89, v66
	v_pk_fma_f16 v70, v4, v89, v70
	v_mul_u32_u24_e32 v89, 0x10001, v92
	s_delay_alu instid0(VALU_DEP_4) | instskip(SKIP_1) | instid1(VALU_DEP_3)
	v_pk_fma_f16 v68, v4, v90, v68
	v_pk_fma_f16 v67, v5, v90, v67
	v_pk_fma_f16 v4, v4, v89, v71
	v_mul_u32_u24_e32 v71, 0x10001, v94
	v_pk_fma_f16 v5, v5, v89, v72
	s_delay_alu instid0(VALU_DEP_2) | instskip(SKIP_2) | instid1(VALU_DEP_1)
	v_pk_fma_f16 v69, v6, v71, v69
	v_pk_fma_f16 v65, v7, v71, v65
	v_mul_u32_u24_e32 v71, 0x10001, v95
	v_pk_fma_f16 v67, v7, v71, v67
	v_pk_fma_f16 v68, v6, v71, v68
	v_mul_u32_u24_e32 v71, 0x10001, v93
	s_delay_alu instid0(VALU_DEP_1) | instskip(SKIP_2) | instid1(VALU_DEP_1)
	v_pk_fma_f16 v66, v7, v71, v66
	v_pk_fma_f16 v70, v6, v71, v70
	v_mul_u32_u24_e32 v71, 0x10001, v96
	v_pk_fma_f16 v72, v7, v71, v5
	v_pk_fma_f16 v71, v6, v71, v4
	ds_load_b128 v[4:7], v51 offset:224
	s_wait_dscnt 0x0
	v_lshrrev_b32_e32 v89, 16, v4
	v_lshrrev_b32_e32 v90, 16, v5
	v_and_b32_e32 v91, 0xffff, v4
	v_and_b32_e32 v92, 0xffff, v5
	v_lshrrev_b32_e32 v93, 16, v6
	v_lshrrev_b32_e32 v94, 16, v7
	v_and_b32_e32 v95, 0xffff, v6
	v_and_b32_e32 v96, 0xffff, v7
	ds_load_2addr_b64 v[4:7], v60 offset0:128 offset1:160
	v_mul_u32_u24_e32 v90, 0x10001, v90
	v_mul_u32_u24_e32 v89, 0x10001, v89
	s_wait_dscnt 0x0
	s_delay_alu instid0(VALU_DEP_2)
	v_pk_fma_f16 v69, v4, v90, v69
	v_pk_fma_f16 v65, v5, v90, v65
	v_mul_u32_u24_e32 v90, 0x10001, v91
	v_pk_fma_f16 v66, v5, v89, v66
	v_pk_fma_f16 v70, v4, v89, v70
	v_mul_u32_u24_e32 v89, 0x10001, v92
	s_delay_alu instid0(VALU_DEP_4) | instskip(SKIP_1) | instid1(VALU_DEP_3)
	v_pk_fma_f16 v68, v4, v90, v68
	v_pk_fma_f16 v67, v5, v90, v67
	v_pk_fma_f16 v4, v4, v89, v71
	v_mul_u32_u24_e32 v71, 0x10001, v94
	v_pk_fma_f16 v5, v5, v89, v72
	s_delay_alu instid0(VALU_DEP_2) | instskip(SKIP_2) | instid1(VALU_DEP_1)
	v_pk_fma_f16 v69, v6, v71, v69
	v_pk_fma_f16 v65, v7, v71, v65
	v_mul_u32_u24_e32 v71, 0x10001, v95
	v_pk_fma_f16 v67, v7, v71, v67
	v_pk_fma_f16 v68, v6, v71, v68
	v_mul_u32_u24_e32 v71, 0x10001, v93
	s_delay_alu instid0(VALU_DEP_1) | instskip(SKIP_2) | instid1(VALU_DEP_1)
	v_pk_fma_f16 v66, v7, v71, v66
	v_pk_fma_f16 v70, v6, v71, v70
	v_mul_u32_u24_e32 v71, 0x10001, v96
	v_pk_fma_f16 v72, v7, v71, v5
	v_pk_fma_f16 v71, v6, v71, v4
	ds_load_b128 v[4:7], v51 offset:240
	s_wait_dscnt 0x0
	v_lshrrev_b32_e32 v89, 16, v4
	v_lshrrev_b32_e32 v90, 16, v5
	v_and_b32_e32 v91, 0xffff, v4
	v_and_b32_e32 v92, 0xffff, v5
	v_lshrrev_b32_e32 v93, 16, v6
	v_lshrrev_b32_e32 v94, 16, v7
	v_and_b32_e32 v95, 0xffff, v6
	v_and_b32_e32 v96, 0xffff, v7
	ds_load_2addr_b64 v[4:7], v60 offset0:192 offset1:224
	v_mul_u32_u24_e32 v90, 0x10001, v90
	v_mul_u32_u24_e32 v89, 0x10001, v89
	s_wait_dscnt 0x0
	s_delay_alu instid0(VALU_DEP_2)
	v_pk_fma_f16 v69, v4, v90, v69
	v_pk_fma_f16 v65, v5, v90, v65
	v_mul_u32_u24_e32 v90, 0x10001, v91
	v_pk_fma_f16 v66, v5, v89, v66
	v_pk_fma_f16 v70, v4, v89, v70
	v_mul_u32_u24_e32 v89, 0x10001, v92
	s_delay_alu instid0(VALU_DEP_4) | instskip(SKIP_1) | instid1(VALU_DEP_3)
	v_pk_fma_f16 v68, v4, v90, v68
	v_pk_fma_f16 v67, v5, v90, v67
	;; [unrolled: 1-line block ×3, first 2 shown]
	v_mul_u32_u24_e32 v71, 0x10001, v94
	v_pk_fma_f16 v5, v5, v89, v72
	s_delay_alu instid0(VALU_DEP_2) | instskip(SKIP_2) | instid1(VALU_DEP_1)
	v_pk_fma_f16 v69, v6, v71, v69
	v_pk_fma_f16 v65, v7, v71, v65
	v_mul_u32_u24_e32 v71, 0x10001, v95
	v_pk_fma_f16 v67, v7, v71, v67
	v_pk_fma_f16 v68, v6, v71, v68
	v_mul_u32_u24_e32 v71, 0x10001, v93
	s_delay_alu instid0(VALU_DEP_1) | instskip(SKIP_2) | instid1(VALU_DEP_1)
	v_pk_fma_f16 v66, v7, v71, v66
	v_pk_fma_f16 v70, v6, v71, v70
	v_mul_u32_u24_e32 v71, 0x10001, v96
	v_pk_fma_f16 v72, v7, v71, v5
	v_pk_fma_f16 v71, v6, v71, v4
	ds_load_b128 v[4:7], v51 offset:256
	s_wait_dscnt 0x0
	v_lshrrev_b32_e32 v89, 16, v4
	v_lshrrev_b32_e32 v90, 16, v5
	v_and_b32_e32 v91, 0xffff, v4
	v_and_b32_e32 v92, 0xffff, v5
	v_lshrrev_b32_e32 v93, 16, v6
	v_lshrrev_b32_e32 v94, 16, v7
	v_and_b32_e32 v95, 0xffff, v6
	v_and_b32_e32 v96, 0xffff, v7
	ds_load_2addr_b64 v[4:7], v61 offset1:32
	v_mul_u32_u24_e32 v90, 0x10001, v90
	v_mul_u32_u24_e32 v89, 0x10001, v89
	s_wait_dscnt 0x0
	s_delay_alu instid0(VALU_DEP_2)
	v_pk_fma_f16 v69, v4, v90, v69
	v_pk_fma_f16 v65, v5, v90, v65
	v_mul_u32_u24_e32 v90, 0x10001, v91
	v_pk_fma_f16 v66, v5, v89, v66
	v_pk_fma_f16 v70, v4, v89, v70
	v_mul_u32_u24_e32 v89, 0x10001, v92
	s_delay_alu instid0(VALU_DEP_4) | instskip(SKIP_1) | instid1(VALU_DEP_3)
	v_pk_fma_f16 v68, v4, v90, v68
	v_pk_fma_f16 v67, v5, v90, v67
	v_pk_fma_f16 v4, v4, v89, v71
	v_mul_u32_u24_e32 v71, 0x10001, v94
	v_pk_fma_f16 v5, v5, v89, v72
	s_delay_alu instid0(VALU_DEP_2) | instskip(SKIP_2) | instid1(VALU_DEP_1)
	v_pk_fma_f16 v69, v6, v71, v69
	v_pk_fma_f16 v65, v7, v71, v65
	v_mul_u32_u24_e32 v71, 0x10001, v95
	v_pk_fma_f16 v67, v7, v71, v67
	v_pk_fma_f16 v68, v6, v71, v68
	v_mul_u32_u24_e32 v71, 0x10001, v93
	s_delay_alu instid0(VALU_DEP_1) | instskip(SKIP_2) | instid1(VALU_DEP_1)
	v_pk_fma_f16 v66, v7, v71, v66
	v_pk_fma_f16 v70, v6, v71, v70
	v_mul_u32_u24_e32 v71, 0x10001, v96
	v_pk_fma_f16 v72, v7, v71, v5
	v_pk_fma_f16 v71, v6, v71, v4
	ds_load_b128 v[4:7], v51 offset:272
	s_wait_dscnt 0x0
	v_lshrrev_b32_e32 v89, 16, v4
	v_lshrrev_b32_e32 v90, 16, v5
	v_and_b32_e32 v91, 0xffff, v4
	v_and_b32_e32 v92, 0xffff, v5
	v_lshrrev_b32_e32 v93, 16, v6
	v_lshrrev_b32_e32 v94, 16, v7
	v_and_b32_e32 v95, 0xffff, v6
	v_and_b32_e32 v96, 0xffff, v7
	ds_load_2addr_b64 v[4:7], v61 offset0:64 offset1:96
	v_mul_u32_u24_e32 v90, 0x10001, v90
	v_mul_u32_u24_e32 v89, 0x10001, v89
	s_wait_dscnt 0x0
	s_delay_alu instid0(VALU_DEP_2)
	v_pk_fma_f16 v69, v4, v90, v69
	v_pk_fma_f16 v65, v5, v90, v65
	v_mul_u32_u24_e32 v90, 0x10001, v91
	v_pk_fma_f16 v66, v5, v89, v66
	v_pk_fma_f16 v70, v4, v89, v70
	v_mul_u32_u24_e32 v89, 0x10001, v92
	s_delay_alu instid0(VALU_DEP_4) | instskip(SKIP_1) | instid1(VALU_DEP_3)
	v_pk_fma_f16 v68, v4, v90, v68
	v_pk_fma_f16 v67, v5, v90, v67
	v_pk_fma_f16 v4, v4, v89, v71
	v_mul_u32_u24_e32 v71, 0x10001, v94
	v_pk_fma_f16 v5, v5, v89, v72
	s_delay_alu instid0(VALU_DEP_2) | instskip(SKIP_2) | instid1(VALU_DEP_1)
	v_pk_fma_f16 v69, v6, v71, v69
	v_pk_fma_f16 v65, v7, v71, v65
	v_mul_u32_u24_e32 v71, 0x10001, v95
	v_pk_fma_f16 v67, v7, v71, v67
	v_pk_fma_f16 v68, v6, v71, v68
	v_mul_u32_u24_e32 v71, 0x10001, v93
	s_delay_alu instid0(VALU_DEP_1) | instskip(SKIP_2) | instid1(VALU_DEP_1)
	v_pk_fma_f16 v66, v7, v71, v66
	v_pk_fma_f16 v70, v6, v71, v70
	v_mul_u32_u24_e32 v71, 0x10001, v96
	v_pk_fma_f16 v72, v7, v71, v5
	v_pk_fma_f16 v71, v6, v71, v4
	ds_load_b128 v[4:7], v51 offset:288
	s_wait_dscnt 0x0
	v_lshrrev_b32_e32 v89, 16, v4
	v_lshrrev_b32_e32 v90, 16, v5
	v_and_b32_e32 v91, 0xffff, v4
	v_and_b32_e32 v92, 0xffff, v5
	v_lshrrev_b32_e32 v93, 16, v6
	v_lshrrev_b32_e32 v94, 16, v7
	v_and_b32_e32 v95, 0xffff, v6
	v_and_b32_e32 v96, 0xffff, v7
	ds_load_2addr_b64 v[4:7], v61 offset0:128 offset1:160
	;; [unrolled: 40-line block ×3, first 2 shown]
	v_mul_u32_u24_e32 v90, 0x10001, v90
	v_mul_u32_u24_e32 v89, 0x10001, v89
	s_wait_dscnt 0x0
	s_delay_alu instid0(VALU_DEP_2)
	v_pk_fma_f16 v69, v4, v90, v69
	v_pk_fma_f16 v65, v5, v90, v65
	v_mul_u32_u24_e32 v90, 0x10001, v91
	v_pk_fma_f16 v66, v5, v89, v66
	v_pk_fma_f16 v70, v4, v89, v70
	v_mul_u32_u24_e32 v89, 0x10001, v92
	s_delay_alu instid0(VALU_DEP_4) | instskip(SKIP_1) | instid1(VALU_DEP_3)
	v_pk_fma_f16 v68, v4, v90, v68
	v_pk_fma_f16 v67, v5, v90, v67
	;; [unrolled: 1-line block ×3, first 2 shown]
	v_mul_u32_u24_e32 v71, 0x10001, v94
	v_pk_fma_f16 v5, v5, v89, v72
	s_delay_alu instid0(VALU_DEP_2) | instskip(SKIP_2) | instid1(VALU_DEP_1)
	v_pk_fma_f16 v69, v6, v71, v69
	v_pk_fma_f16 v65, v7, v71, v65
	v_mul_u32_u24_e32 v71, 0x10001, v95
	v_pk_fma_f16 v67, v7, v71, v67
	v_pk_fma_f16 v68, v6, v71, v68
	v_mul_u32_u24_e32 v71, 0x10001, v93
	s_delay_alu instid0(VALU_DEP_1) | instskip(SKIP_2) | instid1(VALU_DEP_1)
	v_pk_fma_f16 v66, v7, v71, v66
	v_pk_fma_f16 v70, v6, v71, v70
	v_mul_u32_u24_e32 v71, 0x10001, v96
	v_pk_fma_f16 v72, v7, v71, v5
	v_pk_fma_f16 v71, v6, v71, v4
	ds_load_b128 v[4:7], v51 offset:320
	s_wait_dscnt 0x0
	v_lshrrev_b32_e32 v89, 16, v4
	v_lshrrev_b32_e32 v90, 16, v5
	v_and_b32_e32 v91, 0xffff, v4
	v_and_b32_e32 v92, 0xffff, v5
	v_lshrrev_b32_e32 v93, 16, v6
	v_lshrrev_b32_e32 v94, 16, v7
	v_and_b32_e32 v95, 0xffff, v6
	v_and_b32_e32 v96, 0xffff, v7
	ds_load_2addr_b64 v[4:7], v62 offset1:32
	v_mul_u32_u24_e32 v90, 0x10001, v90
	v_mul_u32_u24_e32 v89, 0x10001, v89
	s_wait_dscnt 0x0
	s_delay_alu instid0(VALU_DEP_2)
	v_pk_fma_f16 v69, v4, v90, v69
	v_pk_fma_f16 v65, v5, v90, v65
	v_mul_u32_u24_e32 v90, 0x10001, v91
	v_pk_fma_f16 v66, v5, v89, v66
	v_pk_fma_f16 v70, v4, v89, v70
	v_mul_u32_u24_e32 v89, 0x10001, v92
	s_delay_alu instid0(VALU_DEP_4) | instskip(SKIP_1) | instid1(VALU_DEP_3)
	v_pk_fma_f16 v68, v4, v90, v68
	v_pk_fma_f16 v67, v5, v90, v67
	v_pk_fma_f16 v4, v4, v89, v71
	v_mul_u32_u24_e32 v71, 0x10001, v94
	v_pk_fma_f16 v5, v5, v89, v72
	s_delay_alu instid0(VALU_DEP_2) | instskip(SKIP_2) | instid1(VALU_DEP_1)
	v_pk_fma_f16 v69, v6, v71, v69
	v_pk_fma_f16 v65, v7, v71, v65
	v_mul_u32_u24_e32 v71, 0x10001, v95
	v_pk_fma_f16 v67, v7, v71, v67
	v_pk_fma_f16 v68, v6, v71, v68
	v_mul_u32_u24_e32 v71, 0x10001, v93
	s_delay_alu instid0(VALU_DEP_1) | instskip(SKIP_2) | instid1(VALU_DEP_1)
	v_pk_fma_f16 v66, v7, v71, v66
	v_pk_fma_f16 v70, v6, v71, v70
	v_mul_u32_u24_e32 v71, 0x10001, v96
	v_pk_fma_f16 v72, v7, v71, v5
	v_pk_fma_f16 v71, v6, v71, v4
	ds_load_b128 v[4:7], v51 offset:336
	s_wait_dscnt 0x0
	v_lshrrev_b32_e32 v89, 16, v4
	v_lshrrev_b32_e32 v90, 16, v5
	v_and_b32_e32 v91, 0xffff, v4
	v_and_b32_e32 v92, 0xffff, v5
	v_lshrrev_b32_e32 v93, 16, v6
	v_lshrrev_b32_e32 v94, 16, v7
	v_and_b32_e32 v95, 0xffff, v6
	v_and_b32_e32 v96, 0xffff, v7
	ds_load_2addr_b64 v[4:7], v62 offset0:64 offset1:96
	v_mul_u32_u24_e32 v90, 0x10001, v90
	v_mul_u32_u24_e32 v89, 0x10001, v89
	s_wait_dscnt 0x0
	s_delay_alu instid0(VALU_DEP_2)
	v_pk_fma_f16 v69, v4, v90, v69
	v_pk_fma_f16 v65, v5, v90, v65
	v_mul_u32_u24_e32 v90, 0x10001, v91
	v_pk_fma_f16 v66, v5, v89, v66
	v_pk_fma_f16 v70, v4, v89, v70
	v_mul_u32_u24_e32 v89, 0x10001, v92
	s_delay_alu instid0(VALU_DEP_4) | instskip(SKIP_1) | instid1(VALU_DEP_3)
	v_pk_fma_f16 v68, v4, v90, v68
	v_pk_fma_f16 v67, v5, v90, v67
	v_pk_fma_f16 v4, v4, v89, v71
	v_mul_u32_u24_e32 v71, 0x10001, v94
	v_pk_fma_f16 v5, v5, v89, v72
	s_delay_alu instid0(VALU_DEP_2) | instskip(SKIP_2) | instid1(VALU_DEP_1)
	v_pk_fma_f16 v69, v6, v71, v69
	v_pk_fma_f16 v65, v7, v71, v65
	v_mul_u32_u24_e32 v71, 0x10001, v95
	v_pk_fma_f16 v67, v7, v71, v67
	v_pk_fma_f16 v68, v6, v71, v68
	v_mul_u32_u24_e32 v71, 0x10001, v93
	s_delay_alu instid0(VALU_DEP_1) | instskip(SKIP_2) | instid1(VALU_DEP_1)
	v_pk_fma_f16 v66, v7, v71, v66
	v_pk_fma_f16 v70, v6, v71, v70
	v_mul_u32_u24_e32 v71, 0x10001, v96
	v_pk_fma_f16 v72, v7, v71, v5
	v_pk_fma_f16 v71, v6, v71, v4
	ds_load_b128 v[4:7], v51 offset:352
	s_wait_dscnt 0x0
	v_lshrrev_b32_e32 v89, 16, v4
	v_lshrrev_b32_e32 v90, 16, v5
	v_and_b32_e32 v91, 0xffff, v4
	v_and_b32_e32 v92, 0xffff, v5
	v_lshrrev_b32_e32 v93, 16, v6
	v_lshrrev_b32_e32 v94, 16, v7
	v_and_b32_e32 v95, 0xffff, v6
	v_and_b32_e32 v96, 0xffff, v7
	ds_load_2addr_b64 v[4:7], v62 offset0:128 offset1:160
	;; [unrolled: 40-line block ×3, first 2 shown]
	v_mul_u32_u24_e32 v90, 0x10001, v90
	v_mul_u32_u24_e32 v89, 0x10001, v89
	s_wait_dscnt 0x0
	s_delay_alu instid0(VALU_DEP_2)
	v_pk_fma_f16 v69, v4, v90, v69
	v_pk_fma_f16 v65, v5, v90, v65
	v_mul_u32_u24_e32 v90, 0x10001, v91
	v_pk_fma_f16 v66, v5, v89, v66
	v_pk_fma_f16 v70, v4, v89, v70
	v_mul_u32_u24_e32 v89, 0x10001, v92
	s_delay_alu instid0(VALU_DEP_4) | instskip(SKIP_1) | instid1(VALU_DEP_3)
	v_pk_fma_f16 v68, v4, v90, v68
	v_pk_fma_f16 v67, v5, v90, v67
	;; [unrolled: 1-line block ×3, first 2 shown]
	v_mul_u32_u24_e32 v71, 0x10001, v94
	v_pk_fma_f16 v5, v5, v89, v72
	s_delay_alu instid0(VALU_DEP_2) | instskip(SKIP_2) | instid1(VALU_DEP_1)
	v_pk_fma_f16 v69, v6, v71, v69
	v_pk_fma_f16 v65, v7, v71, v65
	v_mul_u32_u24_e32 v71, 0x10001, v95
	v_pk_fma_f16 v67, v7, v71, v67
	v_pk_fma_f16 v68, v6, v71, v68
	v_mul_u32_u24_e32 v71, 0x10001, v93
	s_delay_alu instid0(VALU_DEP_1) | instskip(SKIP_2) | instid1(VALU_DEP_1)
	v_pk_fma_f16 v66, v7, v71, v66
	v_pk_fma_f16 v70, v6, v71, v70
	v_mul_u32_u24_e32 v71, 0x10001, v96
	v_pk_fma_f16 v72, v7, v71, v5
	v_pk_fma_f16 v71, v6, v71, v4
	ds_load_b128 v[4:7], v51 offset:384
	s_wait_dscnt 0x0
	v_lshrrev_b32_e32 v89, 16, v4
	v_lshrrev_b32_e32 v90, 16, v5
	v_and_b32_e32 v91, 0xffff, v4
	v_and_b32_e32 v92, 0xffff, v5
	v_lshrrev_b32_e32 v93, 16, v6
	v_lshrrev_b32_e32 v94, 16, v7
	v_and_b32_e32 v95, 0xffff, v6
	v_and_b32_e32 v96, 0xffff, v7
	ds_load_2addr_b64 v[4:7], v63 offset1:32
	v_mul_u32_u24_e32 v90, 0x10001, v90
	v_mul_u32_u24_e32 v89, 0x10001, v89
	s_wait_dscnt 0x0
	s_delay_alu instid0(VALU_DEP_2)
	v_pk_fma_f16 v69, v4, v90, v69
	v_pk_fma_f16 v65, v5, v90, v65
	v_mul_u32_u24_e32 v90, 0x10001, v91
	v_pk_fma_f16 v66, v5, v89, v66
	v_pk_fma_f16 v70, v4, v89, v70
	v_mul_u32_u24_e32 v89, 0x10001, v92
	s_delay_alu instid0(VALU_DEP_4) | instskip(SKIP_1) | instid1(VALU_DEP_3)
	v_pk_fma_f16 v68, v4, v90, v68
	v_pk_fma_f16 v67, v5, v90, v67
	v_pk_fma_f16 v4, v4, v89, v71
	v_mul_u32_u24_e32 v71, 0x10001, v94
	v_pk_fma_f16 v5, v5, v89, v72
	s_delay_alu instid0(VALU_DEP_2) | instskip(SKIP_2) | instid1(VALU_DEP_1)
	v_pk_fma_f16 v69, v6, v71, v69
	v_pk_fma_f16 v65, v7, v71, v65
	v_mul_u32_u24_e32 v71, 0x10001, v95
	v_pk_fma_f16 v67, v7, v71, v67
	v_pk_fma_f16 v68, v6, v71, v68
	v_mul_u32_u24_e32 v71, 0x10001, v93
	s_delay_alu instid0(VALU_DEP_1) | instskip(SKIP_2) | instid1(VALU_DEP_1)
	v_pk_fma_f16 v66, v7, v71, v66
	v_pk_fma_f16 v70, v6, v71, v70
	v_mul_u32_u24_e32 v71, 0x10001, v96
	v_pk_fma_f16 v72, v7, v71, v5
	v_pk_fma_f16 v71, v6, v71, v4
	ds_load_b128 v[4:7], v51 offset:400
	s_wait_dscnt 0x0
	v_lshrrev_b32_e32 v89, 16, v4
	v_lshrrev_b32_e32 v90, 16, v5
	v_and_b32_e32 v91, 0xffff, v4
	v_and_b32_e32 v92, 0xffff, v5
	v_lshrrev_b32_e32 v93, 16, v6
	v_lshrrev_b32_e32 v94, 16, v7
	v_and_b32_e32 v95, 0xffff, v6
	v_and_b32_e32 v96, 0xffff, v7
	ds_load_2addr_b64 v[4:7], v63 offset0:64 offset1:96
	v_mul_u32_u24_e32 v90, 0x10001, v90
	v_mul_u32_u24_e32 v89, 0x10001, v89
	s_wait_dscnt 0x0
	s_delay_alu instid0(VALU_DEP_2)
	v_pk_fma_f16 v69, v4, v90, v69
	v_pk_fma_f16 v65, v5, v90, v65
	v_mul_u32_u24_e32 v90, 0x10001, v91
	v_pk_fma_f16 v66, v5, v89, v66
	v_pk_fma_f16 v70, v4, v89, v70
	v_mul_u32_u24_e32 v89, 0x10001, v92
	s_delay_alu instid0(VALU_DEP_4) | instskip(SKIP_1) | instid1(VALU_DEP_3)
	v_pk_fma_f16 v68, v4, v90, v68
	v_pk_fma_f16 v67, v5, v90, v67
	v_pk_fma_f16 v4, v4, v89, v71
	v_mul_u32_u24_e32 v71, 0x10001, v94
	v_pk_fma_f16 v5, v5, v89, v72
	s_delay_alu instid0(VALU_DEP_2) | instskip(SKIP_2) | instid1(VALU_DEP_1)
	v_pk_fma_f16 v69, v6, v71, v69
	v_pk_fma_f16 v65, v7, v71, v65
	v_mul_u32_u24_e32 v71, 0x10001, v95
	v_pk_fma_f16 v67, v7, v71, v67
	v_pk_fma_f16 v68, v6, v71, v68
	v_mul_u32_u24_e32 v71, 0x10001, v93
	s_delay_alu instid0(VALU_DEP_1) | instskip(SKIP_2) | instid1(VALU_DEP_1)
	v_pk_fma_f16 v66, v7, v71, v66
	v_pk_fma_f16 v70, v6, v71, v70
	v_mul_u32_u24_e32 v71, 0x10001, v96
	v_pk_fma_f16 v72, v7, v71, v5
	v_pk_fma_f16 v71, v6, v71, v4
	ds_load_b128 v[4:7], v51 offset:416
	s_wait_dscnt 0x0
	v_lshrrev_b32_e32 v89, 16, v4
	v_lshrrev_b32_e32 v90, 16, v5
	v_and_b32_e32 v91, 0xffff, v4
	v_and_b32_e32 v92, 0xffff, v5
	v_lshrrev_b32_e32 v93, 16, v6
	v_lshrrev_b32_e32 v94, 16, v7
	v_and_b32_e32 v95, 0xffff, v6
	v_and_b32_e32 v96, 0xffff, v7
	ds_load_2addr_b64 v[4:7], v63 offset0:128 offset1:160
	;; [unrolled: 40-line block ×3, first 2 shown]
	v_mul_u32_u24_e32 v90, 0x10001, v90
	v_mul_u32_u24_e32 v89, 0x10001, v89
	s_wait_dscnt 0x0
	s_delay_alu instid0(VALU_DEP_2)
	v_pk_fma_f16 v69, v4, v90, v69
	v_pk_fma_f16 v65, v5, v90, v65
	v_mul_u32_u24_e32 v90, 0x10001, v91
	v_pk_fma_f16 v66, v5, v89, v66
	v_pk_fma_f16 v70, v4, v89, v70
	v_mul_u32_u24_e32 v89, 0x10001, v92
	s_delay_alu instid0(VALU_DEP_4) | instskip(SKIP_1) | instid1(VALU_DEP_3)
	v_pk_fma_f16 v68, v4, v90, v68
	v_pk_fma_f16 v67, v5, v90, v67
	;; [unrolled: 1-line block ×3, first 2 shown]
	v_mul_u32_u24_e32 v71, 0x10001, v94
	v_pk_fma_f16 v5, v5, v89, v72
	s_delay_alu instid0(VALU_DEP_2) | instskip(SKIP_2) | instid1(VALU_DEP_1)
	v_pk_fma_f16 v69, v6, v71, v69
	v_pk_fma_f16 v65, v7, v71, v65
	v_mul_u32_u24_e32 v71, 0x10001, v95
	v_pk_fma_f16 v67, v7, v71, v67
	v_pk_fma_f16 v68, v6, v71, v68
	v_mul_u32_u24_e32 v71, 0x10001, v93
	s_delay_alu instid0(VALU_DEP_1) | instskip(SKIP_2) | instid1(VALU_DEP_1)
	v_pk_fma_f16 v66, v7, v71, v66
	v_pk_fma_f16 v70, v6, v71, v70
	v_mul_u32_u24_e32 v71, 0x10001, v96
	v_pk_fma_f16 v72, v7, v71, v5
	v_pk_fma_f16 v71, v6, v71, v4
	ds_load_b128 v[4:7], v51 offset:448
	s_wait_dscnt 0x0
	v_lshrrev_b32_e32 v89, 16, v4
	v_lshrrev_b32_e32 v90, 16, v5
	v_and_b32_e32 v91, 0xffff, v4
	v_and_b32_e32 v92, 0xffff, v5
	v_lshrrev_b32_e32 v93, 16, v6
	v_lshrrev_b32_e32 v94, 16, v7
	v_and_b32_e32 v95, 0xffff, v6
	v_and_b32_e32 v96, 0xffff, v7
	ds_load_2addr_b64 v[4:7], v64 offset1:32
	v_mul_u32_u24_e32 v90, 0x10001, v90
	v_mul_u32_u24_e32 v89, 0x10001, v89
	s_wait_dscnt 0x0
	s_delay_alu instid0(VALU_DEP_2)
	v_pk_fma_f16 v69, v4, v90, v69
	v_pk_fma_f16 v65, v5, v90, v65
	v_mul_u32_u24_e32 v90, 0x10001, v91
	v_pk_fma_f16 v66, v5, v89, v66
	v_pk_fma_f16 v89, v4, v89, v70
	v_mul_u32_u24_e32 v70, 0x10001, v92
	s_delay_alu instid0(VALU_DEP_4) | instskip(SKIP_1) | instid1(VALU_DEP_3)
	v_pk_fma_f16 v67, v5, v90, v67
	v_pk_fma_f16 v68, v4, v90, v68
	;; [unrolled: 1-line block ×4, first 2 shown]
	v_mul_u32_u24_e32 v70, 0x10001, v94
	s_delay_alu instid0(VALU_DEP_1) | instskip(SKIP_2) | instid1(VALU_DEP_2)
	v_pk_fma_f16 v94, v7, v70, v65
	v_mul_u32_u24_e32 v65, 0x10001, v95
	v_pk_fma_f16 v92, v6, v70, v69
	v_pk_fma_f16 v97, v7, v65, v67
	v_pk_fma_f16 v67, v6, v65, v68
	v_mul_u32_u24_e32 v65, 0x10001, v93
	s_delay_alu instid0(VALU_DEP_1) | instskip(SKIP_2) | instid1(VALU_DEP_1)
	v_pk_fma_f16 v70, v7, v65, v66
	v_pk_fma_f16 v68, v6, v65, v89
	v_mul_u32_u24_e32 v65, 0x10001, v96
	v_pk_fma_f16 v71, v7, v65, v5
	v_pk_fma_f16 v69, v6, v65, v4
	ds_load_b128 v[4:7], v51 offset:464
	s_wait_dscnt 0x0
	v_lshrrev_b32_e32 v90, 16, v4
	v_lshrrev_b32_e32 v93, 16, v5
	v_and_b32_e32 v95, 0xffff, v4
	v_and_b32_e32 v91, 0xffff, v5
	v_lshrrev_b32_e32 v65, 16, v6
	v_lshrrev_b32_e32 v89, 16, v7
	v_and_b32_e32 v72, 0xffff, v6
	v_and_b32_e32 v66, 0xffff, v7
	ds_load_2addr_b64 v[4:7], v64 offset0:64 offset1:96
	v_mul_u32_u24_e32 v90, 0x10001, v90
	v_mul_u32_u24_e32 v93, 0x10001, v93
	;; [unrolled: 1-line block ×6, first 2 shown]
	s_wait_dscnt 0x0
	v_pk_fma_f16 v70, v5, v90, v70
	v_pk_fma_f16 v68, v4, v90, v68
	v_mul_u32_u24_e32 v90, 0x10001, v91
	v_pk_fma_f16 v92, v4, v93, v92
	v_pk_fma_f16 v94, v5, v93, v94
	;; [unrolled: 1-line block ×6, first 2 shown]
	v_mul_u32_u24_e32 v69, 0x10001, v89
	v_pk_fma_f16 v89, v7, v72, v93
	v_pk_fma_f16 v67, v6, v72, v67
	;; [unrolled: 1-line block ×8, first 2 shown]
	ds_load_b128 v[4:7], v51 offset:480
	s_wait_dscnt 0x0
	v_lshrrev_b32_e32 v72, 16, v4
	v_lshrrev_b32_e32 v90, 16, v5
	v_and_b32_e32 v91, 0xffff, v4
	v_and_b32_e32 v92, 0xffff, v5
	v_lshrrev_b32_e32 v93, 16, v6
	v_lshrrev_b32_e32 v94, 16, v7
	v_and_b32_e32 v95, 0xffff, v6
	v_and_b32_e32 v96, 0xffff, v7
	ds_load_2addr_b64 v[4:7], v64 offset0:128 offset1:160
	v_mul_u32_u24_e32 v90, 0x10001, v90
	v_mul_u32_u24_e32 v72, 0x10001, v72
	s_wait_dscnt 0x0
	s_delay_alu instid0(VALU_DEP_2)
	v_pk_fma_f16 v71, v4, v90, v71
	v_pk_fma_f16 v69, v5, v90, v69
	v_mul_u32_u24_e32 v90, 0x10001, v91
	v_pk_fma_f16 v70, v5, v72, v70
	v_pk_fma_f16 v65, v4, v72, v65
	v_mul_u32_u24_e32 v72, 0x10001, v92
	s_delay_alu instid0(VALU_DEP_4) | instskip(SKIP_1) | instid1(VALU_DEP_3)
	v_pk_fma_f16 v67, v4, v90, v67
	v_pk_fma_f16 v89, v5, v90, v89
	;; [unrolled: 1-line block ×3, first 2 shown]
	v_mul_u32_u24_e32 v66, 0x10001, v94
	v_pk_fma_f16 v5, v5, v72, v68
	s_delay_alu instid0(VALU_DEP_2) | instskip(SKIP_2) | instid1(VALU_DEP_1)
	v_pk_fma_f16 v68, v6, v66, v71
	v_pk_fma_f16 v66, v7, v66, v69
	v_mul_u32_u24_e32 v69, 0x10001, v95
	v_pk_fma_f16 v71, v7, v69, v89
	v_pk_fma_f16 v67, v6, v69, v67
	v_mul_u32_u24_e32 v69, 0x10001, v93
	s_delay_alu instid0(VALU_DEP_1) | instskip(SKIP_2) | instid1(VALU_DEP_1)
	v_pk_fma_f16 v70, v7, v69, v70
	v_pk_fma_f16 v65, v6, v69, v65
	v_mul_u32_u24_e32 v69, 0x10001, v96
	v_pk_fma_f16 v72, v7, v69, v5
	v_pk_fma_f16 v69, v6, v69, v4
	ds_load_b128 v[4:7], v51 offset:496
	s_wait_dscnt 0x0
	v_lshrrev_b32_e32 v89, 16, v4
	v_lshrrev_b32_e32 v90, 16, v5
	v_and_b32_e32 v91, 0xffff, v4
	v_and_b32_e32 v92, 0xffff, v5
	v_lshrrev_b32_e32 v93, 16, v6
	v_lshrrev_b32_e32 v94, 16, v7
	v_and_b32_e32 v95, 0xffff, v6
	v_and_b32_e32 v96, 0xffff, v7
	ds_load_2addr_b64 v[4:7], v64 offset0:192 offset1:224
	v_mul_u32_u24_e32 v90, 0x10001, v90
	v_mul_u32_u24_e32 v89, 0x10001, v89
	s_wait_loadcnt_dscnt 0x0
	s_barrier_signal -1
	s_barrier_wait -1
	global_inv scope:SCOPE_SE
	v_pk_fma_f16 v68, v4, v90, v68
	v_pk_fma_f16 v66, v5, v90, v66
	v_mul_u32_u24_e32 v90, 0x10001, v91
	v_pk_fma_f16 v70, v5, v89, v70
	v_pk_fma_f16 v65, v4, v89, v65
	v_mul_u32_u24_e32 v89, 0x10001, v92
	s_delay_alu instid0(VALU_DEP_4) | instskip(SKIP_1) | instid1(VALU_DEP_3)
	v_pk_fma_f16 v67, v4, v90, v67
	v_pk_fma_f16 v71, v5, v90, v71
	;; [unrolled: 1-line block ×3, first 2 shown]
	v_mul_u32_u24_e32 v69, 0x10001, v94
	v_pk_fma_f16 v5, v5, v89, v72
	s_delay_alu instid0(VALU_DEP_2) | instskip(SKIP_2) | instid1(VALU_DEP_1)
	v_pk_fma_f16 v68, v6, v69, v68
	v_pk_fma_f16 v66, v7, v69, v66
	v_mul_u32_u24_e32 v69, 0x10001, v95
	v_pk_fma_f16 v71, v7, v69, v71
	v_pk_fma_f16 v67, v6, v69, v67
	v_mul_u32_u24_e32 v69, 0x10001, v93
	s_delay_alu instid0(VALU_DEP_1) | instskip(SKIP_2) | instid1(VALU_DEP_1)
	v_pk_fma_f16 v70, v7, v69, v70
	v_pk_fma_f16 v65, v6, v69, v65
	v_mul_u32_u24_e32 v69, 0x10001, v96
	v_pk_fma_f16 v72, v7, v69, v5
	v_pk_fma_f16 v69, v6, v69, v4
	s_wait_alu 0xfffe
	v_add_co_u32 v4, vcc_lo, s2, v20
	s_wait_alu 0xfffd
	v_add_co_ci_u32_e64 v5, null, s3, v21, vcc_lo
	s_delay_alu instid0(VALU_DEP_2) | instskip(SKIP_1) | instid1(VALU_DEP_2)
	v_add_co_u32 v4, vcc_lo, v4, v57
	s_wait_alu 0xfffd
	v_add_co_ci_u32_e64 v5, null, 0, v5, vcc_lo
	global_load_b128 v[4:7], v[4:5], off
	s_wait_loadcnt 0x0
	ds_store_b128 v50, v[4:7]
	v_add_co_u32 v4, vcc_lo, s2, v22
	s_wait_alu 0xfffd
	v_add_co_ci_u32_e64 v5, null, s3, v23, vcc_lo
	s_delay_alu instid0(VALU_DEP_2) | instskip(SKIP_1) | instid1(VALU_DEP_2)
	v_add_co_u32 v4, vcc_lo, v4, v57
	s_wait_alu 0xfffd
	v_add_co_ci_u32_e64 v5, null, 0, v5, vcc_lo
	global_load_b128 v[4:7], v[4:5], off
	s_wait_loadcnt 0x0
	ds_store_b128 v52, v[4:7]
	;; [unrolled: 10-line block ×4, first 2 shown]
	s_wait_dscnt 0x0
	s_barrier_signal -1
	s_barrier_wait -1
	global_inv scope:SCOPE_SE
	ds_load_b128 v[4:7], v51 offset:512
	s_wait_dscnt 0x0
	v_lshrrev_b32_e32 v89, 16, v4
	v_lshrrev_b32_e32 v90, 16, v5
	v_and_b32_e32 v91, 0xffff, v4
	v_and_b32_e32 v92, 0xffff, v5
	v_lshrrev_b32_e32 v93, 16, v6
	v_lshrrev_b32_e32 v94, 16, v7
	v_and_b32_e32 v95, 0xffff, v6
	v_and_b32_e32 v96, 0xffff, v7
	ds_load_2addr_b64 v[4:7], v11 offset1:32
	v_mul_u32_u24_e32 v90, 0x10001, v90
	v_mul_u32_u24_e32 v89, 0x10001, v89
	s_wait_dscnt 0x0
	s_delay_alu instid0(VALU_DEP_2)
	v_pk_fma_f16 v68, v4, v90, v68
	v_pk_fma_f16 v66, v5, v90, v66
	v_mul_u32_u24_e32 v90, 0x10001, v91
	v_pk_fma_f16 v70, v5, v89, v70
	v_pk_fma_f16 v65, v4, v89, v65
	v_mul_u32_u24_e32 v89, 0x10001, v92
	s_delay_alu instid0(VALU_DEP_4) | instskip(SKIP_1) | instid1(VALU_DEP_3)
	v_pk_fma_f16 v67, v4, v90, v67
	v_pk_fma_f16 v71, v5, v90, v71
	v_pk_fma_f16 v4, v4, v89, v69
	v_mul_u32_u24_e32 v69, 0x10001, v94
	v_pk_fma_f16 v5, v5, v89, v72
	s_delay_alu instid0(VALU_DEP_2) | instskip(SKIP_2) | instid1(VALU_DEP_1)
	v_pk_fma_f16 v68, v6, v69, v68
	v_pk_fma_f16 v66, v7, v69, v66
	v_mul_u32_u24_e32 v69, 0x10001, v95
	v_pk_fma_f16 v71, v7, v69, v71
	v_pk_fma_f16 v67, v6, v69, v67
	v_mul_u32_u24_e32 v69, 0x10001, v93
	s_delay_alu instid0(VALU_DEP_1) | instskip(SKIP_2) | instid1(VALU_DEP_1)
	v_pk_fma_f16 v70, v7, v69, v70
	v_pk_fma_f16 v65, v6, v69, v65
	v_mul_u32_u24_e32 v69, 0x10001, v96
	v_pk_fma_f16 v72, v7, v69, v5
	v_pk_fma_f16 v69, v6, v69, v4
	ds_load_b128 v[4:7], v51 offset:528
	s_wait_dscnt 0x0
	v_lshrrev_b32_e32 v89, 16, v4
	v_lshrrev_b32_e32 v90, 16, v5
	v_and_b32_e32 v91, 0xffff, v4
	v_and_b32_e32 v92, 0xffff, v5
	v_lshrrev_b32_e32 v93, 16, v6
	v_lshrrev_b32_e32 v94, 16, v7
	v_and_b32_e32 v95, 0xffff, v6
	v_and_b32_e32 v96, 0xffff, v7
	ds_load_2addr_b64 v[4:7], v11 offset0:64 offset1:96
	v_mul_u32_u24_e32 v90, 0x10001, v90
	v_mul_u32_u24_e32 v89, 0x10001, v89
	s_wait_dscnt 0x0
	s_delay_alu instid0(VALU_DEP_2)
	v_pk_fma_f16 v68, v4, v90, v68
	v_pk_fma_f16 v66, v5, v90, v66
	v_mul_u32_u24_e32 v90, 0x10001, v91
	v_pk_fma_f16 v70, v5, v89, v70
	v_pk_fma_f16 v65, v4, v89, v65
	v_mul_u32_u24_e32 v89, 0x10001, v92
	s_delay_alu instid0(VALU_DEP_4) | instskip(SKIP_1) | instid1(VALU_DEP_3)
	v_pk_fma_f16 v67, v4, v90, v67
	v_pk_fma_f16 v71, v5, v90, v71
	v_pk_fma_f16 v4, v4, v89, v69
	v_mul_u32_u24_e32 v69, 0x10001, v94
	v_pk_fma_f16 v5, v5, v89, v72
	s_delay_alu instid0(VALU_DEP_2) | instskip(SKIP_2) | instid1(VALU_DEP_1)
	v_pk_fma_f16 v68, v6, v69, v68
	v_pk_fma_f16 v66, v7, v69, v66
	v_mul_u32_u24_e32 v69, 0x10001, v95
	v_pk_fma_f16 v71, v7, v69, v71
	v_pk_fma_f16 v67, v6, v69, v67
	v_mul_u32_u24_e32 v69, 0x10001, v93
	s_delay_alu instid0(VALU_DEP_1) | instskip(SKIP_2) | instid1(VALU_DEP_1)
	v_pk_fma_f16 v70, v7, v69, v70
	v_pk_fma_f16 v65, v6, v69, v65
	v_mul_u32_u24_e32 v69, 0x10001, v96
	v_pk_fma_f16 v72, v7, v69, v5
	v_pk_fma_f16 v69, v6, v69, v4
	ds_load_b128 v[4:7], v51 offset:544
	s_wait_dscnt 0x0
	v_lshrrev_b32_e32 v89, 16, v4
	v_lshrrev_b32_e32 v90, 16, v5
	v_and_b32_e32 v91, 0xffff, v4
	v_and_b32_e32 v92, 0xffff, v5
	v_lshrrev_b32_e32 v93, 16, v6
	v_lshrrev_b32_e32 v94, 16, v7
	v_and_b32_e32 v95, 0xffff, v6
	v_and_b32_e32 v96, 0xffff, v7
	ds_load_2addr_b64 v[4:7], v11 offset0:128 offset1:160
	;; [unrolled: 40-line block ×3, first 2 shown]
	v_mul_u32_u24_e32 v90, 0x10001, v90
	v_mul_u32_u24_e32 v89, 0x10001, v89
	s_wait_dscnt 0x0
	s_delay_alu instid0(VALU_DEP_2)
	v_pk_fma_f16 v68, v4, v90, v68
	v_pk_fma_f16 v66, v5, v90, v66
	v_mul_u32_u24_e32 v90, 0x10001, v91
	v_pk_fma_f16 v70, v5, v89, v70
	v_pk_fma_f16 v65, v4, v89, v65
	v_mul_u32_u24_e32 v89, 0x10001, v92
	s_delay_alu instid0(VALU_DEP_4) | instskip(SKIP_1) | instid1(VALU_DEP_3)
	v_pk_fma_f16 v67, v4, v90, v67
	v_pk_fma_f16 v71, v5, v90, v71
	;; [unrolled: 1-line block ×3, first 2 shown]
	v_mul_u32_u24_e32 v69, 0x10001, v94
	v_pk_fma_f16 v5, v5, v89, v72
	s_delay_alu instid0(VALU_DEP_2) | instskip(SKIP_2) | instid1(VALU_DEP_1)
	v_pk_fma_f16 v68, v6, v69, v68
	v_pk_fma_f16 v66, v7, v69, v66
	v_mul_u32_u24_e32 v69, 0x10001, v95
	v_pk_fma_f16 v71, v7, v69, v71
	v_pk_fma_f16 v67, v6, v69, v67
	v_mul_u32_u24_e32 v69, 0x10001, v93
	s_delay_alu instid0(VALU_DEP_1) | instskip(SKIP_2) | instid1(VALU_DEP_1)
	v_pk_fma_f16 v70, v7, v69, v70
	v_pk_fma_f16 v65, v6, v69, v65
	v_mul_u32_u24_e32 v69, 0x10001, v96
	v_pk_fma_f16 v72, v7, v69, v5
	v_pk_fma_f16 v69, v6, v69, v4
	ds_load_b128 v[4:7], v51 offset:576
	s_wait_dscnt 0x0
	v_lshrrev_b32_e32 v89, 16, v4
	v_lshrrev_b32_e32 v90, 16, v5
	v_and_b32_e32 v91, 0xffff, v4
	v_and_b32_e32 v92, 0xffff, v5
	v_lshrrev_b32_e32 v93, 16, v6
	v_lshrrev_b32_e32 v94, 16, v7
	v_and_b32_e32 v95, 0xffff, v6
	v_and_b32_e32 v96, 0xffff, v7
	ds_load_2addr_b64 v[4:7], v58 offset1:32
	v_mul_u32_u24_e32 v90, 0x10001, v90
	v_mul_u32_u24_e32 v89, 0x10001, v89
	s_wait_dscnt 0x0
	s_delay_alu instid0(VALU_DEP_2)
	v_pk_fma_f16 v68, v4, v90, v68
	v_pk_fma_f16 v66, v5, v90, v66
	v_mul_u32_u24_e32 v90, 0x10001, v91
	v_pk_fma_f16 v70, v5, v89, v70
	v_pk_fma_f16 v65, v4, v89, v65
	v_mul_u32_u24_e32 v89, 0x10001, v92
	s_delay_alu instid0(VALU_DEP_4) | instskip(SKIP_1) | instid1(VALU_DEP_3)
	v_pk_fma_f16 v67, v4, v90, v67
	v_pk_fma_f16 v71, v5, v90, v71
	v_pk_fma_f16 v4, v4, v89, v69
	v_mul_u32_u24_e32 v69, 0x10001, v94
	v_pk_fma_f16 v5, v5, v89, v72
	s_delay_alu instid0(VALU_DEP_2) | instskip(SKIP_2) | instid1(VALU_DEP_1)
	v_pk_fma_f16 v68, v6, v69, v68
	v_pk_fma_f16 v66, v7, v69, v66
	v_mul_u32_u24_e32 v69, 0x10001, v95
	v_pk_fma_f16 v71, v7, v69, v71
	v_pk_fma_f16 v67, v6, v69, v67
	v_mul_u32_u24_e32 v69, 0x10001, v93
	s_delay_alu instid0(VALU_DEP_1) | instskip(SKIP_2) | instid1(VALU_DEP_1)
	v_pk_fma_f16 v70, v7, v69, v70
	v_pk_fma_f16 v65, v6, v69, v65
	v_mul_u32_u24_e32 v69, 0x10001, v96
	v_pk_fma_f16 v72, v7, v69, v5
	v_pk_fma_f16 v69, v6, v69, v4
	ds_load_b128 v[4:7], v51 offset:592
	s_wait_dscnt 0x0
	v_lshrrev_b32_e32 v89, 16, v4
	v_lshrrev_b32_e32 v90, 16, v5
	v_and_b32_e32 v91, 0xffff, v4
	v_and_b32_e32 v92, 0xffff, v5
	v_lshrrev_b32_e32 v93, 16, v6
	v_lshrrev_b32_e32 v94, 16, v7
	v_and_b32_e32 v95, 0xffff, v6
	v_and_b32_e32 v96, 0xffff, v7
	ds_load_2addr_b64 v[4:7], v58 offset0:64 offset1:96
	v_mul_u32_u24_e32 v90, 0x10001, v90
	v_mul_u32_u24_e32 v89, 0x10001, v89
	s_wait_dscnt 0x0
	s_delay_alu instid0(VALU_DEP_2)
	v_pk_fma_f16 v68, v4, v90, v68
	v_pk_fma_f16 v66, v5, v90, v66
	v_mul_u32_u24_e32 v90, 0x10001, v91
	v_pk_fma_f16 v70, v5, v89, v70
	v_pk_fma_f16 v65, v4, v89, v65
	v_mul_u32_u24_e32 v89, 0x10001, v92
	s_delay_alu instid0(VALU_DEP_4) | instskip(SKIP_1) | instid1(VALU_DEP_3)
	v_pk_fma_f16 v67, v4, v90, v67
	v_pk_fma_f16 v71, v5, v90, v71
	v_pk_fma_f16 v4, v4, v89, v69
	v_mul_u32_u24_e32 v69, 0x10001, v94
	v_pk_fma_f16 v5, v5, v89, v72
	s_delay_alu instid0(VALU_DEP_2) | instskip(SKIP_2) | instid1(VALU_DEP_1)
	v_pk_fma_f16 v68, v6, v69, v68
	v_pk_fma_f16 v66, v7, v69, v66
	v_mul_u32_u24_e32 v69, 0x10001, v95
	v_pk_fma_f16 v71, v7, v69, v71
	v_pk_fma_f16 v67, v6, v69, v67
	v_mul_u32_u24_e32 v69, 0x10001, v93
	s_delay_alu instid0(VALU_DEP_1) | instskip(SKIP_2) | instid1(VALU_DEP_1)
	v_pk_fma_f16 v70, v7, v69, v70
	v_pk_fma_f16 v65, v6, v69, v65
	v_mul_u32_u24_e32 v69, 0x10001, v96
	v_pk_fma_f16 v72, v7, v69, v5
	v_pk_fma_f16 v69, v6, v69, v4
	ds_load_b128 v[4:7], v51 offset:608
	s_wait_dscnt 0x0
	v_lshrrev_b32_e32 v89, 16, v4
	v_lshrrev_b32_e32 v90, 16, v5
	v_and_b32_e32 v91, 0xffff, v4
	v_and_b32_e32 v92, 0xffff, v5
	v_lshrrev_b32_e32 v93, 16, v6
	v_lshrrev_b32_e32 v94, 16, v7
	v_and_b32_e32 v95, 0xffff, v6
	v_and_b32_e32 v96, 0xffff, v7
	ds_load_2addr_b64 v[4:7], v58 offset0:128 offset1:160
	;; [unrolled: 40-line block ×3, first 2 shown]
	v_mul_u32_u24_e32 v90, 0x10001, v90
	v_mul_u32_u24_e32 v89, 0x10001, v89
	s_wait_dscnt 0x0
	s_delay_alu instid0(VALU_DEP_2)
	v_pk_fma_f16 v68, v4, v90, v68
	v_pk_fma_f16 v66, v5, v90, v66
	v_mul_u32_u24_e32 v90, 0x10001, v91
	v_pk_fma_f16 v70, v5, v89, v70
	v_pk_fma_f16 v65, v4, v89, v65
	v_mul_u32_u24_e32 v89, 0x10001, v92
	s_delay_alu instid0(VALU_DEP_4) | instskip(SKIP_1) | instid1(VALU_DEP_3)
	v_pk_fma_f16 v67, v4, v90, v67
	v_pk_fma_f16 v71, v5, v90, v71
	;; [unrolled: 1-line block ×3, first 2 shown]
	v_mul_u32_u24_e32 v69, 0x10001, v94
	v_pk_fma_f16 v5, v5, v89, v72
	s_delay_alu instid0(VALU_DEP_2) | instskip(SKIP_2) | instid1(VALU_DEP_1)
	v_pk_fma_f16 v68, v6, v69, v68
	v_pk_fma_f16 v66, v7, v69, v66
	v_mul_u32_u24_e32 v69, 0x10001, v95
	v_pk_fma_f16 v71, v7, v69, v71
	v_pk_fma_f16 v67, v6, v69, v67
	v_mul_u32_u24_e32 v69, 0x10001, v93
	s_delay_alu instid0(VALU_DEP_1) | instskip(SKIP_2) | instid1(VALU_DEP_1)
	v_pk_fma_f16 v70, v7, v69, v70
	v_pk_fma_f16 v65, v6, v69, v65
	v_mul_u32_u24_e32 v69, 0x10001, v96
	v_pk_fma_f16 v72, v7, v69, v5
	v_pk_fma_f16 v69, v6, v69, v4
	ds_load_b128 v[4:7], v51 offset:640
	s_wait_dscnt 0x0
	v_lshrrev_b32_e32 v89, 16, v4
	v_lshrrev_b32_e32 v90, 16, v5
	v_and_b32_e32 v91, 0xffff, v4
	v_and_b32_e32 v92, 0xffff, v5
	v_lshrrev_b32_e32 v93, 16, v6
	v_lshrrev_b32_e32 v94, 16, v7
	v_and_b32_e32 v95, 0xffff, v6
	v_and_b32_e32 v96, 0xffff, v7
	ds_load_2addr_b64 v[4:7], v59 offset1:32
	v_mul_u32_u24_e32 v90, 0x10001, v90
	v_mul_u32_u24_e32 v89, 0x10001, v89
	s_wait_dscnt 0x0
	s_delay_alu instid0(VALU_DEP_2)
	v_pk_fma_f16 v68, v4, v90, v68
	v_pk_fma_f16 v66, v5, v90, v66
	v_mul_u32_u24_e32 v90, 0x10001, v91
	v_pk_fma_f16 v70, v5, v89, v70
	v_pk_fma_f16 v65, v4, v89, v65
	v_mul_u32_u24_e32 v89, 0x10001, v92
	s_delay_alu instid0(VALU_DEP_4) | instskip(SKIP_1) | instid1(VALU_DEP_3)
	v_pk_fma_f16 v67, v4, v90, v67
	v_pk_fma_f16 v71, v5, v90, v71
	v_pk_fma_f16 v4, v4, v89, v69
	v_mul_u32_u24_e32 v69, 0x10001, v94
	v_pk_fma_f16 v5, v5, v89, v72
	s_delay_alu instid0(VALU_DEP_2) | instskip(SKIP_2) | instid1(VALU_DEP_1)
	v_pk_fma_f16 v68, v6, v69, v68
	v_pk_fma_f16 v66, v7, v69, v66
	v_mul_u32_u24_e32 v69, 0x10001, v95
	v_pk_fma_f16 v71, v7, v69, v71
	v_pk_fma_f16 v67, v6, v69, v67
	v_mul_u32_u24_e32 v69, 0x10001, v93
	s_delay_alu instid0(VALU_DEP_1) | instskip(SKIP_2) | instid1(VALU_DEP_1)
	v_pk_fma_f16 v70, v7, v69, v70
	v_pk_fma_f16 v65, v6, v69, v65
	v_mul_u32_u24_e32 v69, 0x10001, v96
	v_pk_fma_f16 v72, v7, v69, v5
	v_pk_fma_f16 v69, v6, v69, v4
	ds_load_b128 v[4:7], v51 offset:656
	s_wait_dscnt 0x0
	v_lshrrev_b32_e32 v89, 16, v4
	v_lshrrev_b32_e32 v90, 16, v5
	v_and_b32_e32 v91, 0xffff, v4
	v_and_b32_e32 v92, 0xffff, v5
	v_lshrrev_b32_e32 v93, 16, v6
	v_lshrrev_b32_e32 v94, 16, v7
	v_and_b32_e32 v95, 0xffff, v6
	v_and_b32_e32 v96, 0xffff, v7
	ds_load_2addr_b64 v[4:7], v59 offset0:64 offset1:96
	v_mul_u32_u24_e32 v90, 0x10001, v90
	v_mul_u32_u24_e32 v89, 0x10001, v89
	s_wait_dscnt 0x0
	s_delay_alu instid0(VALU_DEP_2)
	v_pk_fma_f16 v68, v4, v90, v68
	v_pk_fma_f16 v66, v5, v90, v66
	v_mul_u32_u24_e32 v90, 0x10001, v91
	v_pk_fma_f16 v70, v5, v89, v70
	v_pk_fma_f16 v65, v4, v89, v65
	v_mul_u32_u24_e32 v89, 0x10001, v92
	s_delay_alu instid0(VALU_DEP_4) | instskip(SKIP_1) | instid1(VALU_DEP_3)
	v_pk_fma_f16 v67, v4, v90, v67
	v_pk_fma_f16 v71, v5, v90, v71
	v_pk_fma_f16 v4, v4, v89, v69
	v_mul_u32_u24_e32 v69, 0x10001, v94
	v_pk_fma_f16 v5, v5, v89, v72
	s_delay_alu instid0(VALU_DEP_2) | instskip(SKIP_2) | instid1(VALU_DEP_1)
	v_pk_fma_f16 v68, v6, v69, v68
	v_pk_fma_f16 v66, v7, v69, v66
	v_mul_u32_u24_e32 v69, 0x10001, v95
	v_pk_fma_f16 v71, v7, v69, v71
	v_pk_fma_f16 v67, v6, v69, v67
	v_mul_u32_u24_e32 v69, 0x10001, v93
	s_delay_alu instid0(VALU_DEP_1) | instskip(SKIP_2) | instid1(VALU_DEP_1)
	v_pk_fma_f16 v70, v7, v69, v70
	v_pk_fma_f16 v65, v6, v69, v65
	v_mul_u32_u24_e32 v69, 0x10001, v96
	v_pk_fma_f16 v72, v7, v69, v5
	v_pk_fma_f16 v69, v6, v69, v4
	ds_load_b128 v[4:7], v51 offset:672
	s_wait_dscnt 0x0
	v_lshrrev_b32_e32 v89, 16, v4
	v_lshrrev_b32_e32 v90, 16, v5
	v_and_b32_e32 v91, 0xffff, v4
	v_and_b32_e32 v92, 0xffff, v5
	v_lshrrev_b32_e32 v93, 16, v6
	v_lshrrev_b32_e32 v94, 16, v7
	v_and_b32_e32 v95, 0xffff, v6
	v_and_b32_e32 v96, 0xffff, v7
	ds_load_2addr_b64 v[4:7], v59 offset0:128 offset1:160
	;; [unrolled: 40-line block ×3, first 2 shown]
	v_mul_u32_u24_e32 v90, 0x10001, v90
	v_mul_u32_u24_e32 v89, 0x10001, v89
	s_wait_dscnt 0x0
	s_delay_alu instid0(VALU_DEP_2)
	v_pk_fma_f16 v68, v4, v90, v68
	v_pk_fma_f16 v66, v5, v90, v66
	v_mul_u32_u24_e32 v90, 0x10001, v91
	v_pk_fma_f16 v70, v5, v89, v70
	v_pk_fma_f16 v65, v4, v89, v65
	v_mul_u32_u24_e32 v89, 0x10001, v92
	s_delay_alu instid0(VALU_DEP_4) | instskip(SKIP_1) | instid1(VALU_DEP_3)
	v_pk_fma_f16 v67, v4, v90, v67
	v_pk_fma_f16 v71, v5, v90, v71
	;; [unrolled: 1-line block ×3, first 2 shown]
	v_mul_u32_u24_e32 v69, 0x10001, v94
	v_pk_fma_f16 v5, v5, v89, v72
	s_delay_alu instid0(VALU_DEP_2) | instskip(SKIP_2) | instid1(VALU_DEP_1)
	v_pk_fma_f16 v68, v6, v69, v68
	v_pk_fma_f16 v66, v7, v69, v66
	v_mul_u32_u24_e32 v69, 0x10001, v95
	v_pk_fma_f16 v71, v7, v69, v71
	v_pk_fma_f16 v67, v6, v69, v67
	v_mul_u32_u24_e32 v69, 0x10001, v93
	s_delay_alu instid0(VALU_DEP_1) | instskip(SKIP_2) | instid1(VALU_DEP_1)
	v_pk_fma_f16 v70, v7, v69, v70
	v_pk_fma_f16 v65, v6, v69, v65
	v_mul_u32_u24_e32 v69, 0x10001, v96
	v_pk_fma_f16 v72, v7, v69, v5
	v_pk_fma_f16 v69, v6, v69, v4
	ds_load_b128 v[4:7], v51 offset:704
	s_wait_dscnt 0x0
	v_lshrrev_b32_e32 v89, 16, v4
	v_lshrrev_b32_e32 v90, 16, v5
	v_and_b32_e32 v91, 0xffff, v4
	v_and_b32_e32 v92, 0xffff, v5
	v_lshrrev_b32_e32 v93, 16, v6
	v_lshrrev_b32_e32 v94, 16, v7
	v_and_b32_e32 v95, 0xffff, v6
	v_and_b32_e32 v96, 0xffff, v7
	ds_load_2addr_b64 v[4:7], v60 offset1:32
	v_mul_u32_u24_e32 v90, 0x10001, v90
	v_mul_u32_u24_e32 v89, 0x10001, v89
	s_wait_dscnt 0x0
	s_delay_alu instid0(VALU_DEP_2)
	v_pk_fma_f16 v68, v4, v90, v68
	v_pk_fma_f16 v66, v5, v90, v66
	v_mul_u32_u24_e32 v90, 0x10001, v91
	v_pk_fma_f16 v70, v5, v89, v70
	v_pk_fma_f16 v65, v4, v89, v65
	v_mul_u32_u24_e32 v89, 0x10001, v92
	s_delay_alu instid0(VALU_DEP_4) | instskip(SKIP_1) | instid1(VALU_DEP_3)
	v_pk_fma_f16 v67, v4, v90, v67
	v_pk_fma_f16 v71, v5, v90, v71
	v_pk_fma_f16 v4, v4, v89, v69
	v_mul_u32_u24_e32 v69, 0x10001, v94
	v_pk_fma_f16 v5, v5, v89, v72
	s_delay_alu instid0(VALU_DEP_2) | instskip(SKIP_2) | instid1(VALU_DEP_1)
	v_pk_fma_f16 v68, v6, v69, v68
	v_pk_fma_f16 v66, v7, v69, v66
	v_mul_u32_u24_e32 v69, 0x10001, v95
	v_pk_fma_f16 v71, v7, v69, v71
	v_pk_fma_f16 v67, v6, v69, v67
	v_mul_u32_u24_e32 v69, 0x10001, v93
	s_delay_alu instid0(VALU_DEP_1) | instskip(SKIP_2) | instid1(VALU_DEP_1)
	v_pk_fma_f16 v70, v7, v69, v70
	v_pk_fma_f16 v65, v6, v69, v65
	v_mul_u32_u24_e32 v69, 0x10001, v96
	v_pk_fma_f16 v72, v7, v69, v5
	v_pk_fma_f16 v69, v6, v69, v4
	ds_load_b128 v[4:7], v51 offset:720
	s_wait_dscnt 0x0
	v_lshrrev_b32_e32 v89, 16, v4
	v_lshrrev_b32_e32 v90, 16, v5
	v_and_b32_e32 v91, 0xffff, v4
	v_and_b32_e32 v92, 0xffff, v5
	v_lshrrev_b32_e32 v93, 16, v6
	v_lshrrev_b32_e32 v94, 16, v7
	v_and_b32_e32 v95, 0xffff, v6
	v_and_b32_e32 v96, 0xffff, v7
	ds_load_2addr_b64 v[4:7], v60 offset0:64 offset1:96
	v_mul_u32_u24_e32 v90, 0x10001, v90
	v_mul_u32_u24_e32 v89, 0x10001, v89
	s_wait_dscnt 0x0
	s_delay_alu instid0(VALU_DEP_2)
	v_pk_fma_f16 v68, v4, v90, v68
	v_pk_fma_f16 v66, v5, v90, v66
	v_mul_u32_u24_e32 v90, 0x10001, v91
	v_pk_fma_f16 v70, v5, v89, v70
	v_pk_fma_f16 v65, v4, v89, v65
	v_mul_u32_u24_e32 v89, 0x10001, v92
	s_delay_alu instid0(VALU_DEP_4) | instskip(SKIP_1) | instid1(VALU_DEP_3)
	v_pk_fma_f16 v67, v4, v90, v67
	v_pk_fma_f16 v71, v5, v90, v71
	v_pk_fma_f16 v4, v4, v89, v69
	v_mul_u32_u24_e32 v69, 0x10001, v94
	v_pk_fma_f16 v5, v5, v89, v72
	s_delay_alu instid0(VALU_DEP_2) | instskip(SKIP_2) | instid1(VALU_DEP_1)
	v_pk_fma_f16 v68, v6, v69, v68
	v_pk_fma_f16 v66, v7, v69, v66
	v_mul_u32_u24_e32 v69, 0x10001, v95
	v_pk_fma_f16 v71, v7, v69, v71
	v_pk_fma_f16 v67, v6, v69, v67
	v_mul_u32_u24_e32 v69, 0x10001, v93
	s_delay_alu instid0(VALU_DEP_1) | instskip(SKIP_2) | instid1(VALU_DEP_1)
	v_pk_fma_f16 v70, v7, v69, v70
	v_pk_fma_f16 v65, v6, v69, v65
	v_mul_u32_u24_e32 v69, 0x10001, v96
	v_pk_fma_f16 v72, v7, v69, v5
	v_pk_fma_f16 v69, v6, v69, v4
	ds_load_b128 v[4:7], v51 offset:736
	s_wait_dscnt 0x0
	v_lshrrev_b32_e32 v89, 16, v4
	v_lshrrev_b32_e32 v90, 16, v5
	v_and_b32_e32 v91, 0xffff, v4
	v_and_b32_e32 v92, 0xffff, v5
	v_lshrrev_b32_e32 v93, 16, v6
	v_lshrrev_b32_e32 v94, 16, v7
	v_and_b32_e32 v95, 0xffff, v6
	v_and_b32_e32 v96, 0xffff, v7
	ds_load_2addr_b64 v[4:7], v60 offset0:128 offset1:160
	;; [unrolled: 40-line block ×3, first 2 shown]
	v_mul_u32_u24_e32 v90, 0x10001, v90
	v_mul_u32_u24_e32 v89, 0x10001, v89
	s_wait_dscnt 0x0
	s_delay_alu instid0(VALU_DEP_2)
	v_pk_fma_f16 v68, v4, v90, v68
	v_pk_fma_f16 v66, v5, v90, v66
	v_mul_u32_u24_e32 v90, 0x10001, v91
	v_pk_fma_f16 v70, v5, v89, v70
	v_pk_fma_f16 v65, v4, v89, v65
	v_mul_u32_u24_e32 v89, 0x10001, v92
	s_delay_alu instid0(VALU_DEP_4) | instskip(SKIP_1) | instid1(VALU_DEP_3)
	v_pk_fma_f16 v67, v4, v90, v67
	v_pk_fma_f16 v71, v5, v90, v71
	;; [unrolled: 1-line block ×3, first 2 shown]
	v_mul_u32_u24_e32 v69, 0x10001, v94
	v_pk_fma_f16 v5, v5, v89, v72
	s_delay_alu instid0(VALU_DEP_2) | instskip(SKIP_2) | instid1(VALU_DEP_1)
	v_pk_fma_f16 v68, v6, v69, v68
	v_pk_fma_f16 v66, v7, v69, v66
	v_mul_u32_u24_e32 v69, 0x10001, v95
	v_pk_fma_f16 v71, v7, v69, v71
	v_pk_fma_f16 v67, v6, v69, v67
	v_mul_u32_u24_e32 v69, 0x10001, v93
	s_delay_alu instid0(VALU_DEP_1) | instskip(SKIP_2) | instid1(VALU_DEP_1)
	v_pk_fma_f16 v70, v7, v69, v70
	v_pk_fma_f16 v65, v6, v69, v65
	v_mul_u32_u24_e32 v69, 0x10001, v96
	v_pk_fma_f16 v72, v7, v69, v5
	v_pk_fma_f16 v69, v6, v69, v4
	ds_load_b128 v[4:7], v51 offset:768
	s_wait_dscnt 0x0
	v_lshrrev_b32_e32 v89, 16, v4
	v_lshrrev_b32_e32 v90, 16, v5
	v_and_b32_e32 v91, 0xffff, v4
	v_and_b32_e32 v92, 0xffff, v5
	v_lshrrev_b32_e32 v93, 16, v6
	v_lshrrev_b32_e32 v94, 16, v7
	v_and_b32_e32 v95, 0xffff, v6
	v_and_b32_e32 v96, 0xffff, v7
	ds_load_2addr_b64 v[4:7], v61 offset1:32
	v_mul_u32_u24_e32 v90, 0x10001, v90
	v_mul_u32_u24_e32 v89, 0x10001, v89
	s_wait_dscnt 0x0
	s_delay_alu instid0(VALU_DEP_2)
	v_pk_fma_f16 v68, v4, v90, v68
	v_pk_fma_f16 v66, v5, v90, v66
	v_mul_u32_u24_e32 v90, 0x10001, v91
	v_pk_fma_f16 v70, v5, v89, v70
	v_pk_fma_f16 v65, v4, v89, v65
	v_mul_u32_u24_e32 v89, 0x10001, v92
	s_delay_alu instid0(VALU_DEP_4) | instskip(SKIP_1) | instid1(VALU_DEP_3)
	v_pk_fma_f16 v67, v4, v90, v67
	v_pk_fma_f16 v71, v5, v90, v71
	v_pk_fma_f16 v4, v4, v89, v69
	v_mul_u32_u24_e32 v69, 0x10001, v94
	v_pk_fma_f16 v5, v5, v89, v72
	s_delay_alu instid0(VALU_DEP_2) | instskip(SKIP_2) | instid1(VALU_DEP_1)
	v_pk_fma_f16 v68, v6, v69, v68
	v_pk_fma_f16 v66, v7, v69, v66
	v_mul_u32_u24_e32 v69, 0x10001, v95
	v_pk_fma_f16 v71, v7, v69, v71
	v_pk_fma_f16 v67, v6, v69, v67
	v_mul_u32_u24_e32 v69, 0x10001, v93
	s_delay_alu instid0(VALU_DEP_1) | instskip(SKIP_2) | instid1(VALU_DEP_1)
	v_pk_fma_f16 v70, v7, v69, v70
	v_pk_fma_f16 v65, v6, v69, v65
	v_mul_u32_u24_e32 v69, 0x10001, v96
	v_pk_fma_f16 v72, v7, v69, v5
	v_pk_fma_f16 v69, v6, v69, v4
	ds_load_b128 v[4:7], v51 offset:784
	s_wait_dscnt 0x0
	v_lshrrev_b32_e32 v89, 16, v4
	v_lshrrev_b32_e32 v90, 16, v5
	v_and_b32_e32 v91, 0xffff, v4
	v_and_b32_e32 v92, 0xffff, v5
	v_lshrrev_b32_e32 v93, 16, v6
	v_lshrrev_b32_e32 v94, 16, v7
	v_and_b32_e32 v95, 0xffff, v6
	v_and_b32_e32 v96, 0xffff, v7
	ds_load_2addr_b64 v[4:7], v61 offset0:64 offset1:96
	v_mul_u32_u24_e32 v90, 0x10001, v90
	v_mul_u32_u24_e32 v89, 0x10001, v89
	s_wait_dscnt 0x0
	s_delay_alu instid0(VALU_DEP_2)
	v_pk_fma_f16 v68, v4, v90, v68
	v_pk_fma_f16 v66, v5, v90, v66
	v_mul_u32_u24_e32 v90, 0x10001, v91
	v_pk_fma_f16 v70, v5, v89, v70
	v_pk_fma_f16 v65, v4, v89, v65
	v_mul_u32_u24_e32 v89, 0x10001, v92
	s_delay_alu instid0(VALU_DEP_4) | instskip(SKIP_1) | instid1(VALU_DEP_3)
	v_pk_fma_f16 v67, v4, v90, v67
	v_pk_fma_f16 v71, v5, v90, v71
	v_pk_fma_f16 v4, v4, v89, v69
	v_mul_u32_u24_e32 v69, 0x10001, v94
	v_pk_fma_f16 v5, v5, v89, v72
	s_delay_alu instid0(VALU_DEP_2) | instskip(SKIP_2) | instid1(VALU_DEP_1)
	v_pk_fma_f16 v68, v6, v69, v68
	v_pk_fma_f16 v66, v7, v69, v66
	v_mul_u32_u24_e32 v69, 0x10001, v95
	v_pk_fma_f16 v71, v7, v69, v71
	v_pk_fma_f16 v67, v6, v69, v67
	v_mul_u32_u24_e32 v69, 0x10001, v93
	s_delay_alu instid0(VALU_DEP_1) | instskip(SKIP_2) | instid1(VALU_DEP_1)
	v_pk_fma_f16 v70, v7, v69, v70
	v_pk_fma_f16 v65, v6, v69, v65
	v_mul_u32_u24_e32 v69, 0x10001, v96
	v_pk_fma_f16 v72, v7, v69, v5
	v_pk_fma_f16 v69, v6, v69, v4
	ds_load_b128 v[4:7], v51 offset:800
	s_wait_dscnt 0x0
	v_lshrrev_b32_e32 v89, 16, v4
	v_lshrrev_b32_e32 v90, 16, v5
	v_and_b32_e32 v91, 0xffff, v4
	v_and_b32_e32 v92, 0xffff, v5
	v_lshrrev_b32_e32 v93, 16, v6
	v_lshrrev_b32_e32 v94, 16, v7
	v_and_b32_e32 v95, 0xffff, v6
	v_and_b32_e32 v96, 0xffff, v7
	ds_load_2addr_b64 v[4:7], v61 offset0:128 offset1:160
	;; [unrolled: 40-line block ×3, first 2 shown]
	v_mul_u32_u24_e32 v90, 0x10001, v90
	v_mul_u32_u24_e32 v89, 0x10001, v89
	s_wait_dscnt 0x0
	s_delay_alu instid0(VALU_DEP_2)
	v_pk_fma_f16 v68, v4, v90, v68
	v_pk_fma_f16 v66, v5, v90, v66
	v_mul_u32_u24_e32 v90, 0x10001, v91
	v_pk_fma_f16 v70, v5, v89, v70
	v_pk_fma_f16 v65, v4, v89, v65
	v_mul_u32_u24_e32 v89, 0x10001, v92
	s_delay_alu instid0(VALU_DEP_4) | instskip(SKIP_1) | instid1(VALU_DEP_3)
	v_pk_fma_f16 v67, v4, v90, v67
	v_pk_fma_f16 v71, v5, v90, v71
	;; [unrolled: 1-line block ×3, first 2 shown]
	v_mul_u32_u24_e32 v69, 0x10001, v94
	v_pk_fma_f16 v5, v5, v89, v72
	s_delay_alu instid0(VALU_DEP_2) | instskip(SKIP_2) | instid1(VALU_DEP_1)
	v_pk_fma_f16 v68, v6, v69, v68
	v_pk_fma_f16 v66, v7, v69, v66
	v_mul_u32_u24_e32 v69, 0x10001, v95
	v_pk_fma_f16 v71, v7, v69, v71
	v_pk_fma_f16 v67, v6, v69, v67
	v_mul_u32_u24_e32 v69, 0x10001, v93
	s_delay_alu instid0(VALU_DEP_1) | instskip(SKIP_2) | instid1(VALU_DEP_1)
	v_pk_fma_f16 v70, v7, v69, v70
	v_pk_fma_f16 v65, v6, v69, v65
	v_mul_u32_u24_e32 v69, 0x10001, v96
	v_pk_fma_f16 v72, v7, v69, v5
	v_pk_fma_f16 v69, v6, v69, v4
	ds_load_b128 v[4:7], v51 offset:832
	s_wait_dscnt 0x0
	v_lshrrev_b32_e32 v89, 16, v4
	v_lshrrev_b32_e32 v90, 16, v5
	v_and_b32_e32 v91, 0xffff, v4
	v_and_b32_e32 v92, 0xffff, v5
	v_lshrrev_b32_e32 v93, 16, v6
	v_lshrrev_b32_e32 v94, 16, v7
	v_and_b32_e32 v95, 0xffff, v6
	v_and_b32_e32 v96, 0xffff, v7
	ds_load_2addr_b64 v[4:7], v62 offset1:32
	v_mul_u32_u24_e32 v90, 0x10001, v90
	v_mul_u32_u24_e32 v89, 0x10001, v89
	s_wait_dscnt 0x0
	s_delay_alu instid0(VALU_DEP_2)
	v_pk_fma_f16 v68, v4, v90, v68
	v_pk_fma_f16 v66, v5, v90, v66
	v_mul_u32_u24_e32 v90, 0x10001, v91
	v_pk_fma_f16 v70, v5, v89, v70
	v_pk_fma_f16 v65, v4, v89, v65
	v_mul_u32_u24_e32 v89, 0x10001, v92
	s_delay_alu instid0(VALU_DEP_4) | instskip(SKIP_1) | instid1(VALU_DEP_3)
	v_pk_fma_f16 v67, v4, v90, v67
	v_pk_fma_f16 v71, v5, v90, v71
	v_pk_fma_f16 v4, v4, v89, v69
	v_mul_u32_u24_e32 v69, 0x10001, v94
	v_pk_fma_f16 v5, v5, v89, v72
	s_delay_alu instid0(VALU_DEP_2) | instskip(SKIP_2) | instid1(VALU_DEP_1)
	v_pk_fma_f16 v68, v6, v69, v68
	v_pk_fma_f16 v66, v7, v69, v66
	v_mul_u32_u24_e32 v69, 0x10001, v95
	v_pk_fma_f16 v71, v7, v69, v71
	v_pk_fma_f16 v67, v6, v69, v67
	v_mul_u32_u24_e32 v69, 0x10001, v93
	s_delay_alu instid0(VALU_DEP_1) | instskip(SKIP_2) | instid1(VALU_DEP_1)
	v_pk_fma_f16 v70, v7, v69, v70
	v_pk_fma_f16 v65, v6, v69, v65
	v_mul_u32_u24_e32 v69, 0x10001, v96
	v_pk_fma_f16 v72, v7, v69, v5
	v_pk_fma_f16 v69, v6, v69, v4
	ds_load_b128 v[4:7], v51 offset:848
	s_wait_dscnt 0x0
	v_lshrrev_b32_e32 v89, 16, v4
	v_lshrrev_b32_e32 v90, 16, v5
	v_and_b32_e32 v91, 0xffff, v4
	v_and_b32_e32 v92, 0xffff, v5
	v_lshrrev_b32_e32 v93, 16, v6
	v_lshrrev_b32_e32 v94, 16, v7
	v_and_b32_e32 v95, 0xffff, v6
	v_and_b32_e32 v96, 0xffff, v7
	ds_load_2addr_b64 v[4:7], v62 offset0:64 offset1:96
	v_mul_u32_u24_e32 v90, 0x10001, v90
	v_mul_u32_u24_e32 v89, 0x10001, v89
	s_wait_dscnt 0x0
	s_delay_alu instid0(VALU_DEP_2)
	v_pk_fma_f16 v68, v4, v90, v68
	v_pk_fma_f16 v66, v5, v90, v66
	v_mul_u32_u24_e32 v90, 0x10001, v91
	v_pk_fma_f16 v70, v5, v89, v70
	v_pk_fma_f16 v65, v4, v89, v65
	v_mul_u32_u24_e32 v89, 0x10001, v92
	s_delay_alu instid0(VALU_DEP_4) | instskip(SKIP_1) | instid1(VALU_DEP_3)
	v_pk_fma_f16 v67, v4, v90, v67
	v_pk_fma_f16 v71, v5, v90, v71
	v_pk_fma_f16 v4, v4, v89, v69
	v_mul_u32_u24_e32 v69, 0x10001, v94
	v_pk_fma_f16 v5, v5, v89, v72
	s_delay_alu instid0(VALU_DEP_2) | instskip(SKIP_2) | instid1(VALU_DEP_1)
	v_pk_fma_f16 v68, v6, v69, v68
	v_pk_fma_f16 v66, v7, v69, v66
	v_mul_u32_u24_e32 v69, 0x10001, v95
	v_pk_fma_f16 v71, v7, v69, v71
	v_pk_fma_f16 v67, v6, v69, v67
	v_mul_u32_u24_e32 v69, 0x10001, v93
	s_delay_alu instid0(VALU_DEP_1) | instskip(SKIP_2) | instid1(VALU_DEP_1)
	v_pk_fma_f16 v70, v7, v69, v70
	v_pk_fma_f16 v65, v6, v69, v65
	v_mul_u32_u24_e32 v69, 0x10001, v96
	v_pk_fma_f16 v72, v7, v69, v5
	v_pk_fma_f16 v69, v6, v69, v4
	ds_load_b128 v[4:7], v51 offset:864
	s_wait_dscnt 0x0
	v_lshrrev_b32_e32 v89, 16, v4
	v_lshrrev_b32_e32 v90, 16, v5
	v_and_b32_e32 v91, 0xffff, v4
	v_and_b32_e32 v92, 0xffff, v5
	v_lshrrev_b32_e32 v93, 16, v6
	v_lshrrev_b32_e32 v94, 16, v7
	v_and_b32_e32 v95, 0xffff, v6
	v_and_b32_e32 v96, 0xffff, v7
	ds_load_2addr_b64 v[4:7], v62 offset0:128 offset1:160
	;; [unrolled: 40-line block ×3, first 2 shown]
	v_mul_u32_u24_e32 v90, 0x10001, v90
	v_mul_u32_u24_e32 v89, 0x10001, v89
	s_wait_dscnt 0x0
	s_delay_alu instid0(VALU_DEP_2)
	v_pk_fma_f16 v68, v4, v90, v68
	v_pk_fma_f16 v66, v5, v90, v66
	v_mul_u32_u24_e32 v90, 0x10001, v91
	v_pk_fma_f16 v70, v5, v89, v70
	v_pk_fma_f16 v65, v4, v89, v65
	v_mul_u32_u24_e32 v89, 0x10001, v92
	s_delay_alu instid0(VALU_DEP_4) | instskip(SKIP_1) | instid1(VALU_DEP_3)
	v_pk_fma_f16 v67, v4, v90, v67
	v_pk_fma_f16 v71, v5, v90, v71
	;; [unrolled: 1-line block ×3, first 2 shown]
	v_mul_u32_u24_e32 v69, 0x10001, v94
	v_pk_fma_f16 v5, v5, v89, v72
	s_delay_alu instid0(VALU_DEP_2) | instskip(SKIP_2) | instid1(VALU_DEP_1)
	v_pk_fma_f16 v68, v6, v69, v68
	v_pk_fma_f16 v66, v7, v69, v66
	v_mul_u32_u24_e32 v69, 0x10001, v95
	v_pk_fma_f16 v71, v7, v69, v71
	v_pk_fma_f16 v67, v6, v69, v67
	v_mul_u32_u24_e32 v69, 0x10001, v93
	s_delay_alu instid0(VALU_DEP_1) | instskip(SKIP_2) | instid1(VALU_DEP_1)
	v_pk_fma_f16 v70, v7, v69, v70
	v_pk_fma_f16 v65, v6, v69, v65
	v_mul_u32_u24_e32 v69, 0x10001, v96
	v_pk_fma_f16 v72, v7, v69, v5
	v_pk_fma_f16 v69, v6, v69, v4
	ds_load_b128 v[4:7], v51 offset:896
	s_wait_dscnt 0x0
	v_lshrrev_b32_e32 v89, 16, v4
	v_lshrrev_b32_e32 v90, 16, v5
	v_and_b32_e32 v91, 0xffff, v4
	v_and_b32_e32 v92, 0xffff, v5
	v_lshrrev_b32_e32 v93, 16, v6
	v_lshrrev_b32_e32 v94, 16, v7
	v_and_b32_e32 v95, 0xffff, v6
	v_and_b32_e32 v96, 0xffff, v7
	ds_load_2addr_b64 v[4:7], v63 offset1:32
	v_mul_u32_u24_e32 v90, 0x10001, v90
	v_mul_u32_u24_e32 v89, 0x10001, v89
	s_wait_dscnt 0x0
	s_delay_alu instid0(VALU_DEP_2)
	v_pk_fma_f16 v68, v4, v90, v68
	v_pk_fma_f16 v66, v5, v90, v66
	v_mul_u32_u24_e32 v90, 0x10001, v91
	v_pk_fma_f16 v70, v5, v89, v70
	v_pk_fma_f16 v65, v4, v89, v65
	v_mul_u32_u24_e32 v89, 0x10001, v92
	s_delay_alu instid0(VALU_DEP_4) | instskip(SKIP_1) | instid1(VALU_DEP_3)
	v_pk_fma_f16 v67, v4, v90, v67
	v_pk_fma_f16 v71, v5, v90, v71
	v_pk_fma_f16 v4, v4, v89, v69
	v_mul_u32_u24_e32 v69, 0x10001, v94
	v_pk_fma_f16 v5, v5, v89, v72
	s_delay_alu instid0(VALU_DEP_2) | instskip(SKIP_2) | instid1(VALU_DEP_1)
	v_pk_fma_f16 v68, v6, v69, v68
	v_pk_fma_f16 v66, v7, v69, v66
	v_mul_u32_u24_e32 v69, 0x10001, v95
	v_pk_fma_f16 v71, v7, v69, v71
	v_pk_fma_f16 v67, v6, v69, v67
	v_mul_u32_u24_e32 v69, 0x10001, v93
	s_delay_alu instid0(VALU_DEP_1) | instskip(SKIP_2) | instid1(VALU_DEP_1)
	v_pk_fma_f16 v70, v7, v69, v70
	v_pk_fma_f16 v65, v6, v69, v65
	v_mul_u32_u24_e32 v69, 0x10001, v96
	v_pk_fma_f16 v72, v7, v69, v5
	v_pk_fma_f16 v69, v6, v69, v4
	ds_load_b128 v[4:7], v51 offset:912
	s_wait_dscnt 0x0
	v_lshrrev_b32_e32 v89, 16, v4
	v_lshrrev_b32_e32 v90, 16, v5
	v_and_b32_e32 v91, 0xffff, v4
	v_and_b32_e32 v92, 0xffff, v5
	v_lshrrev_b32_e32 v93, 16, v6
	v_lshrrev_b32_e32 v94, 16, v7
	v_and_b32_e32 v95, 0xffff, v6
	v_and_b32_e32 v96, 0xffff, v7
	ds_load_2addr_b64 v[4:7], v63 offset0:64 offset1:96
	v_mul_u32_u24_e32 v90, 0x10001, v90
	v_mul_u32_u24_e32 v89, 0x10001, v89
	s_wait_dscnt 0x0
	s_delay_alu instid0(VALU_DEP_2)
	v_pk_fma_f16 v68, v4, v90, v68
	v_pk_fma_f16 v66, v5, v90, v66
	v_mul_u32_u24_e32 v90, 0x10001, v91
	v_pk_fma_f16 v70, v5, v89, v70
	v_pk_fma_f16 v65, v4, v89, v65
	v_mul_u32_u24_e32 v89, 0x10001, v92
	s_delay_alu instid0(VALU_DEP_4) | instskip(SKIP_1) | instid1(VALU_DEP_3)
	v_pk_fma_f16 v67, v4, v90, v67
	v_pk_fma_f16 v71, v5, v90, v71
	v_pk_fma_f16 v4, v4, v89, v69
	v_mul_u32_u24_e32 v69, 0x10001, v94
	v_pk_fma_f16 v5, v5, v89, v72
	s_delay_alu instid0(VALU_DEP_2) | instskip(SKIP_2) | instid1(VALU_DEP_1)
	v_pk_fma_f16 v68, v6, v69, v68
	v_pk_fma_f16 v66, v7, v69, v66
	v_mul_u32_u24_e32 v69, 0x10001, v95
	v_pk_fma_f16 v71, v7, v69, v71
	v_pk_fma_f16 v67, v6, v69, v67
	v_mul_u32_u24_e32 v69, 0x10001, v93
	s_delay_alu instid0(VALU_DEP_1) | instskip(SKIP_2) | instid1(VALU_DEP_1)
	v_pk_fma_f16 v70, v7, v69, v70
	v_pk_fma_f16 v65, v6, v69, v65
	v_mul_u32_u24_e32 v69, 0x10001, v96
	v_pk_fma_f16 v72, v7, v69, v5
	v_pk_fma_f16 v69, v6, v69, v4
	ds_load_b128 v[4:7], v51 offset:928
	s_wait_dscnt 0x0
	v_lshrrev_b32_e32 v89, 16, v4
	v_lshrrev_b32_e32 v90, 16, v5
	v_and_b32_e32 v91, 0xffff, v4
	v_and_b32_e32 v92, 0xffff, v5
	v_lshrrev_b32_e32 v93, 16, v6
	v_lshrrev_b32_e32 v94, 16, v7
	v_and_b32_e32 v95, 0xffff, v6
	v_and_b32_e32 v96, 0xffff, v7
	ds_load_2addr_b64 v[4:7], v63 offset0:128 offset1:160
	;; [unrolled: 40-line block ×3, first 2 shown]
	v_mul_u32_u24_e32 v90, 0x10001, v90
	v_mul_u32_u24_e32 v89, 0x10001, v89
	s_wait_dscnt 0x0
	s_delay_alu instid0(VALU_DEP_2)
	v_pk_fma_f16 v68, v4, v90, v68
	v_pk_fma_f16 v66, v5, v90, v66
	v_mul_u32_u24_e32 v90, 0x10001, v91
	v_pk_fma_f16 v70, v5, v89, v70
	v_pk_fma_f16 v65, v4, v89, v65
	v_mul_u32_u24_e32 v89, 0x10001, v92
	s_delay_alu instid0(VALU_DEP_4) | instskip(SKIP_1) | instid1(VALU_DEP_3)
	v_pk_fma_f16 v67, v4, v90, v67
	v_pk_fma_f16 v71, v5, v90, v71
	;; [unrolled: 1-line block ×3, first 2 shown]
	v_mul_u32_u24_e32 v69, 0x10001, v94
	v_pk_fma_f16 v5, v5, v89, v72
	s_delay_alu instid0(VALU_DEP_2) | instskip(SKIP_2) | instid1(VALU_DEP_1)
	v_pk_fma_f16 v68, v6, v69, v68
	v_pk_fma_f16 v66, v7, v69, v66
	v_mul_u32_u24_e32 v69, 0x10001, v95
	v_pk_fma_f16 v71, v7, v69, v71
	v_pk_fma_f16 v67, v6, v69, v67
	v_mul_u32_u24_e32 v69, 0x10001, v93
	s_delay_alu instid0(VALU_DEP_1) | instskip(SKIP_2) | instid1(VALU_DEP_1)
	v_pk_fma_f16 v70, v7, v69, v70
	v_pk_fma_f16 v65, v6, v69, v65
	v_mul_u32_u24_e32 v69, 0x10001, v96
	v_pk_fma_f16 v72, v7, v69, v5
	v_pk_fma_f16 v69, v6, v69, v4
	ds_load_b128 v[4:7], v51 offset:960
	s_wait_dscnt 0x0
	v_lshrrev_b32_e32 v89, 16, v4
	v_lshrrev_b32_e32 v90, 16, v5
	v_and_b32_e32 v91, 0xffff, v4
	v_and_b32_e32 v92, 0xffff, v5
	v_lshrrev_b32_e32 v93, 16, v6
	v_lshrrev_b32_e32 v94, 16, v7
	v_and_b32_e32 v95, 0xffff, v6
	v_and_b32_e32 v96, 0xffff, v7
	ds_load_2addr_b64 v[4:7], v64 offset1:32
	v_mul_u32_u24_e32 v90, 0x10001, v90
	v_mul_u32_u24_e32 v89, 0x10001, v89
	s_wait_dscnt 0x0
	s_delay_alu instid0(VALU_DEP_2)
	v_pk_fma_f16 v68, v4, v90, v68
	v_pk_fma_f16 v66, v5, v90, v66
	v_mul_u32_u24_e32 v90, 0x10001, v91
	v_pk_fma_f16 v70, v5, v89, v70
	v_pk_fma_f16 v65, v4, v89, v65
	v_mul_u32_u24_e32 v89, 0x10001, v92
	s_delay_alu instid0(VALU_DEP_4) | instskip(SKIP_1) | instid1(VALU_DEP_3)
	v_pk_fma_f16 v67, v4, v90, v67
	v_pk_fma_f16 v71, v5, v90, v71
	v_pk_fma_f16 v4, v4, v89, v69
	v_mul_u32_u24_e32 v69, 0x10001, v94
	v_pk_fma_f16 v5, v5, v89, v72
	s_delay_alu instid0(VALU_DEP_2) | instskip(SKIP_2) | instid1(VALU_DEP_1)
	v_pk_fma_f16 v68, v6, v69, v68
	v_pk_fma_f16 v66, v7, v69, v66
	v_mul_u32_u24_e32 v69, 0x10001, v95
	v_pk_fma_f16 v71, v7, v69, v71
	v_pk_fma_f16 v67, v6, v69, v67
	v_mul_u32_u24_e32 v69, 0x10001, v93
	s_delay_alu instid0(VALU_DEP_1) | instskip(SKIP_2) | instid1(VALU_DEP_1)
	v_pk_fma_f16 v70, v7, v69, v70
	v_pk_fma_f16 v65, v6, v69, v65
	v_mul_u32_u24_e32 v69, 0x10001, v96
	v_pk_fma_f16 v72, v7, v69, v5
	v_pk_fma_f16 v69, v6, v69, v4
	ds_load_b128 v[4:7], v51 offset:976
	s_wait_dscnt 0x0
	v_lshrrev_b32_e32 v89, 16, v4
	v_lshrrev_b32_e32 v90, 16, v5
	v_and_b32_e32 v91, 0xffff, v4
	v_and_b32_e32 v92, 0xffff, v5
	v_lshrrev_b32_e32 v93, 16, v6
	v_lshrrev_b32_e32 v94, 16, v7
	v_and_b32_e32 v95, 0xffff, v6
	v_and_b32_e32 v96, 0xffff, v7
	ds_load_2addr_b64 v[4:7], v64 offset0:64 offset1:96
	v_mul_u32_u24_e32 v90, 0x10001, v90
	v_mul_u32_u24_e32 v89, 0x10001, v89
	s_wait_dscnt 0x0
	s_delay_alu instid0(VALU_DEP_2)
	v_pk_fma_f16 v68, v4, v90, v68
	v_pk_fma_f16 v66, v5, v90, v66
	v_mul_u32_u24_e32 v90, 0x10001, v91
	v_pk_fma_f16 v70, v5, v89, v70
	v_pk_fma_f16 v65, v4, v89, v65
	v_mul_u32_u24_e32 v89, 0x10001, v92
	s_delay_alu instid0(VALU_DEP_4) | instskip(SKIP_1) | instid1(VALU_DEP_3)
	v_pk_fma_f16 v67, v4, v90, v67
	v_pk_fma_f16 v71, v5, v90, v71
	v_pk_fma_f16 v4, v4, v89, v69
	v_mul_u32_u24_e32 v69, 0x10001, v94
	v_pk_fma_f16 v5, v5, v89, v72
	s_delay_alu instid0(VALU_DEP_2) | instskip(SKIP_2) | instid1(VALU_DEP_1)
	v_pk_fma_f16 v68, v6, v69, v68
	v_pk_fma_f16 v66, v7, v69, v66
	v_mul_u32_u24_e32 v69, 0x10001, v95
	v_pk_fma_f16 v71, v7, v69, v71
	v_pk_fma_f16 v67, v6, v69, v67
	v_mul_u32_u24_e32 v69, 0x10001, v93
	s_delay_alu instid0(VALU_DEP_1) | instskip(SKIP_2) | instid1(VALU_DEP_1)
	v_pk_fma_f16 v70, v7, v69, v70
	v_pk_fma_f16 v65, v6, v69, v65
	v_mul_u32_u24_e32 v69, 0x10001, v96
	v_pk_fma_f16 v72, v7, v69, v5
	v_pk_fma_f16 v69, v6, v69, v4
	ds_load_b128 v[4:7], v51 offset:992
	s_wait_dscnt 0x0
	v_lshrrev_b32_e32 v89, 16, v4
	v_lshrrev_b32_e32 v90, 16, v5
	v_and_b32_e32 v91, 0xffff, v4
	v_and_b32_e32 v92, 0xffff, v5
	v_lshrrev_b32_e32 v93, 16, v6
	v_lshrrev_b32_e32 v94, 16, v7
	v_and_b32_e32 v95, 0xffff, v6
	v_and_b32_e32 v96, 0xffff, v7
	ds_load_2addr_b64 v[4:7], v64 offset0:128 offset1:160
	;; [unrolled: 40-line block ×3, first 2 shown]
	v_mul_u32_u24_e32 v90, 0x10001, v90
	s_wait_loadcnt_dscnt 0x0
	s_barrier_signal -1
	s_barrier_wait -1
	global_inv scope:SCOPE_SE
	s_load_b32 s2, s[40:41], 0x4
	v_pk_fma_f16 v68, v4, v90, v68
	v_pk_fma_f16 v90, v5, v90, v66
	v_mul_u32_u24_e32 v66, 0x10001, v91
	s_wait_kmcnt 0x0
	s_lshl_b32 s2, s2, 7
	s_delay_alu instid0(VALU_DEP_1)
	v_pk_fma_f16 v71, v5, v66, v71
	v_pk_fma_f16 v67, v4, v66, v67
	v_mul_u32_u24_e32 v66, 0x10001, v89
	s_wait_alu 0xfffe
	s_add_co_i32 s14, s2, s14
	s_wait_alu 0xfffe
	s_cmp_ge_i32 s14, s34
	v_pk_fma_f16 v89, v4, v66, v65
	v_mul_u32_u24_e32 v65, 0x10001, v92
	v_pk_fma_f16 v70, v5, v66, v70
	s_delay_alu instid0(VALU_DEP_2) | instskip(SKIP_2) | instid1(VALU_DEP_1)
	v_pk_fma_f16 v5, v5, v65, v72
	v_pk_fma_f16 v4, v4, v65, v69
	v_mul_u32_u24_e32 v65, 0x10001, v94
	v_pk_fma_f16 v66, v6, v65, v68
	v_mul_u32_u24_e32 v68, 0x10001, v95
	v_pk_fma_f16 v65, v7, v65, v90
	s_delay_alu instid0(VALU_DEP_2) | instskip(SKIP_3) | instid1(VALU_DEP_2)
	v_pk_fma_f16 v72, v7, v68, v71
	v_pk_fma_f16 v71, v6, v68, v67
	v_mul_u32_u24_e32 v67, 0x10001, v93
	v_mul_u32_u24_e32 v68, 0x10001, v96
	v_pk_fma_f16 v69, v7, v67, v70
	v_pk_fma_f16 v70, v6, v67, v89
	s_delay_alu instid0(VALU_DEP_3) | instskip(SKIP_2) | instid1(VALU_DEP_1)
	v_pk_fma_f16 v67, v7, v68, v5
	v_pk_fma_f16 v68, v6, v68, v4
	v_dual_add_f32 v4, v31, v76 :: v_dual_mov_b32 v5, v44
	v_add_f32_e32 v4, v80, v4
	s_delay_alu instid0(VALU_DEP_1) | instskip(SKIP_1) | instid1(VALU_DEP_2)
	v_add_f32_e32 v44, v84, v4
	v_add_f32_e32 v4, v30, v75
	v_fmac_f32_e32 v44, v5, v85
	s_delay_alu instid0(VALU_DEP_2) | instskip(SKIP_1) | instid1(VALU_DEP_2)
	v_add_f32_e32 v4, v79, v4
	v_mov_b32_e32 v5, v43
	v_dual_add_f32 v43, v83, v4 :: v_dual_add_f32 v4, v28, v74
	s_delay_alu instid0(VALU_DEP_1) | instskip(SKIP_1) | instid1(VALU_DEP_2)
	v_dual_fmac_f32 v43, v5, v87 :: v_dual_add_f32 v4, v78, v4
	v_mov_b32_e32 v5, v42
	v_add_f32_e32 v42, v82, v4
	v_add_f32_e32 v4, v29, v73
	s_delay_alu instid0(VALU_DEP_2) | instskip(NEXT) | instid1(VALU_DEP_2)
	v_fmac_f32_e32 v42, v5, v88
	v_add_f32_e32 v4, v77, v4
	v_mov_b32_e32 v5, v41
	s_delay_alu instid0(VALU_DEP_2) | instskip(NEXT) | instid1(VALU_DEP_1)
	v_add_f32_e32 v4, v81, v4
	v_mov_b32_e32 v41, v4
	s_delay_alu instid0(VALU_DEP_1)
	v_fmac_f32_e32 v41, v5, v86
	s_cbranch_scc0 .LBB21_9
; %bb.10:
	v_mov_b32_e32 v4, v34
.LBB21_11:
	v_cmp_lt_i32_e32 vcc_lo, v40, v35
	s_cmp_lg_u64 s[12:13], 0
	s_cselect_b32 s2, -1, 0
	s_cmp_eq_u32 s10, 0
	s_wait_alu 0xfffd
	v_cndmask_b32_e32 v5, v4, v40, vcc_lo
	v_cmp_lt_i32_e32 vcc_lo, v39, v35
	s_cselect_b32 s3, -1, 0
	s_wait_alu 0xfffe
	s_and_b32 s2, s3, s2
	v_lshlrev_b32_e32 v5, 2, v5
	ds_bpermute_b32 v6, v5, v44
	s_wait_dscnt 0x0
	v_add_f32_e32 v6, v44, v6
	ds_bpermute_b32 v8, v5, v42
	s_wait_alu 0xfffd
	v_cndmask_b32_e32 v9, v4, v39, vcc_lo
	ds_bpermute_b32 v7, v5, v43
	ds_bpermute_b32 v5, v5, v41
	v_cmp_lt_i32_e32 vcc_lo, v38, v35
	s_wait_alu 0xfffd
	v_cndmask_b32_e32 v15, v4, v38, vcc_lo
	v_cmp_lt_i32_e32 vcc_lo, v37, v35
	s_wait_dscnt 0x2
	s_delay_alu instid0(VALU_DEP_2)
	v_dual_add_f32 v8, v42, v8 :: v_dual_lshlrev_b32 v15, 2, v15
	v_lshlrev_b32_e32 v9, 2, v9
	ds_bpermute_b32 v14, v9, v8
	s_wait_dscnt 0x0
	v_add_f32_e32 v8, v8, v14
	ds_bpermute_b32 v10, v9, v6
	s_wait_dscnt 0x0
	v_dual_add_f32 v5, v41, v5 :: v_dual_add_f32 v6, v6, v10
	v_add_f32_e32 v7, v43, v7
	ds_bpermute_b32 v11, v9, v7
	ds_bpermute_b32 v9, v9, v5
	s_wait_dscnt 0x0
	v_add_f32_e32 v5, v5, v9
	ds_bpermute_b32 v9, v15, v6
	ds_bpermute_b32 v14, v15, v5
	s_wait_dscnt 0x1
	v_dual_add_f32 v6, v6, v9 :: v_dual_add_f32 v7, v7, v11
	ds_bpermute_b32 v11, v15, v8
	ds_bpermute_b32 v10, v15, v7
	s_wait_alu 0xfffd
	v_cndmask_b32_e32 v15, v4, v37, vcc_lo
	v_cmp_lt_i32_e32 vcc_lo, v36, v35
	s_wait_alu 0xfffd
	s_delay_alu instid0(VALU_DEP_2)
	v_dual_cndmask_b32 v4, v4, v36 :: v_dual_lshlrev_b32 v15, 2, v15
	s_wait_alu 0xfffe
	s_and_b32 vcc_lo, exec_lo, s2
	ds_bpermute_b32 v9, v15, v6
	v_lshlrev_b32_e32 v4, 2, v4
	s_wait_dscnt 0x2
	v_add_f32_e32 v8, v8, v11
	ds_bpermute_b32 v11, v15, v8
	s_wait_dscnt 0x1
	v_add_f32_e32 v6, v6, v9
	s_wait_dscnt 0x0
	v_dual_add_f32 v8, v8, v11 :: v_dual_add_f32 v5, v5, v14
	ds_bpermute_b32 v11, v4, v8
	v_add_f32_e32 v7, v7, v10
	ds_bpermute_b32 v14, v15, v5
	ds_bpermute_b32 v10, v15, v7
	s_wait_dscnt 0x1
	v_add_f32_e32 v9, v5, v14
	ds_bpermute_b32 v5, v4, v6
	s_wait_dscnt 0x1
	v_add_f32_e32 v7, v7, v10
	ds_bpermute_b32 v14, v4, v9
	ds_bpermute_b32 v10, v4, v7
	s_wait_dscnt 0x2
	v_add_f32_e32 v4, v6, v5
	s_wait_dscnt 0x0
	v_dual_add_f32 v6, v8, v11 :: v_dual_add_f32 v5, v7, v10
	v_add_f32_e32 v7, v9, v14
	s_wait_alu 0xfffe
	s_cbranch_vccz .LBB21_14
; %bb.12:
	s_ashr_i32 s31, s30, 31
	v_dual_mov_b32 v8, 0 :: v_dual_max_num_f32 v15, v1, v1
	s_lshl_b64 s[2:3], s[30:31], 2
	s_wait_alu 0xfffe
	s_add_nc_u64 s[2:3], s[12:13], s[2:3]
	global_load_b128 v[8:11], v8, s[2:3]
	v_max_num_f32_e32 v14, v0, v0
	s_wait_loadcnt 0x0
	v_dual_max_num_f32 v16, v2, v2 :: v_dual_max_num_f32 v17, v8, v8
	v_dual_max_num_f32 v19, v9, v9 :: v_dual_max_num_f32 v20, v10, v10
	s_delay_alu instid0(VALU_DEP_2) | instskip(NEXT) | instid1(VALU_DEP_2)
	v_dual_max_num_f32 v21, v11, v11 :: v_dual_max_num_f32 v14, v14, v17
	v_dual_max_num_f32 v15, v15, v19 :: v_dual_max_num_f32 v16, v16, v20
	v_max_num_f32_e32 v18, v3, v3
	s_delay_alu instid0(VALU_DEP_2) | instskip(SKIP_1) | instid1(VALU_DEP_3)
	v_dual_sub_f32 v8, v8, v14 :: v_dual_sub_f32 v9, v9, v15
	v_sub_f32_e32 v19, v1, v15
	v_dual_max_num_f32 v17, v18, v21 :: v_dual_sub_f32 v18, v0, v14
	v_sub_f32_e32 v20, v2, v16
	s_delay_alu instid0(VALU_DEP_2)
	v_dual_sub_f32 v10, v10, v16 :: v_dual_sub_f32 v11, v11, v17
	v_dual_sub_f32 v21, v3, v17 :: v_dual_mov_b32 v0, v14
	v_dual_mov_b32 v1, v15 :: v_dual_mov_b32 v2, v16
	v_dual_mov_b32 v3, v17 :: v_dual_mul_f32 v14, 0x3fb8aa3b, v18
	v_mul_f32_e32 v17, 0x3fb8aa3b, v9
	v_dual_mul_f32 v15, 0x3fb8aa3b, v8 :: v_dual_mul_f32 v16, 0x3fb8aa3b, v19
	v_mul_f32_e32 v23, 0x3fb8aa3b, v10
	s_delay_alu instid0(VALU_DEP_4) | instskip(SKIP_1) | instid1(VALU_DEP_4)
	v_fma_f32 v26, 0x3fb8aa3b, v18, -v14
	v_rndne_f32_e32 v27, v14
	v_fma_f32 v28, 0x3fb8aa3b, v8, -v15
	v_rndne_f32_e32 v29, v15
	v_fma_f32 v33, 0x3fb8aa3b, v9, -v17
	v_fma_f32 v37, 0x3fb8aa3b, v10, -v23
	v_fmac_f32_e32 v26, 0x32a5705f, v18
	v_sub_f32_e32 v14, v14, v27
	v_dual_mul_f32 v22, 0x3fb8aa3b, v20 :: v_dual_mul_f32 v25, 0x3fb8aa3b, v11
	v_fma_f32 v30, 0x3fb8aa3b, v19, -v16
	v_rndne_f32_e32 v31, v16
	v_dual_fmac_f32 v28, 0x32a5705f, v8 :: v_dual_fmac_f32 v37, 0x32a5705f, v10
	v_sub_f32_e32 v15, v15, v29
	v_dual_fmac_f32 v33, 0x32a5705f, v9 :: v_dual_add_f32 v14, v14, v26
	v_rndne_f32_e32 v34, v17
	v_mul_f32_e32 v24, 0x3fb8aa3b, v21
	v_fma_f32 v35, 0x3fb8aa3b, v20, -v22
	v_rndne_f32_e32 v38, v23
	v_fmac_f32_e32 v30, 0x32a5705f, v19
	v_dual_sub_f32 v16, v16, v31 :: v_dual_add_f32 v15, v15, v28
	v_exp_f32_e32 v14, v14
	v_rndne_f32_e32 v36, v22
	v_fma_f32 v41, 0x3fb8aa3b, v11, -v25
	v_rndne_f32_e32 v42, v25
	v_cvt_i32_f32_e32 v27, v27
	v_sub_f32_e32 v17, v17, v34
	v_fma_f32 v39, 0x3fb8aa3b, v21, -v24
	v_rndne_f32_e32 v40, v24
	v_fmac_f32_e32 v35, 0x32a5705f, v20
	v_sub_f32_e32 v23, v23, v38
	v_dual_add_f32 v16, v16, v30 :: v_dual_add_f32 v17, v17, v33
	v_exp_f32_e32 v15, v15
	v_cvt_i32_f32_e32 v29, v29
	v_dual_sub_f32 v22, v22, v36 :: v_dual_fmac_f32 v39, 0x32a5705f, v21
	v_dual_sub_f32 v24, v24, v40 :: v_dual_fmac_f32 v41, 0x32a5705f, v11
	s_delay_alu instid0(VALU_DEP_2)
	v_dual_sub_f32 v25, v25, v42 :: v_dual_add_f32 v22, v22, v35
	v_exp_f32_e32 v16, v16
	v_ldexp_f32 v14, v14, v27
	v_cmp_ngt_f32_e32 vcc_lo, 0xc2ce8ed0, v18
	v_cvt_i32_f32_e32 v31, v31
	v_add_f32_e32 v25, v25, v41
	v_exp_f32_e32 v17, v17
	v_ldexp_f32 v15, v15, v29
	s_wait_alu 0xfffd
	v_cndmask_b32_e32 v14, 0, v14, vcc_lo
	v_cmp_ngt_f32_e32 vcc_lo, 0xc2ce8ed0, v8
	v_cvt_i32_f32_e32 v34, v34
	v_dual_add_f32 v23, v23, v37 :: v_dual_add_f32 v24, v24, v39
	v_exp_f32_e32 v22, v22
	v_ldexp_f32 v16, v16, v31
	s_wait_alu 0xfffd
	v_cndmask_b32_e32 v15, 0, v15, vcc_lo
	v_cmp_ngt_f32_e32 vcc_lo, 0xc2ce8ed0, v19
	v_cvt_i32_f32_e32 v36, v36
	v_exp_f32_e32 v23, v23
	v_ldexp_f32 v17, v17, v34
	v_cvt_i32_f32_e32 v38, v38
	s_wait_alu 0xfffd
	v_cndmask_b32_e32 v16, 0, v16, vcc_lo
	v_cmp_ngt_f32_e32 vcc_lo, 0xc2ce8ed0, v9
	v_exp_f32_e32 v24, v24
	v_ldexp_f32 v22, v22, v36
	v_exp_f32_e32 v25, v25
	v_cvt_i32_f32_e32 v26, v40
	s_wait_alu 0xfffd
	v_cndmask_b32_e32 v17, 0, v17, vcc_lo
	v_cmp_ngt_f32_e32 vcc_lo, 0xc2ce8ed0, v20
	v_ldexp_f32 v23, v23, v38
	v_cvt_i32_f32_e32 v28, v42
	s_wait_alu 0xfffd
	v_cndmask_b32_e32 v22, 0, v22, vcc_lo
	v_cmp_ngt_f32_e32 vcc_lo, 0xc2ce8ed0, v10
	v_ldexp_f32 v24, v24, v26
	v_ldexp_f32 v25, v25, v28
	s_wait_alu 0xfffd
	v_cndmask_b32_e32 v23, 0, v23, vcc_lo
	v_cmp_ngt_f32_e32 vcc_lo, 0xc2ce8ed0, v21
	s_wait_alu 0xfffd
	v_cndmask_b32_e32 v24, 0, v24, vcc_lo
	v_cmp_ngt_f32_e32 vcc_lo, 0xc2ce8ed0, v11
	s_wait_alu 0xfffd
	v_cndmask_b32_e32 v25, 0, v25, vcc_lo
	v_cmp_nlt_f32_e32 vcc_lo, 0x42b17218, v18
	s_wait_alu 0xfffd
	v_cndmask_b32_e32 v14, 0x7f800000, v14, vcc_lo
	v_cmp_nlt_f32_e32 vcc_lo, 0x42b17218, v8
	;; [unrolled: 3-line block ×7, first 2 shown]
	s_delay_alu instid0(VALU_DEP_2)
	v_fmac_f32_e32 v10, v6, v16
	s_wait_alu 0xfffd
	v_cndmask_b32_e32 v17, 0x7f800000, v24, vcc_lo
	v_cmp_nlt_f32_e32 vcc_lo, 0x42b17218, v11
	v_dual_fmac_f32 v9, v5, v15 :: v_dual_fmac_f32 v8, v4, v14
	v_cvt_f16_f32_e32 v4, v14
	s_wait_alu 0xfffd
	v_cndmask_b32_e32 v11, 0x7f800000, v25, vcc_lo
	s_delay_alu instid0(VALU_DEP_1) | instskip(NEXT) | instid1(VALU_DEP_3)
	v_fmac_f32_e32 v11, v7, v17
	v_dual_mov_b32 v4, v8 :: v_dual_and_b32 v7, 0xffff, v4
	v_cvt_f16_f32_e32 v5, v15
	s_delay_alu instid0(VALU_DEP_2) | instskip(NEXT) | instid1(VALU_DEP_2)
	v_mul_u32_u24_e32 v7, 0x10001, v7
	v_and_b32_e32 v15, 0xffff, v5
	v_mov_b32_e32 v5, v9
	v_cvt_f16_f32_e32 v6, v16
	s_delay_alu instid0(VALU_DEP_4) | instskip(SKIP_2) | instid1(VALU_DEP_4)
	v_pk_mul_f16 v71, v71, v7
	v_pk_mul_f16 v72, v72, v7
	v_mul_u32_u24_e32 v15, 0x10001, v15
	v_dual_mov_b32 v7, v11 :: v_dual_and_b32 v16, 0xffff, v6
	v_mov_b32_e32 v6, v10
	v_cvt_f16_f32_e32 v14, v17
	s_delay_alu instid0(VALU_DEP_4) | instskip(SKIP_2) | instid1(VALU_DEP_4)
	v_pk_mul_f16 v70, v70, v15
	v_pk_mul_f16 v69, v69, v15
	v_mul_u32_u24_e32 v16, 0x10001, v16
	v_and_b32_e32 v14, 0xffff, v14
	s_delay_alu instid0(VALU_DEP_2) | instskip(SKIP_1) | instid1(VALU_DEP_3)
	v_pk_mul_f16 v68, v68, v16
	v_pk_mul_f16 v67, v67, v16
	v_mul_u32_u24_e32 v14, 0x10001, v14
	s_delay_alu instid0(VALU_DEP_1)
	v_pk_mul_f16 v66, v66, v14
	v_pk_mul_f16 v65, v65, v14
	s_mov_b32 s2, exec_lo
	v_cmpx_gt_i32_e64 s22, v12
	s_cbranch_execnz .LBB21_15
.LBB21_13:
	s_nop 0
	s_sendmsg sendmsg(MSG_DEALLOC_VGPRS)
	s_endpgm
.LBB21_14:
	s_delay_alu instid0(VALU_DEP_1)
	v_dual_mov_b32 v11, v7 :: v_dual_mov_b32 v10, v6
	v_dual_mov_b32 v9, v5 :: v_dual_mov_b32 v8, v4
	s_mov_b32 s2, exec_lo
	v_cmpx_gt_i32_e64 s22, v12
	s_cbranch_execz .LBB21_13
.LBB21_15:
	s_load_b32 s1, s[0:1], 0xd4
	v_mov_b32_e32 v16, 1.0
	s_wait_kmcnt 0x0
	s_cmp_lg_u32 s1, 1
	s_cselect_b32 s3, -1, 0
	s_cmp_eq_u32 s1, 1
	s_cselect_b32 s2, -1, 0
	s_wait_alu 0xfffe
	s_and_b32 vcc_lo, exec_lo, s3
	s_wait_alu 0xfffe
	s_cbranch_vccnz .LBB21_17
; %bb.16:
	v_div_scale_f32 v14, null, v4, v4, 1.0
	s_delay_alu instid0(VALU_DEP_1) | instskip(NEXT) | instid1(TRANS32_DEP_1)
	v_rcp_f32_e32 v15, v14
	v_fma_f32 v16, -v14, v15, 1.0
	s_delay_alu instid0(VALU_DEP_1) | instskip(SKIP_1) | instid1(VALU_DEP_1)
	v_fmac_f32_e32 v15, v16, v15
	v_div_scale_f32 v16, vcc_lo, 1.0, v4, 1.0
	v_mul_f32_e32 v17, v16, v15
	s_delay_alu instid0(VALU_DEP_1) | instskip(NEXT) | instid1(VALU_DEP_1)
	v_fma_f32 v18, -v14, v17, v16
	v_fmac_f32_e32 v17, v18, v15
	s_delay_alu instid0(VALU_DEP_1) | instskip(SKIP_1) | instid1(VALU_DEP_1)
	v_fma_f32 v14, -v14, v17, v16
	s_wait_alu 0xfffd
	v_div_fmas_f32 v14, v14, v15, v17
	s_delay_alu instid0(VALU_DEP_1)
	v_div_fixup_f32 v16, v14, v4, 1.0
.LBB21_17:
	v_mad_co_u64_u32 v[14:15], null, s28, s22, v[12:13]
	v_lshrrev_b32_e32 v4, 16, v71
	v_cmp_eq_u32_e32 vcc_lo, 0, v13
	v_cvt_f32_f16_e32 v18, v72
	v_cvt_f32_f16_e32 v17, v71
	s_delay_alu instid0(VALU_DEP_4) | instskip(SKIP_3) | instid1(VALU_DEP_4)
	v_cvt_f32_f16_e32 v4, v4
	v_mad_co_u64_u32 v[14:15], null, v14, s23, s[30:31]
	v_mov_b32_e32 v13, 0
	v_mul_f32_e32 v19, v16, v18
	v_mul_f32_e32 v18, v16, v4
	;; [unrolled: 1-line block ×3, first 2 shown]
	v_mad_co_u64_u32 v[14:15], null, s1, v14, s[10:11]
	v_lshrrev_b32_e32 v15, 16, v72
	s_delay_alu instid0(VALU_DEP_1) | instskip(NEXT) | instid1(VALU_DEP_3)
	v_cvt_f32_f16_e32 v15, v15
	v_lshl_add_u32 v12, v14, 7, v32
	s_delay_alu instid0(VALU_DEP_2) | instskip(NEXT) | instid1(VALU_DEP_2)
	v_mul_f32_e32 v20, v16, v15
	v_lshlrev_b64_e32 v[12:13], 2, v[12:13]
	s_delay_alu instid0(VALU_DEP_1) | instskip(SKIP_1) | instid1(VALU_DEP_2)
	v_add_co_u32 v12, s0, s16, v12
	s_wait_alu 0xf1ff
	v_add_co_ci_u32_e64 v13, null, s17, v13, s0
	s_and_b32 s0, vcc_lo, s3
	global_store_b128 v[12:13], v[17:20], off
	s_wait_alu 0xfffe
	s_and_saveexec_b32 s3, s0
	s_cbranch_execz .LBB21_19
; %bb.18:
	v_ashrrev_i32_e32 v15, 31, v14
	v_mov_b32_e32 v16, v8
	s_delay_alu instid0(VALU_DEP_2) | instskip(SKIP_1) | instid1(VALU_DEP_2)
	v_lshlrev_b64_e32 v[12:13], 3, v[14:15]
	v_mov_b32_e32 v15, v0
	v_add_co_u32 v12, vcc_lo, s18, v12
	s_wait_alu 0xfffd
	s_delay_alu instid0(VALU_DEP_3)
	v_add_co_ci_u32_e64 v13, null, s19, v13, vcc_lo
	global_store_b64 v[12:13], v[15:16], off
.LBB21_19:
	s_wait_alu 0xfffe
	s_or_b32 exec_lo, exec_lo, s3
	v_cndmask_b32_e64 v12, 0, 1, s2
	v_mov_b32_e32 v0, 1.0
	s_and_not1_b32 vcc_lo, exec_lo, s2
	s_wait_alu 0xfffe
	s_cbranch_vccnz .LBB21_21
; %bb.20:
	v_div_scale_f32 v0, null, v5, v5, 1.0
	s_delay_alu instid0(VALU_DEP_1) | instskip(NEXT) | instid1(TRANS32_DEP_1)
	v_rcp_f32_e32 v4, v0
	v_fma_f32 v8, -v0, v4, 1.0
	s_delay_alu instid0(VALU_DEP_1) | instskip(SKIP_1) | instid1(VALU_DEP_1)
	v_fmac_f32_e32 v4, v8, v4
	v_div_scale_f32 v8, vcc_lo, 1.0, v5, 1.0
	v_mul_f32_e32 v13, v8, v4
	s_delay_alu instid0(VALU_DEP_1) | instskip(NEXT) | instid1(VALU_DEP_1)
	v_fma_f32 v15, -v0, v13, v8
	v_fmac_f32_e32 v13, v15, v4
	s_delay_alu instid0(VALU_DEP_1) | instskip(SKIP_1) | instid1(VALU_DEP_1)
	v_fma_f32 v0, -v0, v13, v8
	s_wait_alu 0xfffd
	v_div_fmas_f32 v0, v0, v4, v13
	s_delay_alu instid0(VALU_DEP_1)
	v_div_fixup_f32 v0, v0, v5, 1.0
.LBB21_21:
	v_cvt_f32_f16_e32 v15, v70
	v_add_nc_u32_e32 v4, s1, v14
	v_cvt_f32_f16_e32 v16, v69
	v_mov_b32_e32 v14, 0
	v_lshrrev_b32_e32 v5, 16, v70
	v_lshrrev_b32_e32 v8, 16, v69
	v_lshl_add_u32 v13, v4, 7, v32
	s_delay_alu instid0(VALU_DEP_3) | instskip(NEXT) | instid1(VALU_DEP_3)
	v_cvt_f32_f16_e32 v5, v5
	v_cvt_f32_f16_e32 v8, v8
	s_delay_alu instid0(VALU_DEP_3)
	v_lshlrev_b64_e32 v[17:18], 2, v[13:14]
	v_mul_f32_e32 v13, v0, v15
	v_mul_f32_e32 v15, v0, v16
	v_mul_f32_e32 v14, v0, v5
	v_mul_f32_e32 v16, v0, v8
	v_add_co_u32 v17, vcc_lo, s16, v17
	s_wait_alu 0xfffd
	v_add_co_ci_u32_e64 v18, null, s17, v18, vcc_lo
	global_store_b128 v[17:18], v[13:16], off
	s_and_saveexec_b32 s2, s0
	s_cbranch_execz .LBB21_23
; %bb.22:
	v_ashrrev_i32_e32 v5, 31, v4
	v_mov_b32_e32 v8, v1
	s_delay_alu instid0(VALU_DEP_2) | instskip(NEXT) | instid1(VALU_DEP_1)
	v_lshlrev_b64_e32 v[13:14], 3, v[4:5]
	v_add_co_u32 v13, vcc_lo, s18, v13
	s_wait_alu 0xfffd
	s_delay_alu instid0(VALU_DEP_2)
	v_add_co_ci_u32_e64 v14, null, s19, v14, vcc_lo
	global_store_b64 v[13:14], v[8:9], off
.LBB21_23:
	s_wait_alu 0xfffe
	s_or_b32 exec_lo, exec_lo, s2
	v_cmp_ne_u32_e32 vcc_lo, 1, v12
	v_mov_b32_e32 v1, 1.0
	s_cbranch_vccnz .LBB21_25
; %bb.24:
	v_div_scale_f32 v0, null, v6, v6, 1.0
	s_delay_alu instid0(VALU_DEP_1) | instskip(NEXT) | instid1(TRANS32_DEP_1)
	v_rcp_f32_e32 v1, v0
	v_fma_f32 v5, -v0, v1, 1.0
	s_delay_alu instid0(VALU_DEP_1) | instskip(SKIP_1) | instid1(VALU_DEP_1)
	v_fmac_f32_e32 v1, v5, v1
	v_div_scale_f32 v5, vcc_lo, 1.0, v6, 1.0
	v_mul_f32_e32 v8, v5, v1
	s_delay_alu instid0(VALU_DEP_1) | instskip(NEXT) | instid1(VALU_DEP_1)
	v_fma_f32 v9, -v0, v8, v5
	v_fmac_f32_e32 v8, v9, v1
	s_delay_alu instid0(VALU_DEP_1) | instskip(SKIP_1) | instid1(VALU_DEP_1)
	v_fma_f32 v0, -v0, v8, v5
	s_wait_alu 0xfffd
	v_div_fmas_f32 v0, v0, v1, v8
	s_delay_alu instid0(VALU_DEP_1)
	v_div_fixup_f32 v1, v0, v6, 1.0
.LBB21_25:
	v_dual_mov_b32 v5, 0 :: v_dual_add_nc_u32 v0, s1, v4
	v_lshrrev_b32_e32 v6, 16, v68
	v_lshrrev_b32_e32 v8, 16, v67
	v_cvt_f32_f16_e32 v9, v68
	s_delay_alu instid0(VALU_DEP_4)
	v_lshl_add_u32 v4, v0, 7, v32
	v_cvt_f32_f16_e32 v14, v67
	v_cvt_f32_f16_e32 v6, v6
	;; [unrolled: 1-line block ×3, first 2 shown]
	v_mul_f32_e32 v13, v1, v9
	v_lshlrev_b64_e32 v[4:5], 2, v[4:5]
	v_mul_f32_e32 v15, v1, v14
	v_mul_f32_e32 v14, v1, v6
	;; [unrolled: 1-line block ×3, first 2 shown]
	s_delay_alu instid0(VALU_DEP_4)
	v_add_co_u32 v4, vcc_lo, s16, v4
	s_wait_alu 0xfffd
	v_add_co_ci_u32_e64 v5, null, s17, v5, vcc_lo
	global_store_b128 v[4:5], v[13:16], off
	s_and_saveexec_b32 s2, s0
	s_cbranch_execz .LBB21_27
; %bb.26:
	v_ashrrev_i32_e32 v1, 31, v0
	v_mov_b32_e32 v9, v2
	s_delay_alu instid0(VALU_DEP_2) | instskip(NEXT) | instid1(VALU_DEP_1)
	v_lshlrev_b64_e32 v[4:5], 3, v[0:1]
	v_add_co_u32 v4, vcc_lo, s18, v4
	s_wait_alu 0xfffd
	s_delay_alu instid0(VALU_DEP_2)
	v_add_co_ci_u32_e64 v5, null, s19, v5, vcc_lo
	global_store_b64 v[4:5], v[9:10], off
.LBB21_27:
	s_wait_alu 0xfffe
	s_or_b32 exec_lo, exec_lo, s2
	v_cmp_ne_u32_e32 vcc_lo, 1, v12
	v_mov_b32_e32 v1, 1.0
	s_cbranch_vccnz .LBB21_29
; %bb.28:
	v_div_scale_f32 v1, null, v7, v7, 1.0
	s_delay_alu instid0(VALU_DEP_1) | instskip(NEXT) | instid1(TRANS32_DEP_1)
	v_rcp_f32_e32 v2, v1
	v_fma_f32 v4, -v1, v2, 1.0
	s_delay_alu instid0(VALU_DEP_1) | instskip(SKIP_1) | instid1(VALU_DEP_1)
	v_fmac_f32_e32 v2, v4, v2
	v_div_scale_f32 v4, vcc_lo, 1.0, v7, 1.0
	v_mul_f32_e32 v5, v4, v2
	s_delay_alu instid0(VALU_DEP_1) | instskip(NEXT) | instid1(VALU_DEP_1)
	v_fma_f32 v6, -v1, v5, v4
	v_fmac_f32_e32 v5, v6, v2
	s_delay_alu instid0(VALU_DEP_1) | instskip(SKIP_1) | instid1(VALU_DEP_1)
	v_fma_f32 v1, -v1, v5, v4
	s_wait_alu 0xfffd
	v_div_fmas_f32 v1, v1, v2, v5
	s_delay_alu instid0(VALU_DEP_1)
	v_div_fixup_f32 v1, v1, v7, 1.0
.LBB21_29:
	v_dual_mov_b32 v5, 0 :: v_dual_add_nc_u32 v0, s1, v0
	v_lshrrev_b32_e32 v2, 16, v66
	v_lshrrev_b32_e32 v6, 16, v65
	v_cvt_f32_f16_e32 v7, v66
	s_delay_alu instid0(VALU_DEP_4) | instskip(SKIP_3) | instid1(VALU_DEP_4)
	v_lshl_add_u32 v4, v0, 7, v32
	v_cvt_f32_f16_e32 v10, v65
	v_cvt_f32_f16_e32 v2, v2
	;; [unrolled: 1-line block ×3, first 2 shown]
	v_lshlrev_b64_e32 v[8:9], 2, v[4:5]
	v_mul_f32_e32 v4, v1, v7
	v_mul_f32_e32 v6, v1, v10
	;; [unrolled: 1-line block ×4, first 2 shown]
	v_add_co_u32 v1, vcc_lo, s16, v8
	s_wait_alu 0xfffd
	v_add_co_ci_u32_e64 v2, null, s17, v9, vcc_lo
	global_store_b128 v[1:2], v[4:7], off
	s_and_b32 exec_lo, exec_lo, s0
	s_cbranch_execz .LBB21_13
; %bb.30:
	v_ashrrev_i32_e32 v1, 31, v0
	v_mov_b32_e32 v10, v3
	s_delay_alu instid0(VALU_DEP_2) | instskip(NEXT) | instid1(VALU_DEP_1)
	v_lshlrev_b64_e32 v[0:1], 3, v[0:1]
	v_add_co_u32 v0, vcc_lo, s18, v0
	s_wait_alu 0xfffd
	s_delay_alu instid0(VALU_DEP_2)
	v_add_co_ci_u32_e64 v1, null, s19, v1, vcc_lo
	global_store_b64 v[0:1], v[10:11], off
	s_nop 0
	s_sendmsg sendmsg(MSG_DEALLOC_VGPRS)
	s_endpgm
	.section	.rodata,"a",@progbits
	.p2align	6, 0x0
	.amdhsa_kernel _ZL15flash_attn_tileILi128ELi128ELi8ELi4ELb0EEvPKcS1_S1_S1_S1_PKiPfP15HIP_vector_typeIfLj2EEffffjfiS5_IjLj3EEiiiiiiiiiiiliiliiiiil
		.amdhsa_group_segment_fixed_size 34816
		.amdhsa_private_segment_fixed_size 0
		.amdhsa_kernarg_size 464
		.amdhsa_user_sgpr_count 2
		.amdhsa_user_sgpr_dispatch_ptr 0
		.amdhsa_user_sgpr_queue_ptr 0
		.amdhsa_user_sgpr_kernarg_segment_ptr 1
		.amdhsa_user_sgpr_dispatch_id 0
		.amdhsa_user_sgpr_private_segment_size 0
		.amdhsa_wavefront_size32 1
		.amdhsa_uses_dynamic_stack 0
		.amdhsa_enable_private_segment 0
		.amdhsa_system_sgpr_workgroup_id_x 1
		.amdhsa_system_sgpr_workgroup_id_y 1
		.amdhsa_system_sgpr_workgroup_id_z 1
		.amdhsa_system_sgpr_workgroup_info 0
		.amdhsa_system_vgpr_workitem_id 1
		.amdhsa_next_free_vgpr 217
		.amdhsa_next_free_sgpr 42
		.amdhsa_reserve_vcc 1
		.amdhsa_float_round_mode_32 0
		.amdhsa_float_round_mode_16_64 0
		.amdhsa_float_denorm_mode_32 3
		.amdhsa_float_denorm_mode_16_64 3
		.amdhsa_fp16_overflow 0
		.amdhsa_workgroup_processor_mode 1
		.amdhsa_memory_ordered 1
		.amdhsa_forward_progress 1
		.amdhsa_inst_pref_size 230
		.amdhsa_round_robin_scheduling 0
		.amdhsa_exception_fp_ieee_invalid_op 0
		.amdhsa_exception_fp_denorm_src 0
		.amdhsa_exception_fp_ieee_div_zero 0
		.amdhsa_exception_fp_ieee_overflow 0
		.amdhsa_exception_fp_ieee_underflow 0
		.amdhsa_exception_fp_ieee_inexact 0
		.amdhsa_exception_int_div_zero 0
	.end_amdhsa_kernel
	.section	.text._ZL15flash_attn_tileILi128ELi128ELi8ELi4ELb0EEvPKcS1_S1_S1_S1_PKiPfP15HIP_vector_typeIfLj2EEffffjfiS5_IjLj3EEiiiiiiiiiiiliiliiiiil,"axG",@progbits,_ZL15flash_attn_tileILi128ELi128ELi8ELi4ELb0EEvPKcS1_S1_S1_S1_PKiPfP15HIP_vector_typeIfLj2EEffffjfiS5_IjLj3EEiiiiiiiiiiiliiliiiiil,comdat
.Lfunc_end21:
	.size	_ZL15flash_attn_tileILi128ELi128ELi8ELi4ELb0EEvPKcS1_S1_S1_S1_PKiPfP15HIP_vector_typeIfLj2EEffffjfiS5_IjLj3EEiiiiiiiiiiiliiliiiiil, .Lfunc_end21-_ZL15flash_attn_tileILi128ELi128ELi8ELi4ELb0EEvPKcS1_S1_S1_S1_PKiPfP15HIP_vector_typeIfLj2EEffffjfiS5_IjLj3EEiiiiiiiiiiiliiliiiiil
                                        ; -- End function
	.set _ZL15flash_attn_tileILi128ELi128ELi8ELi4ELb0EEvPKcS1_S1_S1_S1_PKiPfP15HIP_vector_typeIfLj2EEffffjfiS5_IjLj3EEiiiiiiiiiiiliiliiiiil.num_vgpr, 121
	.set _ZL15flash_attn_tileILi128ELi128ELi8ELi4ELb0EEvPKcS1_S1_S1_S1_PKiPfP15HIP_vector_typeIfLj2EEffffjfiS5_IjLj3EEiiiiiiiiiiiliiliiiiil.num_agpr, 0
	.set _ZL15flash_attn_tileILi128ELi128ELi8ELi4ELb0EEvPKcS1_S1_S1_S1_PKiPfP15HIP_vector_typeIfLj2EEffffjfiS5_IjLj3EEiiiiiiiiiiiliiliiiiil.numbered_sgpr, 42
	.set _ZL15flash_attn_tileILi128ELi128ELi8ELi4ELb0EEvPKcS1_S1_S1_S1_PKiPfP15HIP_vector_typeIfLj2EEffffjfiS5_IjLj3EEiiiiiiiiiiiliiliiiiil.num_named_barrier, 0
	.set _ZL15flash_attn_tileILi128ELi128ELi8ELi4ELb0EEvPKcS1_S1_S1_S1_PKiPfP15HIP_vector_typeIfLj2EEffffjfiS5_IjLj3EEiiiiiiiiiiiliiliiiiil.private_seg_size, 0
	.set _ZL15flash_attn_tileILi128ELi128ELi8ELi4ELb0EEvPKcS1_S1_S1_S1_PKiPfP15HIP_vector_typeIfLj2EEffffjfiS5_IjLj3EEiiiiiiiiiiiliiliiiiil.uses_vcc, 1
	.set _ZL15flash_attn_tileILi128ELi128ELi8ELi4ELb0EEvPKcS1_S1_S1_S1_PKiPfP15HIP_vector_typeIfLj2EEffffjfiS5_IjLj3EEiiiiiiiiiiiliiliiiiil.uses_flat_scratch, 0
	.set _ZL15flash_attn_tileILi128ELi128ELi8ELi4ELb0EEvPKcS1_S1_S1_S1_PKiPfP15HIP_vector_typeIfLj2EEffffjfiS5_IjLj3EEiiiiiiiiiiiliiliiiiil.has_dyn_sized_stack, 0
	.set _ZL15flash_attn_tileILi128ELi128ELi8ELi4ELb0EEvPKcS1_S1_S1_S1_PKiPfP15HIP_vector_typeIfLj2EEffffjfiS5_IjLj3EEiiiiiiiiiiiliiliiiiil.has_recursion, 0
	.set _ZL15flash_attn_tileILi128ELi128ELi8ELi4ELb0EEvPKcS1_S1_S1_S1_PKiPfP15HIP_vector_typeIfLj2EEffffjfiS5_IjLj3EEiiiiiiiiiiiliiliiiiil.has_indirect_call, 0
	.section	.AMDGPU.csdata,"",@progbits
; Kernel info:
; codeLenInByte = 29400
; TotalNumSgprs: 44
; NumVgprs: 121
; ScratchSize: 0
; MemoryBound: 0
; FloatMode: 240
; IeeeMode: 1
; LDSByteSize: 34816 bytes/workgroup (compile time only)
; SGPRBlocks: 0
; VGPRBlocks: 27
; NumSGPRsForWavesPerEU: 44
; NumVGPRsForWavesPerEU: 217
; Occupancy: 6
; WaveLimiterHint : 1
; COMPUTE_PGM_RSRC2:SCRATCH_EN: 0
; COMPUTE_PGM_RSRC2:USER_SGPR: 2
; COMPUTE_PGM_RSRC2:TRAP_HANDLER: 0
; COMPUTE_PGM_RSRC2:TGID_X_EN: 1
; COMPUTE_PGM_RSRC2:TGID_Y_EN: 1
; COMPUTE_PGM_RSRC2:TGID_Z_EN: 1
; COMPUTE_PGM_RSRC2:TIDIG_COMP_CNT: 1
	.section	.text._ZL33flash_attn_stream_k_fixup_uniformILi128ELi8ELi4EEvPfPK15HIP_vector_typeIfLj2EEiiiiiiS1_IjLj3EES5_S5_,"axG",@progbits,_ZL33flash_attn_stream_k_fixup_uniformILi128ELi8ELi4EEvPfPK15HIP_vector_typeIfLj2EEiiiiiiS1_IjLj3EES5_S5_,comdat
	.globl	_ZL33flash_attn_stream_k_fixup_uniformILi128ELi8ELi4EEvPfPK15HIP_vector_typeIfLj2EEiiiiiiS1_IjLj3EES5_S5_ ; -- Begin function _ZL33flash_attn_stream_k_fixup_uniformILi128ELi8ELi4EEvPfPK15HIP_vector_typeIfLj2EEiiiiiiS1_IjLj3EES5_S5_
	.p2align	8
	.type	_ZL33flash_attn_stream_k_fixup_uniformILi128ELi8ELi4EEvPfPK15HIP_vector_typeIfLj2EEiiiiiiS1_IjLj3EES5_S5_,@function
_ZL33flash_attn_stream_k_fixup_uniformILi128ELi8ELi4EEvPfPK15HIP_vector_typeIfLj2EEiiiiiiS1_IjLj3EES5_S5_: ; @_ZL33flash_attn_stream_k_fixup_uniformILi128ELi8ELi4EEvPfPK15HIP_vector_typeIfLj2EEiiiiiiS1_IjLj3EES5_S5_
; %bb.0:
	s_clause 0x1
	s_load_b256 s[4:11], s[0:1], 0x1c
	s_load_b128 s[12:15], s[0:1], 0x3c
	s_wait_kmcnt 0x0
	s_mul_hi_u32 s2, s7, ttmp9
	s_delay_alu instid0(SALU_CYCLE_1) | instskip(NEXT) | instid1(SALU_CYCLE_1)
	s_add_co_i32 s2, ttmp9, s2
	s_lshr_b32 s2, s2, s8
	s_delay_alu instid0(SALU_CYCLE_1) | instskip(SKIP_2) | instid1(SALU_CYCLE_1)
	s_mul_i32 s3, s2, s9
	s_load_b64 s[8:9], s[0:1], 0x10
	s_sub_co_i32 s7, ttmp9, s3
	s_mul_hi_u32 s3, s7, s10
	s_delay_alu instid0(SALU_CYCLE_1) | instskip(NEXT) | instid1(SALU_CYCLE_1)
	s_add_co_i32 s3, s7, s3
	s_lshr_b32 s3, s3, s11
	s_delay_alu instid0(SALU_CYCLE_1) | instskip(NEXT) | instid1(SALU_CYCLE_1)
	s_mul_i32 s10, s3, s12
	s_sub_co_i32 s7, s7, s10
	s_delay_alu instid0(SALU_CYCLE_1) | instskip(NEXT) | instid1(SALU_CYCLE_1)
	s_mul_hi_u32 s10, s7, s13
	s_add_co_i32 s10, s7, s10
	s_delay_alu instid0(SALU_CYCLE_1) | instskip(NEXT) | instid1(SALU_CYCLE_1)
	s_lshr_b32 s12, s10, s14
	s_mul_i32 s10, s12, s15
	s_lshl_b32 s12, s12, 2
	s_sub_co_i32 s11, s7, s10
	s_and_b32 s7, ttmp7, 0xffff
	s_lshl_b32 s13, s11, 3
	s_lshr_b32 s10, ttmp7, 16
	s_add_co_i32 s13, s13, s7
	s_wait_kmcnt 0x0
	s_cmp_lt_i32 s13, s8
	s_cselect_b32 s13, -1, 0
	s_add_co_i32 s14, s12, s10
	s_delay_alu instid0(SALU_CYCLE_1) | instskip(SKIP_1) | instid1(SALU_CYCLE_1)
	s_cmp_lt_i32 s14, s5
	s_cselect_b32 s14, -1, 0
	s_and_b32 s13, s13, s14
	s_delay_alu instid0(SALU_CYCLE_1)
	s_and_not1_b32 vcc_lo, exec_lo, s13
	s_cbranch_vccnz .LBB22_6
; %bb.1:
	s_mul_i32 s2, s2, s8
	s_mul_i32 s5, s3, s5
	s_add_co_i32 s2, s2, s7
	s_delay_alu instid0(SALU_CYCLE_1) | instskip(NEXT) | instid1(SALU_CYCLE_1)
	s_mul_i32 s2, s2, s9
	s_add_co_i32 s8, s2, s10
	s_load_b128 s[0:3], s[0:1], 0x0
	s_add_co_i32 s5, s8, s5
	s_mul_i32 s8, s9, s11
	s_add_co_i32 s5, s5, s12
	s_lshl_b32 s8, s8, 10
	s_lshl_b32 s5, s5, 7
	s_delay_alu instid0(SALU_CYCLE_1)
	s_add_co_i32 s8, s8, s5
	s_lshl_b32 s5, s7, 2
	v_or_b32_e32 v1, s8, v0
	s_mul_i32 s8, s6, ttmp9
	s_wait_alu 0xfffe
	s_add_co_i32 s9, s8, s6
	s_wait_alu 0xfffe
	s_add_co_i32 s12, s9, -2
	v_ashrrev_i32_e32 v2, 31, v1
	s_delay_alu instid0(VALU_DEP_1) | instskip(SKIP_1) | instid1(VALU_DEP_1)
	v_lshlrev_b64_e32 v[1:2], 2, v[1:2]
	s_wait_kmcnt 0x0
	v_add_co_u32 v1, vcc_lo, s0, v1
	s_delay_alu instid0(VALU_DEP_1)
	v_add_co_ci_u32_e64 v2, null, s1, v2, vcc_lo
	s_add_co_i32 s0, s5, s10
	s_lshl_b32 s1, s9, 5
	global_load_b32 v5, v[1:2], off
	s_wait_alu 0xfffe
	s_add_co_i32 s0, s0, s1
	s_wait_alu 0xfffe
	s_sub_co_i32 s0, s0, 32
	s_wait_alu 0xfffe
	s_ashr_i32 s1, s0, 31
	s_wait_alu 0xfffe
	s_lshl_b64 s[0:1], s[0:1], 3
	s_cmp_lt_i32 s12, s8
	s_wait_alu 0xfffe
	s_add_nc_u64 s[0:1], s[2:3], s[0:1]
	s_load_b32 s11, s[0:1], 0x4
	s_cbranch_scc1 .LBB22_4
; %bb.2:
	s_load_b32 s0, s[0:1], 0x0
	s_add_co_i32 s13, ttmp9, 1
	s_lshl_b32 s12, s4, 7
	s_mul_i32 s1, s6, s13
	s_lshl_b32 s6, s7, 9
	s_lshl_b32 s7, s10, 7
	s_wait_alu 0xfffe
	s_lshl_b32 s14, s1, 12
	s_add_co_i32 s6, s7, s6
	s_lshl_b32 s1, s1, 5
	s_add_co_i32 s14, s6, s14
	s_wait_alu 0xfffe
	s_add_co_i32 s1, s10, s1
	v_or_b32_e32 v0, s14, v0
	s_lshl_b32 s4, s4, 5
	s_ashr_i32 s13, s12, 31
	s_wait_alu 0xfffe
	s_add_co_i32 s1, s1, s4
	s_wait_kmcnt 0x0
	v_dual_mov_b32 v6, s11 :: v_dual_add_nc_u32 v3, 0xffffe000, v0
	s_lshl_b64 s[6:7], s[12:13], 2
	s_wait_alu 0xfffe
	s_add_co_i32 s4, s1, s5
	s_add_nc_u64 s[6:7], s[2:3], s[6:7]
	s_add_co_i32 s1, s9, -1
	s_sub_co_i32 s4, s4, 64
.LBB22_3:                               ; =>This Inner Loop Header: Depth=1
	v_ashrrev_i32_e32 v4, 31, v3
	s_ashr_i32 s5, s4, 31
	v_mov_b32_e32 v10, v6
	s_lshl_b64 s[10:11], s[4:5], 3
	s_wait_loadcnt 0x0
	v_mov_b32_e32 v9, v5
	v_lshlrev_b64_e32 v[7:8], 2, v[3:4]
	s_wait_alu 0xfffe
	s_add_nc_u64 s[10:11], s[2:3], s[10:11]
	v_max_num_f32_e64 v4, s0, s0
	s_load_b64 s[10:11], s[10:11], 0x0
	v_add_nc_u32_e32 v3, 0xfffff000, v3
	v_add_co_u32 v7, vcc_lo, s6, v7
	s_wait_alu 0xfffd
	v_add_co_ci_u32_e64 v8, null, s7, v8, vcc_lo
	v_readfirstlane_b32 s5, v4
	global_load_b32 v0, v[7:8], off
	s_wait_kmcnt 0x0
	v_max_num_f32_e64 v4, s10, s10
	s_delay_alu instid0(VALU_DEP_1) | instskip(SKIP_1) | instid1(SALU_CYCLE_3)
	v_readfirstlane_b32 s9, v4
	s_max_num_f32 s5, s5, s9
	s_sub_f32 s0, s0, s5
	s_sub_f32 s9, s10, s5
	s_wait_alu 0xfffe
	s_delay_alu instid0(SALU_CYCLE_1) | instskip(NEXT) | instid1(SALU_CYCLE_1)
	s_mul_f32 s10, s0, 0x3fb8aa3b
	s_mul_f32 s12, s9, 0x3fb8aa3b
	s_wait_alu 0xfffe
	s_delay_alu instid0(SALU_CYCLE_1)
	s_xor_b32 s13, s10, 0x80000000
	s_rndne_f32 s14, s10
	s_fmamk_f32 s13, s0, 0x3fb8aa3b, s13
	s_cmp_nlt_f32 s0, 0xc2ce8ed0
	s_rndne_f32 s15, s12
	s_wait_alu 0xfffe
	s_sub_f32 s10, s10, s14
	s_fmamk_f32 s13, s0, 0x32a5705f, s13
	s_cvt_i32_f32 s14, s14
	s_cselect_b32 vcc_lo, -1, 0
	s_cmp_ngt_f32 s0, 0x42b17218
	s_wait_alu 0xfffe
	s_add_f32 s10, s10, s13
	s_sub_f32 s13, s12, s15
	s_wait_alu 0xfffe
	s_delay_alu instid0(SALU_CYCLE_1) | instskip(SKIP_1) | instid1(TRANS32_DEP_1)
	v_s_exp_f32 s10, s10
	s_wait_alu 0xf1ff
	v_ldexp_f32 v4, s10, s14
	s_cvt_i32_f32 s10, s15
	s_delay_alu instid0(VALU_DEP_1) | instskip(SKIP_3) | instid1(VALU_DEP_1)
	v_cndmask_b32_e32 v4, 0, v4, vcc_lo
	s_cselect_b32 vcc_lo, -1, 0
	s_cmp_ge_f32 s0, 0xc1a00000
	s_wait_alu 0xfffe
	v_cndmask_b32_e32 v4, 0x7f800000, v4, vcc_lo
	s_cselect_b32 vcc_lo, -1, 0
	s_xor_b32 s0, s12, 0x80000000
	s_cmp_nlt_f32 s9, 0xc2ce8ed0
	s_wait_alu 0xfffe
	s_fmamk_f32 s0, s9, 0x3fb8aa3b, s0
	s_wait_alu 0xfffe
	s_delay_alu instid0(SALU_CYCLE_2) | instskip(SKIP_1) | instid1(SALU_CYCLE_2)
	s_fmamk_f32 s0, s9, 0x32a5705f, s0
	s_wait_alu 0xfffe
	s_add_f32 s0, s13, s0
	s_wait_alu 0xfffe
	s_delay_alu instid0(SALU_CYCLE_2) | instskip(SKIP_1) | instid1(TRANS32_DEP_1)
	v_s_exp_f32 s0, s0
	s_wait_alu 0xf1ff
	v_ldexp_f32 v7, s0, s10
	s_cselect_b32 s0, -1, 0
	s_cmp_ngt_f32 s9, 0x42b17218
	s_wait_alu 0xfffe
	s_delay_alu instid0(VALU_DEP_1) | instskip(SKIP_3) | instid1(VALU_DEP_1)
	v_cndmask_b32_e64 v7, 0, v7, s0
	s_cselect_b32 s0, -1, 0
	s_cmp_ge_f32 s9, 0xc1a00000
	s_wait_alu 0xfffe
	v_cndmask_b32_e64 v7, 0x7f800000, v7, s0
	s_cselect_b32 s0, -1, 0
	s_add_co_i32 s1, s1, -1
	s_sub_co_i32 s4, s4, 32
	s_wait_alu 0xfffe
	s_cmp_le_i32 s1, s8
	v_cndmask_b32_e64 v7, 0, v7, s0
	s_mov_b32 s0, s5
	s_wait_loadcnt 0x0
	s_delay_alu instid0(VALU_DEP_1) | instskip(NEXT) | instid1(VALU_DEP_1)
	v_dual_mul_f32 v5, v0, v7 :: v_dual_cndmask_b32 v4, 0, v4
	v_dual_mul_f32 v8, s11, v7 :: v_dual_fmac_f32 v5, v9, v4
	s_delay_alu instid0(VALU_DEP_1) | instskip(NEXT) | instid1(VALU_DEP_1)
	v_mov_b32_e32 v6, v8
	v_fmac_f32_e32 v6, v10, v4
	s_cbranch_scc0 .LBB22_3
	s_branch .LBB22_5
.LBB22_4:
	s_wait_kmcnt 0x0
	v_mov_b32_e32 v6, s11
.LBB22_5:
	s_wait_loadcnt 0x0
	s_delay_alu instid0(VALU_DEP_1) | instskip(NEXT) | instid1(VALU_DEP_1)
	v_div_scale_f32 v0, null, v6, v6, v5
	v_rcp_f32_e32 v3, v0
	s_delay_alu instid0(TRANS32_DEP_1) | instskip(NEXT) | instid1(VALU_DEP_1)
	v_fma_f32 v4, -v0, v3, 1.0
	v_fmac_f32_e32 v3, v4, v3
	v_div_scale_f32 v4, vcc_lo, v5, v6, v5
	s_delay_alu instid0(VALU_DEP_1) | instskip(NEXT) | instid1(VALU_DEP_1)
	v_mul_f32_e32 v7, v4, v3
	v_fma_f32 v8, -v0, v7, v4
	s_delay_alu instid0(VALU_DEP_1) | instskip(NEXT) | instid1(VALU_DEP_1)
	v_fmac_f32_e32 v7, v8, v3
	v_fma_f32 v0, -v0, v7, v4
	s_wait_alu 0xfffd
	s_delay_alu instid0(VALU_DEP_1) | instskip(NEXT) | instid1(VALU_DEP_1)
	v_div_fmas_f32 v0, v0, v3, v7
	v_div_fixup_f32 v0, v0, v6, v5
	global_store_b32 v[1:2], v0, off
.LBB22_6:
	s_endpgm
	.section	.rodata,"a",@progbits
	.p2align	6, 0x0
	.amdhsa_kernel _ZL33flash_attn_stream_k_fixup_uniformILi128ELi8ELi4EEvPfPK15HIP_vector_typeIfLj2EEiiiiiiS1_IjLj3EES5_S5_
		.amdhsa_group_segment_fixed_size 0
		.amdhsa_private_segment_fixed_size 0
		.amdhsa_kernarg_size 76
		.amdhsa_user_sgpr_count 2
		.amdhsa_user_sgpr_dispatch_ptr 0
		.amdhsa_user_sgpr_queue_ptr 0
		.amdhsa_user_sgpr_kernarg_segment_ptr 1
		.amdhsa_user_sgpr_dispatch_id 0
		.amdhsa_user_sgpr_private_segment_size 0
		.amdhsa_wavefront_size32 1
		.amdhsa_uses_dynamic_stack 0
		.amdhsa_enable_private_segment 0
		.amdhsa_system_sgpr_workgroup_id_x 1
		.amdhsa_system_sgpr_workgroup_id_y 1
		.amdhsa_system_sgpr_workgroup_id_z 1
		.amdhsa_system_sgpr_workgroup_info 0
		.amdhsa_system_vgpr_workitem_id 0
		.amdhsa_next_free_vgpr 11
		.amdhsa_next_free_sgpr 16
		.amdhsa_reserve_vcc 1
		.amdhsa_float_round_mode_32 0
		.amdhsa_float_round_mode_16_64 0
		.amdhsa_float_denorm_mode_32 3
		.amdhsa_float_denorm_mode_16_64 3
		.amdhsa_fp16_overflow 0
		.amdhsa_workgroup_processor_mode 1
		.amdhsa_memory_ordered 1
		.amdhsa_forward_progress 1
		.amdhsa_inst_pref_size 9
		.amdhsa_round_robin_scheduling 0
		.amdhsa_exception_fp_ieee_invalid_op 0
		.amdhsa_exception_fp_denorm_src 0
		.amdhsa_exception_fp_ieee_div_zero 0
		.amdhsa_exception_fp_ieee_overflow 0
		.amdhsa_exception_fp_ieee_underflow 0
		.amdhsa_exception_fp_ieee_inexact 0
		.amdhsa_exception_int_div_zero 0
	.end_amdhsa_kernel
	.section	.text._ZL33flash_attn_stream_k_fixup_uniformILi128ELi8ELi4EEvPfPK15HIP_vector_typeIfLj2EEiiiiiiS1_IjLj3EES5_S5_,"axG",@progbits,_ZL33flash_attn_stream_k_fixup_uniformILi128ELi8ELi4EEvPfPK15HIP_vector_typeIfLj2EEiiiiiiS1_IjLj3EES5_S5_,comdat
.Lfunc_end22:
	.size	_ZL33flash_attn_stream_k_fixup_uniformILi128ELi8ELi4EEvPfPK15HIP_vector_typeIfLj2EEiiiiiiS1_IjLj3EES5_S5_, .Lfunc_end22-_ZL33flash_attn_stream_k_fixup_uniformILi128ELi8ELi4EEvPfPK15HIP_vector_typeIfLj2EEiiiiiiS1_IjLj3EES5_S5_
                                        ; -- End function
	.set _ZL33flash_attn_stream_k_fixup_uniformILi128ELi8ELi4EEvPfPK15HIP_vector_typeIfLj2EEiiiiiiS1_IjLj3EES5_S5_.num_vgpr, 11
	.set _ZL33flash_attn_stream_k_fixup_uniformILi128ELi8ELi4EEvPfPK15HIP_vector_typeIfLj2EEiiiiiiS1_IjLj3EES5_S5_.num_agpr, 0
	.set _ZL33flash_attn_stream_k_fixup_uniformILi128ELi8ELi4EEvPfPK15HIP_vector_typeIfLj2EEiiiiiiS1_IjLj3EES5_S5_.numbered_sgpr, 16
	.set _ZL33flash_attn_stream_k_fixup_uniformILi128ELi8ELi4EEvPfPK15HIP_vector_typeIfLj2EEiiiiiiS1_IjLj3EES5_S5_.num_named_barrier, 0
	.set _ZL33flash_attn_stream_k_fixup_uniformILi128ELi8ELi4EEvPfPK15HIP_vector_typeIfLj2EEiiiiiiS1_IjLj3EES5_S5_.private_seg_size, 0
	.set _ZL33flash_attn_stream_k_fixup_uniformILi128ELi8ELi4EEvPfPK15HIP_vector_typeIfLj2EEiiiiiiS1_IjLj3EES5_S5_.uses_vcc, 1
	.set _ZL33flash_attn_stream_k_fixup_uniformILi128ELi8ELi4EEvPfPK15HIP_vector_typeIfLj2EEiiiiiiS1_IjLj3EES5_S5_.uses_flat_scratch, 0
	.set _ZL33flash_attn_stream_k_fixup_uniformILi128ELi8ELi4EEvPfPK15HIP_vector_typeIfLj2EEiiiiiiS1_IjLj3EES5_S5_.has_dyn_sized_stack, 0
	.set _ZL33flash_attn_stream_k_fixup_uniformILi128ELi8ELi4EEvPfPK15HIP_vector_typeIfLj2EEiiiiiiS1_IjLj3EES5_S5_.has_recursion, 0
	.set _ZL33flash_attn_stream_k_fixup_uniformILi128ELi8ELi4EEvPfPK15HIP_vector_typeIfLj2EEiiiiiiS1_IjLj3EES5_S5_.has_indirect_call, 0
	.section	.AMDGPU.csdata,"",@progbits
; Kernel info:
; codeLenInByte = 1140
; TotalNumSgprs: 18
; NumVgprs: 11
; ScratchSize: 0
; MemoryBound: 0
; FloatMode: 240
; IeeeMode: 1
; LDSByteSize: 0 bytes/workgroup (compile time only)
; SGPRBlocks: 0
; VGPRBlocks: 1
; NumSGPRsForWavesPerEU: 18
; NumVGPRsForWavesPerEU: 11
; Occupancy: 16
; WaveLimiterHint : 0
; COMPUTE_PGM_RSRC2:SCRATCH_EN: 0
; COMPUTE_PGM_RSRC2:USER_SGPR: 2
; COMPUTE_PGM_RSRC2:TRAP_HANDLER: 0
; COMPUTE_PGM_RSRC2:TGID_X_EN: 1
; COMPUTE_PGM_RSRC2:TGID_Y_EN: 1
; COMPUTE_PGM_RSRC2:TGID_Z_EN: 1
; COMPUTE_PGM_RSRC2:TIDIG_COMP_CNT: 0
	.section	.text._ZL33flash_attn_stream_k_fixup_generalILi128ELi8ELi4EEvPfPK15HIP_vector_typeIfLj2EEiiiiS1_IjLj3EES5_S5_S5_,"axG",@progbits,_ZL33flash_attn_stream_k_fixup_generalILi128ELi8ELi4EEvPfPK15HIP_vector_typeIfLj2EEiiiiS1_IjLj3EES5_S5_S5_,comdat
	.globl	_ZL33flash_attn_stream_k_fixup_generalILi128ELi8ELi4EEvPfPK15HIP_vector_typeIfLj2EEiiiiS1_IjLj3EES5_S5_S5_ ; -- Begin function _ZL33flash_attn_stream_k_fixup_generalILi128ELi8ELi4EEvPfPK15HIP_vector_typeIfLj2EEiiiiS1_IjLj3EES5_S5_S5_
	.p2align	8
	.type	_ZL33flash_attn_stream_k_fixup_generalILi128ELi8ELi4EEvPfPK15HIP_vector_typeIfLj2EEiiiiS1_IjLj3EES5_S5_S5_,@function
_ZL33flash_attn_stream_k_fixup_generalILi128ELi8ELi4EEvPfPK15HIP_vector_typeIfLj2EEiiiiS1_IjLj3EES5_S5_S5_: ; @_ZL33flash_attn_stream_k_fixup_generalILi128ELi8ELi4EEvPfPK15HIP_vector_typeIfLj2EEiiiiS1_IjLj3EES5_S5_S5_
; %bb.0:
	s_clause 0x1
	s_load_b128 s[4:7], s[0:1], 0x10
	s_load_b32 s16, s[0:1], 0x50
	s_mov_b32 s2, ttmp9
	s_ashr_i32 s3, ttmp9, 31
	s_mov_b32 s17, 0
	s_delay_alu instid0(SALU_CYCLE_1) | instskip(SKIP_3) | instid1(SALU_CYCLE_1)
	s_mov_b32 s8, s17
	s_wait_kmcnt 0x0
	s_ashr_i32 s19, s7, 31
	s_mov_b32 s18, s7
	s_mul_u64 s[2:3], s[18:19], s[2:3]
	s_delay_alu instid0(SALU_CYCLE_1) | instskip(NEXT) | instid1(SALU_CYCLE_1)
	s_mov_b32 s9, s3
	s_cmp_lg_u64 s[8:9], 0
	s_cbranch_scc0 .LBB23_21
; %bb.1:
	s_add_nc_u64 s[8:9], s[16:17], 0
	s_mov_b32 s15, s17
	s_xor_b64 s[8:9], s[8:9], 0
	s_mov_b32 s23, s17
	s_cvt_f32_u32 s7, s8
	s_cvt_f32_u32 s10, s9
	s_sub_nc_u64 s[12:13], 0, s[8:9]
	s_delay_alu instid0(SALU_CYCLE_2) | instskip(NEXT) | instid1(SALU_CYCLE_3)
	s_fmamk_f32 s7, s10, 0x4f800000, s7
	v_s_rcp_f32 s7, s7
	s_delay_alu instid0(TRANS32_DEP_1) | instskip(SKIP_1) | instid1(SALU_CYCLE_2)
	s_mul_f32 s7, s7, 0x5f7ffffc
	s_wait_alu 0xfffe
	s_mul_f32 s10, s7, 0x2f800000
	s_delay_alu instid0(SALU_CYCLE_3) | instskip(NEXT) | instid1(SALU_CYCLE_3)
	s_trunc_f32 s10, s10
	s_fmamk_f32 s7, s10, 0xcf800000, s7
	s_cvt_u32_f32 s11, s10
	s_wait_alu 0xfffe
	s_delay_alu instid0(SALU_CYCLE_1) | instskip(NEXT) | instid1(SALU_CYCLE_3)
	s_cvt_u32_f32 s10, s7
	s_mul_u64 s[20:21], s[12:13], s[10:11]
	s_delay_alu instid0(SALU_CYCLE_1)
	s_mul_hi_u32 s25, s10, s21
	s_mul_i32 s24, s10, s21
	s_mul_hi_u32 s14, s10, s20
	s_mul_i32 s22, s11, s20
	s_add_nc_u64 s[14:15], s[14:15], s[24:25]
	s_mul_hi_u32 s7, s11, s20
	s_mul_hi_u32 s26, s11, s21
	s_add_co_u32 s14, s14, s22
	s_wait_alu 0xfffe
	s_add_co_ci_u32 s22, s15, s7
	s_mul_i32 s20, s11, s21
	s_add_co_ci_u32 s21, s26, 0
	s_delay_alu instid0(SALU_CYCLE_1)
	s_add_nc_u64 s[14:15], s[22:23], s[20:21]
	s_mov_b32 s21, s17
	s_add_co_u32 s10, s10, s14
	s_cselect_b32 s7, -1, 0
	s_wait_alu 0xfffe
	s_cmp_lg_u32 s7, 0
	s_add_co_ci_u32 s11, s11, s15
	s_mov_b32 s15, s17
	s_mul_u64 s[12:13], s[12:13], s[10:11]
	s_delay_alu instid0(SALU_CYCLE_1)
	s_mul_hi_u32 s23, s10, s13
	s_mul_i32 s22, s10, s13
	s_mul_hi_u32 s14, s10, s12
	s_mul_i32 s20, s11, s12
	s_add_nc_u64 s[14:15], s[14:15], s[22:23]
	s_mul_hi_u32 s7, s11, s12
	s_mul_hi_u32 s24, s11, s13
	s_mul_i32 s12, s11, s13
	s_add_co_u32 s13, s14, s20
	s_wait_alu 0xfffe
	s_add_co_ci_u32 s20, s15, s7
	s_add_co_ci_u32 s13, s24, 0
	s_mov_b32 s15, s17
	s_add_nc_u64 s[12:13], s[20:21], s[12:13]
	s_delay_alu instid0(SALU_CYCLE_1) | instskip(SKIP_1) | instid1(SALU_CYCLE_1)
	s_add_co_u32 s7, s10, s12
	s_cselect_b32 s10, -1, 0
	s_cmp_lg_u32 s10, 0
	s_add_co_ci_u32 s20, s11, s13
	s_ashr_i32 s10, s3, 31
	s_delay_alu instid0(SALU_CYCLE_1) | instskip(NEXT) | instid1(SALU_CYCLE_1)
	s_mov_b32 s11, s10
	s_add_nc_u64 s[12:13], s[2:3], s[10:11]
	s_delay_alu instid0(SALU_CYCLE_1) | instskip(NEXT) | instid1(SALU_CYCLE_1)
	s_xor_b64 s[12:13], s[12:13], s[10:11]
	s_mul_hi_u32 s23, s12, s20
	s_mul_i32 s22, s12, s20
	s_wait_alu 0xfffe
	s_mul_hi_u32 s14, s12, s7
	s_mul_hi_u32 s24, s13, s7
	s_mul_i32 s7, s13, s7
	s_add_nc_u64 s[14:15], s[14:15], s[22:23]
	s_mul_hi_u32 s3, s13, s20
	s_wait_alu 0xfffe
	s_add_co_u32 s7, s14, s7
	s_mul_i32 s22, s13, s20
	s_add_co_ci_u32 s20, s15, s24
	s_add_co_ci_u32 s23, s3, 0
	s_delay_alu instid0(SALU_CYCLE_1) | instskip(NEXT) | instid1(SALU_CYCLE_1)
	s_add_nc_u64 s[14:15], s[20:21], s[22:23]
	s_mul_u64 s[20:21], s[8:9], s[14:15]
	s_delay_alu instid0(SALU_CYCLE_1)
	s_sub_co_u32 s3, s12, s20
	s_cselect_b32 s7, -1, 0
	s_sub_co_i32 s12, s13, s21
	s_wait_alu 0xfffe
	s_cmp_lg_u32 s7, 0
	s_sub_co_ci_u32 s12, s12, s9
	s_sub_co_u32 s20, s3, s8
	s_cselect_b32 s22, -1, 0
	s_delay_alu instid0(SALU_CYCLE_1) | instskip(SKIP_2) | instid1(SALU_CYCLE_1)
	s_cmp_lg_u32 s22, 0
	s_add_nc_u64 s[22:23], s[14:15], 1
	s_sub_co_ci_u32 s12, s12, 0
	s_cmp_ge_u32 s12, s9
	s_cselect_b32 s24, -1, 0
	s_cmp_ge_u32 s20, s8
	s_cselect_b32 s20, -1, 0
	s_cmp_eq_u32 s12, s9
	s_cselect_b32 s12, s20, s24
	s_add_nc_u64 s[24:25], s[14:15], 2
	s_cmp_lg_u32 s12, 0
	s_cselect_b32 s12, s24, s22
	s_cselect_b32 s20, s25, s23
	s_cmp_lg_u32 s7, 0
	s_sub_co_ci_u32 s7, s13, s21
	s_wait_alu 0xfffe
	s_cmp_ge_u32 s7, s9
	s_cselect_b32 s13, -1, 0
	s_cmp_ge_u32 s3, s8
	s_cselect_b32 s3, -1, 0
	s_cmp_eq_u32 s7, s9
	s_cselect_b32 s3, s3, s13
	s_delay_alu instid0(SALU_CYCLE_1) | instskip(SKIP_4) | instid1(SALU_CYCLE_1)
	s_cmp_lg_u32 s3, 0
	s_mov_b32 s3, s17
	s_cselect_b32 s9, s20, s15
	s_cselect_b32 s8, s12, s14
	s_xor_b64 s[10:11], s[10:11], 0
	s_xor_b64 s[8:9], s[8:9], s[10:11]
	s_delay_alu instid0(SALU_CYCLE_1)
	s_sub_nc_u64 s[20:21], s[8:9], s[10:11]
	s_and_not1_b32 vcc_lo, exec_lo, s3
	s_cbranch_vccnz .LBB23_3
.LBB23_2:
	v_cvt_f32_u32_e32 v1, s16
	s_sub_co_i32 s7, 0, s16
	s_delay_alu instid0(VALU_DEP_1) | instskip(NEXT) | instid1(TRANS32_DEP_1)
	v_rcp_iflag_f32_e32 v1, v1
	v_mul_f32_e32 v1, 0x4f7ffffe, v1
	s_delay_alu instid0(VALU_DEP_1) | instskip(NEXT) | instid1(VALU_DEP_1)
	v_cvt_u32_f32_e32 v1, v1
	v_readfirstlane_b32 s3, v1
	s_wait_alu 0xfffe
	s_mul_i32 s7, s7, s3
	s_wait_alu 0xfffe
	s_mul_hi_u32 s7, s3, s7
	s_wait_alu 0xfffe
	s_add_co_i32 s3, s3, s7
	s_delay_alu instid0(SALU_CYCLE_1) | instskip(NEXT) | instid1(SALU_CYCLE_1)
	s_mul_hi_u32 s3, s2, s3
	s_mul_i32 s7, s3, s16
	s_wait_alu 0xfffe
	s_sub_co_i32 s2, s2, s7
	s_add_co_i32 s7, s3, 1
	s_sub_co_i32 s8, s2, s16
	s_cmp_ge_u32 s2, s16
	s_wait_alu 0xfffe
	s_cselect_b32 s3, s7, s3
	s_cselect_b32 s2, s8, s2
	s_add_co_i32 s7, s3, 1
	s_cmp_ge_u32 s2, s16
	s_wait_alu 0xfffe
	s_cselect_b32 s20, s7, s3
.LBB23_3:
	s_add_co_i32 s2, ttmp9, 1
	s_mov_b32 s8, 0
	s_ashr_i32 s3, s2, 31
	s_delay_alu instid0(SALU_CYCLE_1) | instskip(NEXT) | instid1(SALU_CYCLE_1)
	s_mul_u64 s[2:3], s[18:19], s[2:3]
	s_mov_b32 s9, s3
	s_delay_alu instid0(SALU_CYCLE_1)
	s_cmp_lg_u64 s[8:9], 0
	s_cbranch_scc0 .LBB23_22
; %bb.4:
	s_add_nc_u64 s[10:11], s[16:17], 0
	s_mov_b32 s23, s8
	s_xor_b64 s[10:11], s[10:11], 0
	s_mov_b32 s27, s8
	s_cvt_f32_u32 s7, s10
	s_cvt_f32_u32 s9, s11
	s_sub_nc_u64 s[14:15], 0, s[10:11]
	s_wait_alu 0xfffe
	s_delay_alu instid0(SALU_CYCLE_1) | instskip(SKIP_1) | instid1(SALU_CYCLE_2)
	s_fmamk_f32 s7, s9, 0x4f800000, s7
	s_wait_alu 0xfffe
	v_s_rcp_f32 s7, s7
	s_delay_alu instid0(TRANS32_DEP_1) | instskip(SKIP_1) | instid1(SALU_CYCLE_2)
	s_mul_f32 s7, s7, 0x5f7ffffc
	s_wait_alu 0xfffe
	s_mul_f32 s9, s7, 0x2f800000
	s_delay_alu instid0(SALU_CYCLE_3) | instskip(NEXT) | instid1(SALU_CYCLE_3)
	s_trunc_f32 s9, s9
	s_fmamk_f32 s7, s9, 0xcf800000, s7
	s_cvt_u32_f32 s13, s9
	s_wait_alu 0xfffe
	s_delay_alu instid0(SALU_CYCLE_1) | instskip(NEXT) | instid1(SALU_CYCLE_3)
	s_cvt_u32_f32 s12, s7
	s_mul_u64 s[24:25], s[14:15], s[12:13]
	s_delay_alu instid0(SALU_CYCLE_1)
	s_mul_hi_u32 s29, s12, s25
	s_mul_i32 s28, s12, s25
	s_mul_hi_u32 s22, s12, s24
	s_mul_i32 s9, s13, s24
	s_add_nc_u64 s[22:23], s[22:23], s[28:29]
	s_mul_hi_u32 s7, s13, s24
	s_mul_hi_u32 s21, s13, s25
	s_add_co_u32 s9, s22, s9
	s_wait_alu 0xfffe
	s_add_co_ci_u32 s26, s23, s7
	s_mul_i32 s24, s13, s25
	s_add_co_ci_u32 s25, s21, 0
	s_delay_alu instid0(SALU_CYCLE_1)
	s_add_nc_u64 s[22:23], s[26:27], s[24:25]
	s_mov_b32 s25, s8
	s_add_co_u32 s12, s12, s22
	s_cselect_b32 s7, -1, 0
	s_wait_alu 0xfffe
	s_cmp_lg_u32 s7, 0
	s_add_co_ci_u32 s13, s13, s23
	s_mov_b32 s23, s8
	s_mul_u64 s[14:15], s[14:15], s[12:13]
	s_delay_alu instid0(SALU_CYCLE_1)
	s_mul_hi_u32 s27, s12, s15
	s_mul_i32 s26, s12, s15
	s_mul_hi_u32 s22, s12, s14
	s_mul_i32 s9, s13, s14
	s_add_nc_u64 s[22:23], s[22:23], s[26:27]
	s_mul_hi_u32 s7, s13, s14
	s_mul_hi_u32 s21, s13, s15
	s_add_co_u32 s9, s22, s9
	s_wait_alu 0xfffe
	s_add_co_ci_u32 s24, s23, s7
	s_mul_i32 s14, s13, s15
	s_add_co_ci_u32 s15, s21, 0
	s_mov_b32 s23, s8
	s_add_nc_u64 s[14:15], s[24:25], s[14:15]
	s_delay_alu instid0(SALU_CYCLE_1) | instskip(SKIP_1) | instid1(SALU_CYCLE_1)
	s_add_co_u32 s7, s12, s14
	s_cselect_b32 s9, -1, 0
	s_cmp_lg_u32 s9, 0
	s_add_co_ci_u32 s9, s13, s15
	s_ashr_i32 s12, s3, 31
	s_delay_alu instid0(SALU_CYCLE_1) | instskip(NEXT) | instid1(SALU_CYCLE_1)
	s_mov_b32 s13, s12
	s_add_nc_u64 s[14:15], s[2:3], s[12:13]
	s_delay_alu instid0(SALU_CYCLE_1) | instskip(NEXT) | instid1(SALU_CYCLE_1)
	s_xor_b64 s[14:15], s[14:15], s[12:13]
	s_mul_hi_u32 s27, s14, s9
	s_mul_i32 s26, s14, s9
	s_wait_alu 0xfffe
	s_mul_hi_u32 s22, s14, s7
	s_mul_hi_u32 s21, s15, s7
	s_mul_i32 s7, s15, s7
	s_add_nc_u64 s[22:23], s[22:23], s[26:27]
	s_mul_hi_u32 s3, s15, s9
	s_wait_alu 0xfffe
	s_add_co_u32 s7, s22, s7
	s_add_co_ci_u32 s24, s23, s21
	s_mul_i32 s26, s15, s9
	s_add_co_ci_u32 s27, s3, 0
	s_delay_alu instid0(SALU_CYCLE_1) | instskip(NEXT) | instid1(SALU_CYCLE_1)
	s_add_nc_u64 s[22:23], s[24:25], s[26:27]
	s_mul_u64 s[24:25], s[10:11], s[22:23]
	s_add_nc_u64 s[26:27], s[22:23], 1
	s_sub_co_u32 s3, s14, s24
	s_cselect_b32 s7, -1, 0
	s_sub_co_i32 s9, s15, s25
	s_wait_alu 0xfffe
	s_cmp_lg_u32 s7, 0
	s_add_nc_u64 s[28:29], s[22:23], 2
	s_sub_co_ci_u32 s9, s9, s11
	s_sub_co_u32 s14, s3, s10
	s_cselect_b32 s21, -1, 0
	s_delay_alu instid0(SALU_CYCLE_1) | instskip(SKIP_1) | instid1(SALU_CYCLE_1)
	s_cmp_lg_u32 s21, 0
	s_sub_co_ci_u32 s9, s9, 0
	s_cmp_ge_u32 s9, s11
	s_cselect_b32 s21, -1, 0
	s_cmp_ge_u32 s14, s10
	s_cselect_b32 s14, -1, 0
	s_cmp_eq_u32 s9, s11
	s_cselect_b32 s9, s14, s21
	s_delay_alu instid0(SALU_CYCLE_1)
	s_cmp_lg_u32 s9, 0
	s_cselect_b32 s9, s28, s26
	s_cselect_b32 s14, s29, s27
	s_cmp_lg_u32 s7, 0
	s_sub_co_ci_u32 s7, s15, s25
	s_wait_alu 0xfffe
	s_cmp_ge_u32 s7, s11
	s_cselect_b32 s15, -1, 0
	s_cmp_ge_u32 s3, s10
	s_cselect_b32 s3, -1, 0
	s_cmp_eq_u32 s7, s11
	s_cselect_b32 s3, s3, s15
	s_delay_alu instid0(SALU_CYCLE_1) | instskip(SKIP_3) | instid1(SALU_CYCLE_1)
	s_cmp_lg_u32 s3, 0
	s_cselect_b32 s11, s14, s23
	s_cselect_b32 s10, s9, s22
	s_xor_b64 s[12:13], s[12:13], 0
	s_xor_b64 s[10:11], s[10:11], s[12:13]
	s_delay_alu instid0(SALU_CYCLE_1)
	s_sub_nc_u64 s[10:11], s[10:11], s[12:13]
	s_load_b96 s[12:14], s[0:1], 0x44
	s_and_not1_b32 vcc_lo, exec_lo, s8
	s_cbranch_vccnz .LBB23_6
.LBB23_5:
	v_cvt_f32_u32_e32 v1, s16
	s_sub_co_i32 s7, 0, s16
	s_delay_alu instid0(VALU_DEP_1) | instskip(NEXT) | instid1(TRANS32_DEP_1)
	v_rcp_iflag_f32_e32 v1, v1
	v_mul_f32_e32 v1, 0x4f7ffffe, v1
	s_delay_alu instid0(VALU_DEP_1) | instskip(NEXT) | instid1(VALU_DEP_1)
	v_cvt_u32_f32_e32 v1, v1
	v_readfirstlane_b32 s3, v1
	s_wait_alu 0xfffe
	s_mul_i32 s7, s7, s3
	s_wait_alu 0xfffe
	s_mul_hi_u32 s7, s3, s7
	s_wait_alu 0xfffe
	s_add_co_i32 s3, s3, s7
	s_delay_alu instid0(SALU_CYCLE_1) | instskip(NEXT) | instid1(SALU_CYCLE_1)
	s_mul_hi_u32 s3, s2, s3
	s_mul_i32 s7, s3, s16
	s_wait_alu 0xfffe
	s_sub_co_i32 s2, s2, s7
	s_add_co_i32 s7, s3, 1
	s_sub_co_i32 s8, s2, s16
	s_cmp_ge_u32 s2, s16
	s_wait_alu 0xfffe
	s_cselect_b32 s3, s7, s3
	s_cselect_b32 s2, s8, s2
	s_add_co_i32 s7, s3, 1
	s_cmp_ge_u32 s2, s16
	s_wait_alu 0xfffe
	s_cselect_b32 s10, s7, s3
.LBB23_6:
	s_mov_b32 s21, 0
	s_wait_kmcnt 0x0
	s_mov_b32 s22, s12
	s_mov_b32 s23, s21
	s_cmp_eq_u32 s20, s10
	s_mul_u64 s[2:3], s[20:21], s[22:23]
	s_cselect_b32 s7, -1, 0
	s_add_co_i32 s2, s3, s20
	s_mov_b32 s11, s21
	s_lshr_b32 s12, s2, s13
	s_mul_u64 s[2:3], s[10:11], s[22:23]
	s_mul_i32 s2, s12, s14
	s_delay_alu instid0(SALU_CYCLE_1) | instskip(SKIP_2) | instid1(SALU_CYCLE_1)
	s_cmp_eq_u32 s2, s20
	s_cselect_b32 s2, -1, 0
	s_add_co_i32 s3, s3, s10
	s_lshr_b32 s3, s3, s13
	s_delay_alu instid0(SALU_CYCLE_1)
	s_cmp_eq_u32 s12, s3
	s_mul_i32 s3, s3, s14
	s_cselect_b32 s8, -1, 0
	s_cmp_lg_u32 s3, s10
	s_cselect_b32 s3, -1, 0
	s_wait_alu 0xfffe
	s_or_b32 s2, s7, s2
	s_and_b32 s3, s8, s3
	s_delay_alu instid0(SALU_CYCLE_1) | instskip(NEXT) | instid1(SALU_CYCLE_1)
	s_or_b32 s2, s2, s3
	s_and_b32 vcc_lo, exec_lo, s2
	s_cbranch_vccnz .LBB23_24
; %bb.7:
	s_load_b256 s[24:31], s[0:1], 0x20
	s_mov_b32 s3, s21
	s_wait_kmcnt 0x0
	s_mov_b32 s2, s24
	s_delay_alu instid0(SALU_CYCLE_1) | instskip(NEXT) | instid1(SALU_CYCLE_1)
	s_mul_u64 s[2:3], s[20:21], s[2:3]
	s_add_co_i32 s2, s3, s20
	s_delay_alu instid0(SALU_CYCLE_1) | instskip(SKIP_2) | instid1(SALU_CYCLE_1)
	s_lshr_b32 s7, s2, s25
	s_load_b32 s2, s[0:1], 0x40
	s_mul_i32 s3, s7, s26
	s_sub_co_i32 s3, s20, s3
	s_delay_alu instid0(SALU_CYCLE_1) | instskip(NEXT) | instid1(SALU_CYCLE_1)
	s_mul_hi_u32 s8, s3, s27
	s_add_co_i32 s8, s3, s8
	s_delay_alu instid0(SALU_CYCLE_1) | instskip(NEXT) | instid1(SALU_CYCLE_1)
	s_lshr_b32 s8, s8, s28
	s_mul_i32 s9, s8, s29
	s_delay_alu instid0(SALU_CYCLE_1) | instskip(NEXT) | instid1(SALU_CYCLE_1)
	s_sub_co_i32 s9, s3, s9
	s_mul_hi_u32 s3, s9, s30
	s_delay_alu instid0(SALU_CYCLE_1) | instskip(NEXT) | instid1(SALU_CYCLE_1)
	s_add_co_i32 s3, s9, s3
	s_lshr_b32 s24, s3, s31
	s_mov_b32 s3, s21
	s_wait_kmcnt 0x0
	s_mul_i32 s2, s24, s2
	s_lshl_b32 s21, s24, 2
	s_sub_co_i32 s2, s9, s2
	s_delay_alu instid0(SALU_CYCLE_1) | instskip(SKIP_2) | instid1(SALU_CYCLE_1)
	s_mul_u64 s[10:11], s[2:3], s[22:23]
	s_lshr_b32 s3, ttmp7, 16
	s_add_co_i32 s2, s2, s11
	s_lshr_b32 s15, s2, s13
	s_and_b32 s2, ttmp7, 0xffff
	s_lshl_b32 s9, s15, 3
	s_delay_alu instid0(SALU_CYCLE_1) | instskip(NEXT) | instid1(SALU_CYCLE_1)
	s_add_co_i32 s9, s9, s2
	s_cmp_lt_i32 s9, s4
	s_cselect_b32 s9, -1, 0
	s_add_co_i32 s10, s21, s3
	s_delay_alu instid0(SALU_CYCLE_1) | instskip(SKIP_1) | instid1(SALU_CYCLE_1)
	s_cmp_lt_i32 s10, s6
	s_cselect_b32 s10, -1, 0
	s_and_b32 s9, s9, s10
	s_delay_alu instid0(SALU_CYCLE_1)
	s_and_not1_b32 vcc_lo, exec_lo, s9
	s_cbranch_vccnz .LBB23_24
; %bb.8:
	s_mul_i32 s4, s7, s4
	s_mul_i32 s6, s8, s6
	s_add_co_i32 s4, s4, s2
	s_load_b128 s[8:11], s[0:1], 0x0
	s_mul_i32 s4, s4, s5
	s_mul_i32 s1, s5, s15
	s_add_co_i32 s4, s4, s3
	s_lshl_b32 s1, s1, 10
	s_add_co_i32 s0, s4, s6
	s_lshl_b32 s15, s2, 2
	s_add_co_i32 s0, s0, s21
	s_add_co_i32 s15, s15, s3
	s_lshl_b32 s0, s0, 7
	v_cvt_f32_u32_e32 v4, s16
	s_add_co_i32 s1, s1, s0
	s_add_co_i32 s34, ttmp9, -1
	v_or_b32_e32 v1, s1, v0
	s_add_nc_u64 s[0:1], s[16:17], 0
	v_rcp_iflag_f32_e32 v4, v4
	s_wait_alu 0xfffe
	s_xor_b64 s[6:7], s[0:1], 0
	s_lshl_b32 s0, ttmp9, 5
	v_ashrrev_i32_e32 v2, 31, v1
	s_wait_alu 0xfffe
	s_cvt_f32_u32 s1, s6
	s_cvt_f32_u32 s2, s7
	s_add_co_i32 s0, s15, s0
	v_lshl_or_b32 v0, s15, 7, v0
	v_lshlrev_b64_e32 v[1:2], 2, v[1:2]
	s_wait_alu 0xfffe
	s_fmamk_f32 s2, s2, 0x4f800000, s1
	s_ashr_i32 s1, s0, 31
	s_sub_nc_u64 s[30:31], 0, s[6:7]
	s_wait_alu 0xfffe
	s_lshl_b64 s[0:1], s[0:1], 3
	v_s_rcp_f32 s2, s2
	s_wait_kmcnt 0x0
	v_add_co_u32 v1, vcc_lo, s8, v1
	s_delay_alu instid0(VALU_DEP_1)
	v_add_co_ci_u32_e64 v2, null, s9, v2, vcc_lo
	s_wait_alu 0xfffe
	s_add_nc_u64 s[0:1], s[10:11], s[0:1]
	s_mov_b32 s8, 0
	s_load_b64 s[26:27], s[0:1], 0x0
	global_load_b32 v3, v[1:2], off
	s_mul_f32 s2, s2, 0x5f7ffffc
	v_mul_f32_e32 v4, 0x4f7ffffe, v4
	s_lshl_b32 s0, s16, 7
	s_wait_alu 0xfffe
	s_mul_f32 s1, s2, 0x2f800000
	s_wait_alu 0xfffe
	s_delay_alu instid0(SALU_CYCLE_2)
	s_trunc_f32 s3, s1
	s_mov_b32 s1, s8
	s_wait_alu 0xfffe
	s_lshl_b64 s[0:1], s[0:1], 2
	s_fmamk_f32 s2, s3, 0xcf800000, s2
	s_cvt_u32_f32 s29, s3
	s_wait_alu 0xfffe
	s_add_nc_u64 s[24:25], s[10:11], s[0:1]
	s_cvt_u32_f32 s28, s2
	s_wait_kmcnt 0x0
	v_mov_b32_e32 v5, s27
	v_cvt_u32_f32_e32 v4, v4
.LBB23_9:                               ; =>This Inner Loop Header: Depth=1
	s_wait_alu 0xfffe
	s_ashr_i32 s35, s34, 31
	s_mov_b32 s2, -1
	s_wait_alu 0xfffe
	s_mul_u64 s[0:1], s[34:35], s[18:19]
                                        ; implicit-def: $sgpr38_sgpr39
	s_wait_alu 0xfffe
	s_mov_b32 s9, s1
	s_wait_alu 0xfffe
	s_cmp_lg_u64 s[8:9], 0
	s_cbranch_scc0 .LBB23_11
; %bb.10:                               ;   in Loop: Header=BB23_9 Depth=1
	s_mul_u64 s[2:3], s[30:31], s[28:29]
	s_mov_b32 s37, s8
	s_wait_alu 0xfffe
	s_mul_hi_u32 s5, s28, s3
	s_mul_i32 s4, s28, s3
	s_mul_hi_u32 s36, s28, s2
	s_mul_hi_u32 s9, s29, s2
	s_wait_alu 0xfffe
	s_add_nc_u64 s[4:5], s[36:37], s[4:5]
	s_mul_i32 s2, s29, s2
	s_mul_hi_u32 s17, s29, s3
	s_wait_alu 0xfffe
	s_add_co_u32 s2, s4, s2
	s_add_co_ci_u32 s2, s5, s9
	s_add_co_ci_u32 s5, s17, 0
	s_mul_i32 s4, s29, s3
	s_mov_b32 s3, s8
	s_mov_b32 s39, s8
	s_wait_alu 0xfffe
	s_add_nc_u64 s[2:3], s[2:3], s[4:5]
	s_wait_alu 0xfffe
	s_add_co_u32 s2, s28, s2
	s_cselect_b32 s4, -1, 0
	s_wait_alu 0xfffe
	s_cmp_lg_u32 s4, 0
	s_add_co_ci_u32 s3, s29, s3
	s_wait_alu 0xfffe
	s_mul_u64 s[4:5], s[30:31], s[2:3]
	s_wait_alu 0xfffe
	s_mul_hi_u32 s37, s2, s5
	s_mul_i32 s36, s2, s5
	s_mul_hi_u32 s38, s2, s4
	s_mul_hi_u32 s9, s3, s4
	s_mul_i32 s4, s3, s4
	s_wait_alu 0xfffe
	s_add_nc_u64 s[36:37], s[38:39], s[36:37]
	s_mul_hi_u32 s17, s3, s5
	s_wait_alu 0xfffe
	s_add_co_u32 s4, s36, s4
	s_add_co_ci_u32 s4, s37, s9
	s_add_co_ci_u32 s37, s17, 0
	s_mul_i32 s36, s3, s5
	s_mov_b32 s5, s8
	s_wait_alu 0xfffe
	s_add_nc_u64 s[4:5], s[4:5], s[36:37]
	s_mov_b32 s37, s8
	s_wait_alu 0xfffe
	s_add_co_u32 s9, s2, s4
	s_cselect_b32 s2, -1, 0
	s_wait_alu 0xfffe
	s_cmp_lg_u32 s2, 0
	s_add_co_ci_u32 s17, s3, s5
	s_ashr_i32 s2, s1, 31
	s_wait_alu 0xfffe
	s_mov_b32 s3, s2
	s_wait_alu 0xfffe
	s_add_nc_u64 s[4:5], s[0:1], s[2:3]
	s_wait_alu 0xfffe
	s_xor_b64 s[4:5], s[4:5], s[2:3]
	s_wait_alu 0xfffe
	s_mul_hi_u32 s39, s4, s17
	s_mul_i32 s38, s4, s17
	s_mul_hi_u32 s36, s4, s9
	s_mul_i32 s21, s5, s9
	s_wait_alu 0xfffe
	s_add_nc_u64 s[36:37], s[36:37], s[38:39]
	s_mul_hi_u32 s9, s5, s9
	s_mul_hi_u32 s1, s5, s17
	s_wait_alu 0xfffe
	s_add_co_u32 s21, s36, s21
	s_add_co_ci_u32 s36, s37, s9
	s_add_co_ci_u32 s39, s1, 0
	s_mul_i32 s38, s5, s17
	s_mov_b32 s37, s8
	s_wait_alu 0xfffe
	s_add_nc_u64 s[36:37], s[36:37], s[38:39]
	s_wait_alu 0xfffe
	s_mul_u64 s[38:39], s[6:7], s[36:37]
	s_add_nc_u64 s[40:41], s[36:37], 1
	s_sub_co_u32 s1, s4, s38
	s_cselect_b32 s4, -1, 0
	s_sub_co_i32 s9, s5, s39
	s_wait_alu 0xfffe
	s_cmp_lg_u32 s4, 0
	s_add_nc_u64 s[42:43], s[36:37], 2
	s_sub_co_ci_u32 s9, s9, s7
	s_sub_co_u32 s17, s1, s6
	s_cselect_b32 s21, -1, 0
	s_delay_alu instid0(SALU_CYCLE_1)
	s_cmp_lg_u32 s21, 0
	s_wait_alu 0xfffe
	s_sub_co_ci_u32 s9, s9, 0
	s_wait_alu 0xfffe
	s_cmp_ge_u32 s9, s7
	s_cselect_b32 s21, -1, 0
	s_cmp_ge_u32 s17, s6
	s_cselect_b32 s17, -1, 0
	s_cmp_eq_u32 s9, s7
	s_wait_alu 0xfffe
	s_cselect_b32 s9, s17, s21
	s_wait_alu 0xfffe
	s_cmp_lg_u32 s9, 0
	s_cselect_b32 s9, s42, s40
	s_cselect_b32 s17, s43, s41
	s_cmp_lg_u32 s4, 0
	s_sub_co_ci_u32 s4, s5, s39
	s_wait_alu 0xfffe
	s_cmp_ge_u32 s4, s7
	s_cselect_b32 s5, -1, 0
	s_cmp_ge_u32 s1, s6
	s_cselect_b32 s1, -1, 0
	s_cmp_eq_u32 s4, s7
	s_wait_alu 0xfffe
	s_cselect_b32 s1, s1, s5
	s_wait_alu 0xfffe
	s_cmp_lg_u32 s1, 0
	s_cselect_b32 s5, s17, s37
	s_cselect_b32 s4, s9, s36
	s_xor_b64 s[2:3], s[2:3], 0
	s_wait_alu 0xfffe
	s_xor_b64 s[4:5], s[4:5], s[2:3]
	s_wait_alu 0xfffe
	s_sub_nc_u64 s[38:39], s[4:5], s[2:3]
	s_mov_b32 s2, 0
.LBB23_11:                              ;   in Loop: Header=BB23_9 Depth=1
	s_wait_alu 0xfffe
	s_and_not1_b32 vcc_lo, exec_lo, s2
	s_wait_alu 0xfffe
	s_cbranch_vccnz .LBB23_13
; %bb.12:                               ;   in Loop: Header=BB23_9 Depth=1
	v_readfirstlane_b32 s1, v4
	s_sub_co_i32 s2, 0, s16
	s_wait_alu 0xfffe
	s_mul_i32 s2, s2, s1
	s_wait_alu 0xfffe
	s_mul_hi_u32 s2, s1, s2
	s_wait_alu 0xfffe
	s_add_co_i32 s1, s1, s2
	s_wait_alu 0xfffe
	s_mul_hi_u32 s1, s0, s1
	s_wait_alu 0xfffe
	s_mul_i32 s2, s1, s16
	s_wait_alu 0xfffe
	s_sub_co_i32 s0, s0, s2
	s_add_co_i32 s2, s1, 1
	s_wait_alu 0xfffe
	s_sub_co_i32 s3, s0, s16
	s_cmp_ge_u32 s0, s16
	s_cselect_b32 s1, s2, s1
	s_wait_alu 0xfffe
	s_cselect_b32 s0, s3, s0
	s_add_co_i32 s2, s1, 1
	s_wait_alu 0xfffe
	s_cmp_ge_u32 s0, s16
	s_cselect_b32 s38, s2, s1
.LBB23_13:                              ;   in Loop: Header=BB23_9 Depth=1
	v_readfirstlane_b32 s9, v0
	s_cmp_lg_u32 s20, s38
	s_mov_b32 s0, -1
                                        ; implicit-def: $sgpr21
                                        ; implicit-def: $vgpr6
                                        ; implicit-def: $vgpr7
                                        ; implicit-def: $sgpr17
                                        ; implicit-def: $sgpr27
	s_cbranch_scc1 .LBB23_16
; %bb.14:                               ;   in Loop: Header=BB23_9 Depth=1
	s_wait_alu 0xfffe
	s_and_not1_b32 vcc_lo, exec_lo, s0
	s_wait_alu 0xfffe
	s_cbranch_vccz .LBB23_19
.LBB23_15:                              ;   in Loop: Header=BB23_9 Depth=1
	s_and_not1_b32 vcc_lo, exec_lo, s21
	s_wait_alu 0xfffe
	s_cbranch_vccnz .LBB23_20
	s_branch .LBB23_23
.LBB23_16:                              ;   in Loop: Header=BB23_9 Depth=1
	s_add_co_i32 s0, s34, s16
	s_mov_b32 s1, s8
	s_wait_alu 0xfffe
	s_lshl_b32 s0, s0, 5
	v_max_num_f32_e64 v6, s26, s26
	s_wait_alu 0xfffe
	s_add_co_i32 s0, s0, s15
	s_mov_b32 s39, s8
	s_wait_alu 0xfffe
	s_lshl_b64 s[0:1], s[0:1], 3
	s_mul_u64 s[40:41], s[38:39], s[22:23]
	s_wait_alu 0xfffe
	s_add_nc_u64 s[0:1], s[10:11], s[0:1]
	s_mov_b32 s27, s20
	s_load_b64 s[36:37], s[0:1], 0x0
	v_readfirstlane_b32 s0, v6
	s_wait_kmcnt 0x0
	v_max_num_f32_e64 v7, s36, s36
	s_delay_alu instid0(VALU_DEP_1) | instskip(SKIP_2) | instid1(SALU_CYCLE_2)
	v_readfirstlane_b32 s1, v7
	s_max_num_f32 s9, s0, s1
	s_wait_alu 0xfffe
	s_sub_f32 s33, s26, s9
	s_sub_f32 s35, s36, s9
	s_wait_alu 0xfffe
	s_delay_alu instid0(SALU_CYCLE_1)
	s_cmp_nlt_f32 s33, 0xc2ce8ed0
	s_cselect_b32 s0, -1, 0
	s_cmp_ngt_f32 s33, 0x42b17218
	s_cselect_b32 s1, -1, 0
	s_cmp_ge_f32 s33, 0xc1a00000
	s_cselect_b32 s2, -1, 0
	s_cmp_nlt_f32 s35, 0xc2ce8ed0
	s_cselect_b32 s3, -1, 0
	s_cmp_ngt_f32 s35, 0x42b17218
	s_cselect_b32 s4, -1, 0
	s_cmp_ge_f32 s35, 0xc1a00000
	s_cselect_b32 s5, -1, 0
	s_add_co_i32 s17, s41, s38
	s_wait_alu 0xfffe
	s_lshr_b32 s17, s17, s13
	s_wait_alu 0xfffe
	s_mul_i32 s21, s17, s14
	s_delay_alu instid0(SALU_CYCLE_1)
	s_cmp_eq_u32 s21, s38
	s_cselect_b32 s21, -1, 0
	s_cmp_lt_u32 s17, s12
	s_cselect_b32 s17, -1, 0
	s_wait_alu 0xfffe
	s_or_b32 s17, s17, s21
	s_mov_b32 s21, -1
	s_wait_alu 0xfffe
	s_and_b32 vcc_lo, exec_lo, s17
	s_mov_b32 s17, s34
	s_wait_alu 0xfffe
	s_cbranch_vccnz .LBB23_18
; %bb.17:                               ;   in Loop: Header=BB23_9 Depth=1
	s_add_co_i32 s17, s34, -1
	s_mov_b32 s21, 0
	s_mov_b32 s27, s38
.LBB23_18:                              ;   in Loop: Header=BB23_9 Depth=1
	v_lshl_add_u32 v6, s34, 12, v0
	s_mul_f32 s36, s35, 0x3fb8aa3b
	s_mul_f32 s38, s33, 0x3fb8aa3b
	s_wait_alu 0xfffe
	s_delay_alu instid0(SALU_CYCLE_1)
	s_xor_b32 s39, s36, 0x80000000
	v_ashrrev_i32_e32 v7, 31, v6
	s_rndne_f32 s40, s36
	s_fmamk_f32 s39, s35, 0x3fb8aa3b, s39
	s_xor_b32 s41, s38, 0x80000000
	s_rndne_f32 s42, s38
	v_lshlrev_b64_e32 v[6:7], 2, v[6:7]
	s_sub_f32 s36, s36, s40
	s_fmamk_f32 s35, s35, 0x32a5705f, s39
	s_fmamk_f32 s39, s33, 0x3fb8aa3b, s41
	s_sub_f32 s38, s38, s42
	s_delay_alu instid0(VALU_DEP_1)
	v_add_co_u32 v6, vcc_lo, s24, v6
	s_wait_alu 0xfffd
	v_add_co_ci_u32_e64 v7, null, s25, v7, vcc_lo
	s_wait_alu 0xfffe
	s_add_f32 s35, s36, s35
	s_fmamk_f32 s33, s33, 0x32a5705f, s39
	s_cvt_i32_f32 s36, s40
	global_load_b32 v6, v[6:7], off
	s_wait_alu 0xfffe
	v_s_exp_f32 s35, s35
	s_add_f32 s33, s38, s33
	s_wait_alu 0xfffe
	s_delay_alu instid0(SALU_CYCLE_2) | instskip(NEXT) | instid1(TRANS32_DEP_2)
	v_s_exp_f32 s33, s33
	v_ldexp_f32 v7, s35, s36
	s_cvt_i32_f32 s35, s42
	s_wait_alu 0xf1fe
	s_delay_alu instid0(TRANS32_DEP_1) | instid1(SALU_CYCLE_2)
	v_ldexp_f32 v8, s33, s35
	s_delay_alu instid0(VALU_DEP_2) | instskip(NEXT) | instid1(VALU_DEP_2)
	v_cndmask_b32_e64 v7, 0, v7, s3
	v_cndmask_b32_e64 v8, 0, v8, s0
	s_delay_alu instid0(VALU_DEP_2) | instskip(NEXT) | instid1(VALU_DEP_2)
	v_cndmask_b32_e64 v7, 0x7f800000, v7, s4
	v_cndmask_b32_e64 v8, 0x7f800000, v8, s1
	;; [unrolled: 3-line block ×3, first 2 shown]
	s_wait_loadcnt 0x0
	s_delay_alu instid0(VALU_DEP_2) | instskip(SKIP_1) | instid1(VALU_DEP_1)
	v_mul_f32_e32 v6, v6, v7
	v_mul_f32_e32 v7, s37, v7
	v_fmac_f32_e32 v7, v5, v8
	s_delay_alu instid0(VALU_DEP_3)
	v_fmac_f32_e32 v6, v3, v8
	s_cbranch_execnz .LBB23_15
.LBB23_19:                              ;   in Loop: Header=BB23_9 Depth=1
	s_wait_loadcnt 0x0
	v_dual_mov_b32 v7, v5 :: v_dual_mov_b32 v6, v3
	s_add_co_i32 s17, s34, -1
	s_mov_b32 s27, s20
	s_mov_b32 s9, s26
	s_cbranch_execz .LBB23_23
.LBB23_20:                              ;   in Loop: Header=BB23_9 Depth=1
	v_mov_b32_e32 v5, v7
	s_wait_loadcnt 0x0
	v_mov_b32_e32 v3, v6
	s_wait_alu 0xfffe
	s_mov_b32 s20, s27
	s_mov_b32 s34, s17
	;; [unrolled: 1-line block ×3, first 2 shown]
	s_branch .LBB23_9
.LBB23_21:
                                        ; implicit-def: $sgpr20_sgpr21
	s_branch .LBB23_2
.LBB23_22:
                                        ; implicit-def: $sgpr10_sgpr11
	s_load_b96 s[12:14], s[0:1], 0x44
	s_branch .LBB23_5
.LBB23_23:
	v_div_scale_f32 v0, null, v7, v7, v6
	s_wait_loadcnt 0x0
	s_delay_alu instid0(VALU_DEP_1) | instskip(NEXT) | instid1(TRANS32_DEP_1)
	v_rcp_f32_e32 v3, v0
	v_fma_f32 v4, -v0, v3, 1.0
	s_delay_alu instid0(VALU_DEP_1) | instskip(SKIP_1) | instid1(VALU_DEP_1)
	v_fmac_f32_e32 v3, v4, v3
	v_div_scale_f32 v4, vcc_lo, v6, v7, v6
	v_mul_f32_e32 v5, v4, v3
	s_delay_alu instid0(VALU_DEP_1) | instskip(NEXT) | instid1(VALU_DEP_1)
	v_fma_f32 v8, -v0, v5, v4
	v_fmac_f32_e32 v5, v8, v3
	s_delay_alu instid0(VALU_DEP_1) | instskip(SKIP_1) | instid1(VALU_DEP_1)
	v_fma_f32 v0, -v0, v5, v4
	s_wait_alu 0xfffd
	v_div_fmas_f32 v0, v0, v3, v5
	s_delay_alu instid0(VALU_DEP_1)
	v_div_fixup_f32 v0, v0, v7, v6
	global_store_b32 v[1:2], v0, off
.LBB23_24:
	s_endpgm
	.section	.rodata,"a",@progbits
	.p2align	6, 0x0
	.amdhsa_kernel _ZL33flash_attn_stream_k_fixup_generalILi128ELi8ELi4EEvPfPK15HIP_vector_typeIfLj2EEiiiiS1_IjLj3EES5_S5_S5_
		.amdhsa_group_segment_fixed_size 0
		.amdhsa_private_segment_fixed_size 0
		.amdhsa_kernarg_size 336
		.amdhsa_user_sgpr_count 2
		.amdhsa_user_sgpr_dispatch_ptr 0
		.amdhsa_user_sgpr_queue_ptr 0
		.amdhsa_user_sgpr_kernarg_segment_ptr 1
		.amdhsa_user_sgpr_dispatch_id 0
		.amdhsa_user_sgpr_private_segment_size 0
		.amdhsa_wavefront_size32 1
		.amdhsa_uses_dynamic_stack 0
		.amdhsa_enable_private_segment 0
		.amdhsa_system_sgpr_workgroup_id_x 1
		.amdhsa_system_sgpr_workgroup_id_y 1
		.amdhsa_system_sgpr_workgroup_id_z 1
		.amdhsa_system_sgpr_workgroup_info 0
		.amdhsa_system_vgpr_workitem_id 0
		.amdhsa_next_free_vgpr 9
		.amdhsa_next_free_sgpr 44
		.amdhsa_reserve_vcc 1
		.amdhsa_float_round_mode_32 0
		.amdhsa_float_round_mode_16_64 0
		.amdhsa_float_denorm_mode_32 3
		.amdhsa_float_denorm_mode_16_64 3
		.amdhsa_fp16_overflow 0
		.amdhsa_workgroup_processor_mode 1
		.amdhsa_memory_ordered 1
		.amdhsa_forward_progress 1
		.amdhsa_inst_pref_size 28
		.amdhsa_round_robin_scheduling 0
		.amdhsa_exception_fp_ieee_invalid_op 0
		.amdhsa_exception_fp_denorm_src 0
		.amdhsa_exception_fp_ieee_div_zero 0
		.amdhsa_exception_fp_ieee_overflow 0
		.amdhsa_exception_fp_ieee_underflow 0
		.amdhsa_exception_fp_ieee_inexact 0
		.amdhsa_exception_int_div_zero 0
	.end_amdhsa_kernel
	.section	.text._ZL33flash_attn_stream_k_fixup_generalILi128ELi8ELi4EEvPfPK15HIP_vector_typeIfLj2EEiiiiS1_IjLj3EES5_S5_S5_,"axG",@progbits,_ZL33flash_attn_stream_k_fixup_generalILi128ELi8ELi4EEvPfPK15HIP_vector_typeIfLj2EEiiiiS1_IjLj3EES5_S5_S5_,comdat
.Lfunc_end23:
	.size	_ZL33flash_attn_stream_k_fixup_generalILi128ELi8ELi4EEvPfPK15HIP_vector_typeIfLj2EEiiiiS1_IjLj3EES5_S5_S5_, .Lfunc_end23-_ZL33flash_attn_stream_k_fixup_generalILi128ELi8ELi4EEvPfPK15HIP_vector_typeIfLj2EEiiiiS1_IjLj3EES5_S5_S5_
                                        ; -- End function
	.set _ZL33flash_attn_stream_k_fixup_generalILi128ELi8ELi4EEvPfPK15HIP_vector_typeIfLj2EEiiiiS1_IjLj3EES5_S5_S5_.num_vgpr, 9
	.set _ZL33flash_attn_stream_k_fixup_generalILi128ELi8ELi4EEvPfPK15HIP_vector_typeIfLj2EEiiiiS1_IjLj3EES5_S5_S5_.num_agpr, 0
	.set _ZL33flash_attn_stream_k_fixup_generalILi128ELi8ELi4EEvPfPK15HIP_vector_typeIfLj2EEiiiiS1_IjLj3EES5_S5_S5_.numbered_sgpr, 44
	.set _ZL33flash_attn_stream_k_fixup_generalILi128ELi8ELi4EEvPfPK15HIP_vector_typeIfLj2EEiiiiS1_IjLj3EES5_S5_S5_.num_named_barrier, 0
	.set _ZL33flash_attn_stream_k_fixup_generalILi128ELi8ELi4EEvPfPK15HIP_vector_typeIfLj2EEiiiiS1_IjLj3EES5_S5_S5_.private_seg_size, 0
	.set _ZL33flash_attn_stream_k_fixup_generalILi128ELi8ELi4EEvPfPK15HIP_vector_typeIfLj2EEiiiiS1_IjLj3EES5_S5_S5_.uses_vcc, 1
	.set _ZL33flash_attn_stream_k_fixup_generalILi128ELi8ELi4EEvPfPK15HIP_vector_typeIfLj2EEiiiiS1_IjLj3EES5_S5_S5_.uses_flat_scratch, 0
	.set _ZL33flash_attn_stream_k_fixup_generalILi128ELi8ELi4EEvPfPK15HIP_vector_typeIfLj2EEiiiiS1_IjLj3EES5_S5_S5_.has_dyn_sized_stack, 0
	.set _ZL33flash_attn_stream_k_fixup_generalILi128ELi8ELi4EEvPfPK15HIP_vector_typeIfLj2EEiiiiS1_IjLj3EES5_S5_S5_.has_recursion, 0
	.set _ZL33flash_attn_stream_k_fixup_generalILi128ELi8ELi4EEvPfPK15HIP_vector_typeIfLj2EEiiiiS1_IjLj3EES5_S5_S5_.has_indirect_call, 0
	.section	.AMDGPU.csdata,"",@progbits
; Kernel info:
; codeLenInByte = 3548
; TotalNumSgprs: 46
; NumVgprs: 9
; ScratchSize: 0
; MemoryBound: 0
; FloatMode: 240
; IeeeMode: 1
; LDSByteSize: 0 bytes/workgroup (compile time only)
; SGPRBlocks: 0
; VGPRBlocks: 1
; NumSGPRsForWavesPerEU: 46
; NumVGPRsForWavesPerEU: 9
; Occupancy: 16
; WaveLimiterHint : 0
; COMPUTE_PGM_RSRC2:SCRATCH_EN: 0
; COMPUTE_PGM_RSRC2:USER_SGPR: 2
; COMPUTE_PGM_RSRC2:TRAP_HANDLER: 0
; COMPUTE_PGM_RSRC2:TGID_X_EN: 1
; COMPUTE_PGM_RSRC2:TGID_Y_EN: 1
; COMPUTE_PGM_RSRC2:TGID_Z_EN: 1
; COMPUTE_PGM_RSRC2:TIDIG_COMP_CNT: 0
	.section	.text._ZL15flash_attn_tileILi128ELi128ELi4ELi4ELb0EEvPKcS1_S1_S1_S1_PKiPfP15HIP_vector_typeIfLj2EEffffjfiS5_IjLj3EEiiiiiiiiiiiliiliiiiil,"axG",@progbits,_ZL15flash_attn_tileILi128ELi128ELi4ELi4ELb0EEvPKcS1_S1_S1_S1_PKiPfP15HIP_vector_typeIfLj2EEffffjfiS5_IjLj3EEiiiiiiiiiiiliiliiiiil,comdat
	.globl	_ZL15flash_attn_tileILi128ELi128ELi4ELi4ELb0EEvPKcS1_S1_S1_S1_PKiPfP15HIP_vector_typeIfLj2EEffffjfiS5_IjLj3EEiiiiiiiiiiiliiliiiiil ; -- Begin function _ZL15flash_attn_tileILi128ELi128ELi4ELi4ELb0EEvPKcS1_S1_S1_S1_PKiPfP15HIP_vector_typeIfLj2EEffffjfiS5_IjLj3EEiiiiiiiiiiiliiliiiiil
	.p2align	8
	.type	_ZL15flash_attn_tileILi128ELi128ELi4ELi4ELb0EEvPKcS1_S1_S1_S1_PKiPfP15HIP_vector_typeIfLj2EEffffjfiS5_IjLj3EEiiiiiiiiiiiliiliiiiil,@function
_ZL15flash_attn_tileILi128ELi128ELi4ELi4ELb0EEvPKcS1_S1_S1_S1_PKiPfP15HIP_vector_typeIfLj2EEffffjfiS5_IjLj3EEiiiiiiiiiiiliiliiiiil: ; @_ZL15flash_attn_tileILi128ELi128ELi4ELi4ELb0EEvPKcS1_S1_S1_S1_PKiPfP15HIP_vector_typeIfLj2EEffffjfiS5_IjLj3EEiiiiiiiiiiiliiliiiiil
; %bb.0:
	s_clause 0x1
	s_load_b128 s[36:39], s[0:1], 0x5c
	s_load_b64 s[40:41], s[0:1], 0x80
	s_lshr_b32 s5, ttmp7, 16
	s_clause 0x1
	s_load_b512 s[16:31], s[0:1], 0x0
	s_load_b64 s[8:9], s[0:1], 0xb8
	s_mov_b64 s[42:43], 0
	s_wait_kmcnt 0x0
	s_ashr_i32 s2, s39, 31
	s_delay_alu instid0(SALU_CYCLE_1) | instskip(NEXT) | instid1(SALU_CYCLE_1)
	s_lshr_b32 s2, s2, 30
	s_add_co_i32 s2, s39, s2
	s_delay_alu instid0(SALU_CYCLE_1) | instskip(NEXT) | instid1(SALU_CYCLE_1)
	s_ashr_i32 s2, s2, 2
	s_cvt_f32_u32 s3, s2
	s_sub_co_i32 s4, 0, s2
	s_delay_alu instid0(SALU_CYCLE_2) | instskip(NEXT) | instid1(TRANS32_DEP_1)
	v_rcp_iflag_f32_e32 v1, s3
	v_readfirstlane_b32 s3, v1
	s_mul_f32 s3, s3, 0x4f7ffffe
	s_wait_alu 0xfffe
	s_delay_alu instid0(SALU_CYCLE_2) | instskip(SKIP_1) | instid1(SALU_CYCLE_2)
	s_cvt_u32_f32 s3, s3
	s_wait_alu 0xfffe
	s_mul_i32 s4, s4, s3
	s_delay_alu instid0(SALU_CYCLE_1) | instskip(NEXT) | instid1(SALU_CYCLE_1)
	s_mul_hi_u32 s4, s3, s4
	s_add_co_i32 s3, s3, s4
	s_wait_alu 0xfffe
	s_mul_hi_u32 s3, s5, s3
	s_wait_alu 0xfffe
	s_mul_i32 s4, s3, s2
	s_add_co_i32 s6, s3, 1
	s_sub_co_i32 s4, s5, s4
	s_delay_alu instid0(SALU_CYCLE_1)
	s_sub_co_i32 s7, s4, s2
	s_cmp_ge_u32 s4, s2
	s_cselect_b32 s3, s6, s3
	s_cselect_b32 s4, s7, s4
	s_wait_alu 0xfffe
	s_add_co_i32 s6, s3, 1
	s_cmp_ge_u32 s4, s2
	s_cselect_b32 s34, s6, s3
	s_abs_i32 s2, s41
	s_abs_i32 s7, s39
	s_wait_alu 0xfffe
	s_cvt_f32_u32 s3, s2
	s_sub_co_i32 s4, 0, s2
	s_lshl_b32 s5, s5, 2
	s_mul_i32 s6, s34, s39
	s_wait_alu 0xfffe
	v_rcp_iflag_f32_e32 v1, s3
	s_sub_co_i32 s33, s5, s6
	s_delay_alu instid0(TRANS32_DEP_1) | instskip(SKIP_2) | instid1(SALU_CYCLE_2)
	v_readfirstlane_b32 s3, v1
	s_mul_f32 s3, s3, 0x4f7ffffe
	s_wait_alu 0xfffe
	s_cvt_u32_f32 s3, s3
	s_wait_alu 0xfffe
	s_delay_alu instid0(SALU_CYCLE_2) | instskip(NEXT) | instid1(SALU_CYCLE_1)
	s_mul_i32 s4, s4, s3
	s_mul_hi_u32 s4, s3, s4
	s_delay_alu instid0(SALU_CYCLE_1)
	s_add_co_i32 s3, s3, s4
	s_xor_b32 s4, s39, s41
	s_wait_alu 0xfffe
	s_mul_hi_u32 s3, s7, s3
	s_ashr_i32 s4, s4, 31
	s_wait_alu 0xfffe
	s_mul_i32 s5, s3, s2
	s_add_co_i32 s6, s3, 1
	s_sub_co_i32 s5, s7, s5
	s_delay_alu instid0(SALU_CYCLE_1)
	s_sub_co_i32 s7, s5, s2
	s_cmp_ge_u32 s5, s2
	s_cselect_b32 s3, s6, s3
	s_cselect_b32 s5, s7, s5
	s_wait_alu 0xfffe
	s_add_co_i32 s6, s3, 1
	s_cmp_ge_u32 s5, s2
	s_cselect_b32 s2, s6, s3
	s_mov_b32 s3, 0
	s_wait_alu 0xfffe
	s_xor_b32 s2, s2, s4
	s_wait_alu 0xfffe
	s_sub_co_i32 s11, s2, s4
	s_delay_alu instid0(SALU_CYCLE_1) | instskip(SKIP_3) | instid1(SALU_CYCLE_2)
	s_abs_i32 s10, s11
	s_cmp_eq_u64 s[22:23], 0
	s_cvt_f32_u32 s2, s10
	s_wait_alu 0xfffe
	v_rcp_iflag_f32_e32 v1, s2
	s_delay_alu instid0(TRANS32_DEP_1)
	v_readfirstlane_b32 s2, v1
	s_cbranch_scc1 .LBB24_2
; %bb.1:
	s_abs_i32 s6, s8
	s_delay_alu instid0(SALU_CYCLE_1) | instskip(NEXT) | instid1(SALU_CYCLE_3)
	s_cvt_f32_u32 s4, s6
	v_rcp_iflag_f32_e32 v1, s4
	s_delay_alu instid0(TRANS32_DEP_1) | instskip(SKIP_2) | instid1(SALU_CYCLE_2)
	v_readfirstlane_b32 s4, v1
	s_mul_f32 s4, s4, 0x4f7ffffe
	s_wait_alu 0xfffe
	s_cvt_u32_f32 s7, s4
	s_sub_co_i32 s4, 0, s6
	s_wait_alu 0xfffe
	s_delay_alu instid0(SALU_CYCLE_1) | instskip(SKIP_4) | instid1(SALU_CYCLE_1)
	s_mul_i32 s4, s4, s7
	s_wait_alu 0xfffe
	s_mul_hi_u32 s8, s7, s4
	s_load_b64 s[4:5], s[0:1], 0xc8
	s_add_co_i32 s7, s7, s8
	s_mul_hi_u32 s7, s34, s7
	s_delay_alu instid0(SALU_CYCLE_1) | instskip(NEXT) | instid1(SALU_CYCLE_1)
	s_mul_i32 s7, s7, s6
	s_sub_co_i32 s7, s34, s7
	s_delay_alu instid0(SALU_CYCLE_1) | instskip(SKIP_2) | instid1(SALU_CYCLE_1)
	s_sub_co_i32 s8, s7, s6
	s_cmp_ge_u32 s7, s6
	s_cselect_b32 s7, s8, s7
	s_sub_co_i32 s8, s7, s6
	s_cmp_ge_u32 s7, s6
	s_cselect_b32 s6, s8, s7
	s_delay_alu instid0(SALU_CYCLE_1)
	s_ashr_i32 s7, s6, 31
	s_wait_kmcnt 0x0
	s_mul_u64 s[4:5], s[4:5], s[6:7]
	s_wait_alu 0xfffe
	s_add_nc_u64 s[42:43], s[22:23], s[4:5]
.LBB24_2:
	v_lshrrev_b32_e32 v1, 10, v0
	s_load_b96 s[4:6], s[0:1], 0x70
	v_bfe_u32 v11, v0, 10, 10
	v_and_b32_e32 v149, 0x3ff, v0
	s_delay_alu instid0(VALU_DEP_3) | instskip(NEXT) | instid1(VALU_DEP_3)
	v_bfe_u32 v1, v1, 1, 9
	v_lshlrev_b32_e32 v2, 1, v11
	s_delay_alu instid0(VALU_DEP_3) | instskip(NEXT) | instid1(VALU_DEP_3)
	v_lshlrev_b32_e32 v187, 3, v149
	v_lshl_add_u32 v148, ttmp9, 2, v1
	s_delay_alu instid0(VALU_DEP_3) | instskip(SKIP_1) | instid1(VALU_DEP_3)
	v_or_b32_e32 v12, 1, v2
	v_and_b32_e32 v185, 2, v2
	v_mul_hi_u32 v1, s36, v148
	s_delay_alu instid0(VALU_DEP_3) | instskip(SKIP_3) | instid1(VALU_DEP_2)
	v_and_b32_e32 v9, 3, v12
	s_wait_kmcnt 0x0
	s_mul_i32 s12, s33, s5
	s_ashr_i32 s15, s5, 31
	v_add_nc_u32_e32 v1, v148, v1
	s_mov_b32 s14, s5
	s_ashr_i32 s5, s4, 31
	s_lshr_b32 s7, s15, 2
	s_wait_alu 0xfffe
	s_lshr_b64 s[22:23], s[4:5], 2
	v_lshrrev_b32_e32 v1, s37, v1
	s_lshr_b32 s4, s5, 2
	v_mul_lo_u32 v10, s7, v185
	s_ashr_i32 s13, s12, 31
	s_delay_alu instid0(VALU_DEP_2) | instskip(NEXT) | instid1(VALU_DEP_1)
	v_mul_lo_u32 v1, v1, s38
	v_sub_nc_u32_e32 v1, v148, v1
	s_delay_alu instid0(VALU_DEP_1)
	v_mad_co_u64_u32 v[3:4], null, s22, v1, 0
	s_lshr_b64 s[22:23], s[14:15], 2
	s_wait_alu 0xfffe
	v_mad_co_u64_u32 v[7:8], null, s22, v185, 0
	v_mad_co_u64_u32 v[4:5], null, s4, v1, v[4:5]
	;; [unrolled: 1-line block ×3, first 2 shown]
	s_mul_i32 s4, s34, s6
	v_or_b32_e32 v8, v8, v10
	s_wait_alu 0xfffe
	s_ashr_i32 s5, s4, 31
	s_cmp_eq_u64 s[26:27], 0
	v_lshlrev_b64_e32 v[3:4], 2, v[3:4]
	s_wait_alu 0xfffe
	s_add_nc_u64 s[4:5], s[16:17], s[4:5]
	v_mov_b32_e32 v0, v6
	s_wait_alu 0xfffe
	s_add_nc_u64 s[4:5], s[4:5], s[12:13]
	v_lshlrev_b64_e32 v[7:8], 2, v[7:8]
	s_wait_alu 0xfffe
	v_add_co_u32 v3, vcc_lo, s4, v3
	v_mad_co_u64_u32 v[9:10], null, s7, v9, v[0:1]
	v_lshlrev_b32_e32 v0, 4, v149
	v_add_co_ci_u32_e64 v4, null, s5, v4, vcc_lo
	s_load_b32 s4, s[0:1], 0x40
	v_add_co_u32 v0, vcc_lo, v3, v0
	v_mov_b32_e32 v6, v9
	s_wait_alu 0xfffd
	v_add_co_ci_u32_e64 v9, null, 0, v4, vcc_lo
	s_delay_alu instid0(VALU_DEP_2) | instskip(SKIP_2) | instid1(VALU_DEP_3)
	v_lshlrev_b64_e32 v[3:4], 2, v[5:6]
	v_add_co_u32 v5, vcc_lo, v0, v7
	s_wait_alu 0xfffd
	v_add_co_ci_u32_e64 v6, null, v9, v8, vcc_lo
	s_delay_alu instid0(VALU_DEP_3)
	v_add_co_u32 v7, vcc_lo, v0, v3
	s_wait_alu 0xfffd
	v_add_co_ci_u32_e64 v8, null, v9, v4, vcc_lo
	s_clause 0x1
	global_load_b128 v[3:6], v[5:6], off
	global_load_b128 v[7:10], v[7:8], off
	v_lshlrev_b32_e32 v0, 9, v11
	v_add_nc_u32_e32 v11, 0x9800, v187
	s_delay_alu instid0(VALU_DEP_1)
	v_add_nc_u32_e32 v13, v11, v0
	s_wait_loadcnt 0x1
	s_wait_kmcnt 0x0
	v_fma_mixlo_f16 v3, s4, v3, 0
	v_fma_mixlo_f16 v4, s4, v4, 0
	s_wait_loadcnt 0x0
	v_fma_mixlo_f16 v7, s4, v7, 0
	v_fma_mixlo_f16 v8, s4, v8, 0
	;; [unrolled: 1-line block ×4, first 2 shown]
	v_lshlrev_b32_e32 v4, 16, v4
	v_and_b32_e32 v3, 0xffff, v3
	v_fma_mixlo_f16 v9, s4, v9, 0
	v_fma_mixlo_f16 v10, s4, v10, 0
	v_lshlrev_b32_e32 v8, 16, v8
	v_and_b32_e32 v7, 0xffff, v7
	v_lshlrev_b32_e32 v6, 16, v6
	v_and_b32_e32 v5, 0xffff, v5
	v_or_b32_e32 v3, v4, v3
	v_lshlrev_b32_e32 v10, 16, v10
	v_and_b32_e32 v9, 0xffff, v9
	v_or_b32_e32 v7, v8, v7
	v_or3_b32 v4, v6, v5, 0
	v_or3_b32 v3, 0, 0, v3
	v_lshl_add_u32 v8, v12, 8, v11
	v_or3_b32 v6, v10, v9, 0
	v_or3_b32 v5, 0, 0, v7
	ds_store_b64 v13, v[3:4]
	ds_store_b64 v8, v[5:6]
	s_wait_dscnt 0x0
	s_barrier_signal -1
	s_barrier_wait -1
	global_inv scope:SCOPE_SE
	s_cbranch_scc1 .LBB24_4
; %bb.3:
	s_load_b32 s4, s[0:1], 0xd0
	s_mov_b32 s5, 0
	s_wait_kmcnt 0x0
	s_mul_i32 s4, s4, s34
	s_wait_alu 0xfffe
	s_add_co_i32 s4, s4, ttmp9
	s_wait_alu 0xfffe
	s_lshl_b64 s[4:5], s[4:5], 2
	s_wait_alu 0xfffe
	s_add_nc_u64 s[4:5], s[26:27], s[4:5]
	s_load_b32 s40, s[4:5], 0x0
.LBB24_4:
	s_and_b32 s22, ttmp7, 0xffff
	v_mbcnt_lo_u32_b32 v188, -1, 0
	s_wait_alu 0xfffe
	s_lshl_b32 s26, s22, 7
	s_wait_kmcnt 0x0
	s_cmp_lt_i32 s26, s40
	s_cbranch_scc1 .LBB24_7
; %bb.5:
	v_mbcnt_lo_u32_b32 v3, -1, 0
	v_mov_b32_e32 v189, 32
	s_delay_alu instid0(VALU_DEP_2)
	v_xor_b32_e32 v196, 16, v3
	v_xor_b32_e32 v195, 8, v3
	;; [unrolled: 1-line block ×5, first 2 shown]
	v_lshlrev_b32_e32 v186, 2, v149
	s_mov_b32 s35, 0
	s_cbranch_execz .LBB24_8
; %bb.6:
	v_dual_mov_b32 v50, 0 :: v_dual_mov_b32 v183, 0xfeffffff
	v_dual_mov_b32 v140, 0 :: v_dual_mov_b32 v233, 0
	;; [unrolled: 1-line block ×4, first 2 shown]
	s_branch .LBB24_11
.LBB24_7:
                                        ; implicit-def: $vgpr3
                                        ; implicit-def: $vgpr189
                                        ; implicit-def: $vgpr196
                                        ; implicit-def: $vgpr195
                                        ; implicit-def: $vgpr193
                                        ; implicit-def: $vgpr192
                                        ; implicit-def: $vgpr190
	v_lshlrev_b32_e32 v186, 2, v149
	s_mov_b32 s35, 0
.LBB24_8:
	s_mul_f32 s2, s2, 0x4f7ffffe
	s_clause 0x1
	s_load_b128 s[4:7], s[0:1], 0x98
	s_load_b64 s[12:13], s[0:1], 0x8c
	s_sub_co_i32 s14, 0, s10
	s_mov_b32 s15, s3
	s_cvt_u32_f32 s8, s2
	s_abs_i32 s2, s33
	s_ashr_i32 s23, s33, 31
	s_ashr_i32 s11, s11, 31
	s_mul_i32 s14, s14, s8
	s_load_b64 s[16:17], s[0:1], 0xa8
	s_mul_hi_u32 s14, s8, s14
	v_lshrrev_b32_e32 v3, 4, v149
	s_add_co_i32 s14, s8, s14
	s_xor_b32 s8, s23, s11
	s_mul_u64 s[14:15], s[2:3], s[14:15]
	s_ashr_i32 s14, s9, 1
	s_mul_i32 s3, s15, s10
	s_add_co_i32 s9, s15, 1
	s_wait_alu 0xfffe
	s_sub_co_i32 s2, s2, s3
	v_dual_mov_b32 v44, 0 :: v_dual_add_nc_u32 v13, v3, v2
	s_wait_kmcnt 0x0
	s_ashr_i32 s36, s6, 2
	s_ashr_i32 s44, s12, 2
	s_wait_alu 0xfffe
	s_sub_co_i32 s3, s2, s10
	s_cmp_ge_u32 s2, s10
	v_mul_lo_u32 v2, s44, v13
	s_cselect_b32 s6, s9, s15
	s_wait_alu 0xfffe
	s_cselect_b32 s2, s3, s2
	s_add_co_i32 s3, s6, 1
	s_wait_alu 0xfffe
	s_cmp_ge_u32 s2, s10
	v_mul_lo_u32 v12, s36, v13
	s_cselect_b32 s6, s3, s6
	s_mul_u64 s[2:3], s[4:5], s[34:35]
	s_wait_alu 0xfffe
	s_xor_b32 s4, s6, s8
	s_add_nc_u64 s[2:3], s[18:19], s[2:3]
	s_wait_alu 0xfffe
	s_sub_co_i32 s6, s4, s8
	s_mul_u64 s[8:9], s[16:17], s[34:35]
	s_wait_alu 0xfffe
	s_mul_i32 s4, s6, s13
	s_lshl_b32 s10, s44, 4
	s_wait_alu 0xfffe
	s_ashr_i32 s5, s4, 31
	v_dual_mov_b32 v189, 32 :: v_dual_add_nc_u32 v4, s10, v2
	s_wait_alu 0xfffe
	s_add_nc_u64 s[46:47], s[2:3], s[4:5]
	s_mul_i32 s2, s6, s7
	s_add_nc_u64 s[4:5], s[20:21], s[8:9]
	s_wait_alu 0xfffe
	s_ashr_i32 s3, s2, 31
	v_dual_mov_b32 v45, 0 :: v_dual_add_nc_u32 v6, s10, v4
	s_wait_alu 0xfffe
	s_add_nc_u64 s[48:49], s[4:5], s[2:3]
	s_lshl_b32 s2, s36, 4
	s_delay_alu instid0(VALU_DEP_1)
	v_dual_mov_b32 v51, 0 :: v_dual_add_nc_u32 v8, s10, v6
	s_wait_alu 0xfffe
	v_add_nc_u32_e32 v16, s2, v12
	v_add_nc_u32_e32 v203, 0x9800, v0
	;; [unrolled: 1-line block ×3, first 2 shown]
	v_dual_mov_b32 v183, 0xfeffffff :: v_dual_and_b32 v32, 60, v186
	s_delay_alu instid0(VALU_DEP_4) | instskip(SKIP_2) | instid1(VALU_DEP_4)
	v_add_nc_u32_e32 v20, s2, v16
	v_add_nc_u32_e32 v10, s10, v8
	v_ashrrev_i32_e32 v3, 31, v2
	v_dual_mov_b32 v50, 0 :: v_dual_lshlrev_b32 v17, 2, v32
	s_delay_alu instid0(VALU_DEP_4) | instskip(NEXT) | instid1(VALU_DEP_4)
	v_add_nc_u32_e32 v24, s2, v20
	v_add_nc_u32_e32 v14, s10, v10
	v_ashrrev_i32_e32 v5, 31, v4
	s_delay_alu instid0(VALU_DEP_4)
	v_mad_u32_u24 v191, 0x110, v13, v17
	v_ashrrev_i32_e32 v7, 31, v6
	v_add_nc_u32_e32 v26, s2, v24
	v_add_nc_u32_e32 v18, s10, v14
	v_ashrrev_i32_e32 v9, 31, v8
	v_ashrrev_i32_e32 v11, 31, v10
	;; [unrolled: 1-line block ×3, first 2 shown]
	v_add_nc_u32_e32 v0, s2, v26
	v_add_nc_u32_e32 v22, s10, v18
	v_ashrrev_i32_e32 v19, 31, v18
	v_lshl_or_b32 v205, v13, 8, v17
	v_mad_co_u64_u32 v[150:151], null, v1, s14, v[149:150]
	v_add_nc_u32_e32 v28, s2, v0
	v_ashrrev_i32_e32 v23, 31, v22
	v_ashrrev_i32_e32 v13, 31, v12
	;; [unrolled: 1-line block ×4, first 2 shown]
	v_add_nc_u32_e32 v30, s2, v28
	v_ashrrev_i32_e32 v25, 31, v24
	v_ashrrev_i32_e32 v27, 31, v26
	;; [unrolled: 1-line block ×5, first 2 shown]
	v_lshlrev_b64_e32 v[151:152], 2, v[2:3]
	v_lshlrev_b64_e32 v[153:154], 2, v[4:5]
	;; [unrolled: 1-line block ×16, first 2 shown]
	v_dual_mov_b32 v233, 0 :: v_dual_add_nc_u32 v194, 0x1100, v191
	v_dual_mov_b32 v140, 0 :: v_dual_add_nc_u32 v197, 0x2200, v191
	v_add_nc_u32_e32 v198, 0x3300, v191
	v_add_nc_u32_e32 v199, 0x4400, v191
	;; [unrolled: 1-line block ×5, first 2 shown]
	v_mul_u32_u24_e32 v204, 0x110, v149
	v_add_nc_u32_e32 v207, 0x1000, v205
	v_add_nc_u32_e32 v208, 0x2000, v205
	;; [unrolled: 1-line block ×7, first 2 shown]
	v_lshlrev_b32_e32 v214, 2, v32
	v_xor_b32_e32 v196, 16, v188
	v_xor_b32_e32 v195, 8, v188
	;; [unrolled: 1-line block ×5, first 2 shown]
	v_dual_mov_b32 v184, 0xfeffffff :: v_dual_add_nc_u32 v215, v206, v186
	v_add_nc_u32_e32 v216, 0x800, v187
	v_add_nc_u32_e32 v217, 0x1000, v187
	;; [unrolled: 1-line block ×15, first 2 shown]
	s_ashr_i32 s45, s44, 31
	s_ashr_i32 s37, s36, 31
	s_add_nc_u64 s[50:51], s[0:1], 0xd0
.LBB24_9:                               ; =>This Inner Loop Header: Depth=1
	v_cmp_gt_i32_e32 vcc_lo, 32, v196
	v_cmp_gt_i32_e64 s4, 32, v192
	v_cmp_gt_i32_e64 s2, 32, v195
	;; [unrolled: 1-line block ×3, first 2 shown]
	s_ashr_i32 s27, s26, 31
	v_cmp_gt_i32_e64 s5, 32, v190
	v_dual_mov_b32 v27, 0 :: v_dual_add_nc_u32 v0, s26, v150
	s_wait_alu 0xfffe
	s_mul_u64 s[6:7], s[26:27], s[44:45]
	v_cndmask_b32_e64 v5, v188, v192, s4
	s_wait_alu 0xfffd
	v_cndmask_b32_e32 v2, v188, v196, vcc_lo
	s_mul_u64 s[8:9], s[26:27], s[36:37]
	v_cndmask_b32_e64 v3, v188, v195, s2
	v_cndmask_b32_e64 v4, v188, v193, s3
	s_wait_alu 0xfffe
	s_lshl_b64 s[2:3], s[6:7], 2
	v_cndmask_b32_e64 v6, v188, v190, s5
	s_lshl_b64 s[4:5], s[8:9], 2
	s_wait_alu 0xfffe
	s_add_nc_u64 s[16:17], s[46:47], s[2:3]
	v_ashrrev_i32_e32 v1, 31, v0
	s_add_nc_u64 s[18:19], s[48:49], s[4:5]
	v_lshlrev_b32_e32 v29, 2, v5
	v_lshlrev_b32_e32 v32, 2, v2
	s_wait_alu 0xfffe
	v_add_co_u32 v2, vcc_lo, s16, v151
	v_dual_mov_b32 v232, v140 :: v_dual_lshlrev_b32 v31, 2, v3
	v_add_co_u32 v3, s2, s16, v153
	v_lshlrev_b32_e32 v30, 2, v4
	v_lshlrev_b32_e32 v28, 2, v6
	v_add_co_u32 v4, s3, s16, v155
	v_add_co_u32 v5, s4, s16, v157
	;; [unrolled: 1-line block ×8, first 2 shown]
	s_wait_alu 0xfffd
	v_add_co_ci_u32_e64 v35, null, s17, v152, vcc_lo
	s_wait_alu 0xf1ff
	v_add_co_ci_u32_e64 v36, null, s17, v154, s2
	v_lshlrev_b64_e32 v[0:1], 1, v[0:1]
	v_add_co_ci_u32_e64 v39, null, s17, v156, s3
	v_add_co_u32 v10, s9, s18, v167
	v_add_co_u32 v11, s10, s18, v169
	;; [unrolled: 1-line block ×6, first 2 shown]
	v_add_co_ci_u32_e64 v40, null, s17, v158, s4
	v_add_co_u32 v33, vcc_lo, v2, v214
	v_add_co_ci_u32_e64 v43, null, s17, v160, s5
	v_add_co_ci_u32_e64 v46, null, s17, v162, s6
	v_add_co_ci_u32_e64 v47, null, s17, v164, s7
	v_add_co_ci_u32_e64 v48, null, s17, v166, s8
	v_add_co_u32 v37, s2, v3, v214
	s_wait_alu 0xf1ff
	v_add_co_ci_u32_e64 v49, null, s19, v168, s9
	v_add_co_ci_u32_e64 v54, null, s19, v170, s10
	;; [unrolled: 1-line block ×8, first 2 shown]
	v_add_co_u32 v41, s3, v4, v214
	v_add_co_u32 v64, s7, v8, v214
	;; [unrolled: 1-line block ×4, first 2 shown]
	s_wait_alu 0xfffd
	v_add_co_ci_u32_e64 v34, null, 0, v35, vcc_lo
	v_add_co_u32 v52, s4, v5, v214
	v_add_co_ci_u32_e64 v38, null, 0, v36, s2
	v_add_co_u32 v56, s5, v6, v214
	v_add_co_u32 v60, s6, v7, v214
	;; [unrolled: 1-line block ×3, first 2 shown]
	s_wait_alu 0xf1ff
	v_add_co_ci_u32_e64 v42, null, 0, v39, s3
	v_add_co_u32 v16, s9, s42, v0
	v_add_co_u32 v0, s10, v10, v214
	;; [unrolled: 1-line block ×7, first 2 shown]
	v_add_co_ci_u32_e64 v53, null, 0, v40, s4
	v_add_co_ci_u32_e64 v57, null, 0, v43, s5
	;; [unrolled: 1-line block ×5, first 2 shown]
	s_wait_alu 0xf1ff
	v_add_co_ci_u32_e64 v17, null, s43, v1, s9
	v_add_co_ci_u32_e64 v1, null, 0, v49, s10
	;; [unrolled: 1-line block ×9, first 2 shown]
	s_clause 0x7
	global_load_b128 v[33:36], v[33:34], off
	global_load_b128 v[37:40], v[37:38], off
	;; [unrolled: 1-line block ×8, first 2 shown]
	v_dual_mov_b32 v19, v183 :: v_dual_mov_b32 v20, 0
	v_dual_mov_b32 v21, 0 :: v_dual_mov_b32 v22, 0
	;; [unrolled: 1-line block ×5, first 2 shown]
	s_wait_loadcnt 0x7
	ds_store_b128 v191, v[33:36]
	s_wait_loadcnt 0x6
	ds_store_b128 v194, v[37:40]
	;; [unrolled: 2-line block ×8, first 2 shown]
	s_wait_dscnt 0x0
	s_barrier_signal -1
	s_barrier_wait -1
	global_inv scope:SCOPE_SE
	ds_load_b128 v[33:36], v204
	ds_load_b128 v[37:40], v203
	ds_load_b128 v[46:49], v203 offset:256
	ds_load_b128 v[52:55], v204 offset:8704
	;; [unrolled: 1-line block ×4, first 2 shown]
	s_wait_dscnt 0x4
	;;#ASMSTART
	v_dot2_f32_f16 v20, v33, v37, v20
	;;#ASMEND
	;;#ASMSTART
	v_dot2_f32_f16 v20, v34, v38, v20
	;;#ASMEND
	;;#ASMSTART
	v_dot2_f32_f16 v20, v35, v39, v20
	;;#ASMEND
	;;#ASMSTART
	v_dot2_f32_f16 v20, v36, v40, v20
	;;#ASMEND
	s_wait_dscnt 0x3
	;;#ASMSTART
	v_dot2_f32_f16 v21, v33, v46, v21
	;;#ASMEND
	;;#ASMSTART
	v_dot2_f32_f16 v21, v34, v47, v21
	;;#ASMEND
	;;#ASMSTART
	v_dot2_f32_f16 v21, v35, v48, v21
	;;#ASMEND
	;;#ASMSTART
	v_dot2_f32_f16 v21, v36, v49, v21
	;;#ASMEND
	;; [unrolled: 13-line block ×3, first 2 shown]
	;;#ASMSTART
	v_dot2_f32_f16 v23, v52, v46, v23
	;;#ASMEND
	;;#ASMSTART
	v_dot2_f32_f16 v23, v53, v47, v23
	;;#ASMEND
	;; [unrolled: 3-line block ×4, first 2 shown]
	s_wait_dscnt 0x1
	;;#ASMSTART
	v_dot2_f32_f16 v24, v56, v37, v24
	;;#ASMEND
	;;#ASMSTART
	v_dot2_f32_f16 v24, v57, v38, v24
	;;#ASMEND
	;; [unrolled: 3-line block ×8, first 2 shown]
	s_wait_dscnt 0x0
	;;#ASMSTART
	v_dot2_f32_f16 v26, v60, v37, v26
	;;#ASMEND
	;;#ASMSTART
	v_dot2_f32_f16 v26, v61, v38, v26
	;;#ASMEND
	;; [unrolled: 3-line block ×8, first 2 shown]
	ds_load_b128 v[33:36], v204 offset:16
	ds_load_b128 v[37:40], v203 offset:16
	;; [unrolled: 1-line block ×6, first 2 shown]
	s_wait_dscnt 0x4
	;;#ASMSTART
	v_dot2_f32_f16 v20, v33, v37, v20
	;;#ASMEND
	;;#ASMSTART
	v_dot2_f32_f16 v20, v34, v38, v20
	;;#ASMEND
	;;#ASMSTART
	v_dot2_f32_f16 v20, v35, v39, v20
	;;#ASMEND
	;;#ASMSTART
	v_dot2_f32_f16 v20, v36, v40, v20
	;;#ASMEND
	s_wait_dscnt 0x3
	;;#ASMSTART
	v_dot2_f32_f16 v21, v33, v46, v21
	;;#ASMEND
	;;#ASMSTART
	v_dot2_f32_f16 v21, v34, v47, v21
	;;#ASMEND
	;;#ASMSTART
	v_dot2_f32_f16 v21, v35, v48, v21
	;;#ASMEND
	;;#ASMSTART
	v_dot2_f32_f16 v21, v36, v49, v21
	;;#ASMEND
	;; [unrolled: 13-line block ×3, first 2 shown]
	;;#ASMSTART
	v_dot2_f32_f16 v23, v52, v46, v23
	;;#ASMEND
	;;#ASMSTART
	v_dot2_f32_f16 v23, v53, v47, v23
	;;#ASMEND
	;; [unrolled: 3-line block ×4, first 2 shown]
	s_wait_dscnt 0x1
	;;#ASMSTART
	v_dot2_f32_f16 v24, v56, v37, v24
	;;#ASMEND
	;;#ASMSTART
	v_dot2_f32_f16 v24, v57, v38, v24
	;;#ASMEND
	;; [unrolled: 3-line block ×8, first 2 shown]
	s_wait_dscnt 0x0
	;;#ASMSTART
	v_dot2_f32_f16 v26, v60, v37, v26
	;;#ASMEND
	;;#ASMSTART
	v_dot2_f32_f16 v26, v61, v38, v26
	;;#ASMEND
	;;#ASMSTART
	v_dot2_f32_f16 v26, v62, v39, v26
	;;#ASMEND
	;;#ASMSTART
	v_dot2_f32_f16 v26, v63, v40, v26
	;;#ASMEND
	;;#ASMSTART
	v_dot2_f32_f16 v27, v60, v46, v27
	;;#ASMEND
	;;#ASMSTART
	v_dot2_f32_f16 v27, v61, v47, v27
	;;#ASMEND
	;;#ASMSTART
	v_dot2_f32_f16 v27, v62, v48, v27
	;;#ASMEND
	;;#ASMSTART
	v_dot2_f32_f16 v27, v63, v49, v27
	;;#ASMEND
	ds_load_b128 v[33:36], v204 offset:32
	ds_load_b128 v[37:40], v203 offset:32
	;; [unrolled: 1-line block ×6, first 2 shown]
	s_wait_dscnt 0x4
	;;#ASMSTART
	v_dot2_f32_f16 v20, v33, v37, v20
	;;#ASMEND
	;;#ASMSTART
	v_dot2_f32_f16 v20, v34, v38, v20
	;;#ASMEND
	;;#ASMSTART
	v_dot2_f32_f16 v20, v35, v39, v20
	;;#ASMEND
	;;#ASMSTART
	v_dot2_f32_f16 v20, v36, v40, v20
	;;#ASMEND
	s_wait_dscnt 0x3
	;;#ASMSTART
	v_dot2_f32_f16 v21, v33, v46, v21
	;;#ASMEND
	;;#ASMSTART
	v_dot2_f32_f16 v21, v34, v47, v21
	;;#ASMEND
	;;#ASMSTART
	v_dot2_f32_f16 v21, v35, v48, v21
	;;#ASMEND
	;;#ASMSTART
	v_dot2_f32_f16 v21, v36, v49, v21
	;;#ASMEND
	s_wait_dscnt 0x2
	;;#ASMSTART
	v_dot2_f32_f16 v22, v52, v37, v22
	;;#ASMEND
	;;#ASMSTART
	v_dot2_f32_f16 v22, v53, v38, v22
	;;#ASMEND
	;;#ASMSTART
	v_dot2_f32_f16 v22, v54, v39, v22
	;;#ASMEND
	;;#ASMSTART
	v_dot2_f32_f16 v22, v55, v40, v22
	;;#ASMEND
	;;#ASMSTART
	v_dot2_f32_f16 v23, v52, v46, v23
	;;#ASMEND
	;;#ASMSTART
	v_dot2_f32_f16 v23, v53, v47, v23
	;;#ASMEND
	;; [unrolled: 3-line block ×4, first 2 shown]
	s_wait_dscnt 0x1
	;;#ASMSTART
	v_dot2_f32_f16 v24, v56, v37, v24
	;;#ASMEND
	;;#ASMSTART
	v_dot2_f32_f16 v24, v57, v38, v24
	;;#ASMEND
	;;#ASMSTART
	v_dot2_f32_f16 v24, v58, v39, v24
	;;#ASMEND
	;;#ASMSTART
	v_dot2_f32_f16 v24, v59, v40, v24
	;;#ASMEND
	;;#ASMSTART
	v_dot2_f32_f16 v25, v56, v46, v25
	;;#ASMEND
	;;#ASMSTART
	v_dot2_f32_f16 v25, v57, v47, v25
	;;#ASMEND
	;;#ASMSTART
	v_dot2_f32_f16 v25, v58, v48, v25
	;;#ASMEND
	;;#ASMSTART
	v_dot2_f32_f16 v25, v59, v49, v25
	;;#ASMEND
	s_wait_dscnt 0x0
	;;#ASMSTART
	v_dot2_f32_f16 v26, v60, v37, v26
	;;#ASMEND
	;;#ASMSTART
	v_dot2_f32_f16 v26, v61, v38, v26
	;;#ASMEND
	;; [unrolled: 3-line block ×8, first 2 shown]
	ds_load_b128 v[33:36], v204 offset:48
	ds_load_b128 v[37:40], v203 offset:48
	ds_load_b128 v[46:49], v203 offset:304
	ds_load_b128 v[52:55], v204 offset:8752
	ds_load_b128 v[56:59], v204 offset:17456
	ds_load_b128 v[60:63], v204 offset:26160
	s_wait_dscnt 0x4
	;;#ASMSTART
	v_dot2_f32_f16 v20, v33, v37, v20
	;;#ASMEND
	;;#ASMSTART
	v_dot2_f32_f16 v20, v34, v38, v20
	;;#ASMEND
	;;#ASMSTART
	v_dot2_f32_f16 v20, v35, v39, v20
	;;#ASMEND
	;;#ASMSTART
	v_dot2_f32_f16 v20, v36, v40, v20
	;;#ASMEND
	s_wait_dscnt 0x3
	;;#ASMSTART
	v_dot2_f32_f16 v21, v33, v46, v21
	;;#ASMEND
	;;#ASMSTART
	v_dot2_f32_f16 v21, v34, v47, v21
	;;#ASMEND
	;;#ASMSTART
	v_dot2_f32_f16 v21, v35, v48, v21
	;;#ASMEND
	;;#ASMSTART
	v_dot2_f32_f16 v21, v36, v49, v21
	;;#ASMEND
	;; [unrolled: 13-line block ×3, first 2 shown]
	;;#ASMSTART
	v_dot2_f32_f16 v23, v52, v46, v23
	;;#ASMEND
	;;#ASMSTART
	v_dot2_f32_f16 v23, v53, v47, v23
	;;#ASMEND
	;; [unrolled: 3-line block ×4, first 2 shown]
	s_wait_dscnt 0x1
	;;#ASMSTART
	v_dot2_f32_f16 v24, v56, v37, v24
	;;#ASMEND
	;;#ASMSTART
	v_dot2_f32_f16 v24, v57, v38, v24
	;;#ASMEND
	;; [unrolled: 3-line block ×8, first 2 shown]
	s_wait_dscnt 0x0
	;;#ASMSTART
	v_dot2_f32_f16 v26, v60, v37, v26
	;;#ASMEND
	;;#ASMSTART
	v_dot2_f32_f16 v26, v61, v38, v26
	;;#ASMEND
	;;#ASMSTART
	v_dot2_f32_f16 v26, v62, v39, v26
	;;#ASMEND
	;;#ASMSTART
	v_dot2_f32_f16 v26, v63, v40, v26
	;;#ASMEND
	;;#ASMSTART
	v_dot2_f32_f16 v27, v60, v46, v27
	;;#ASMEND
	;;#ASMSTART
	v_dot2_f32_f16 v27, v61, v47, v27
	;;#ASMEND
	;;#ASMSTART
	v_dot2_f32_f16 v27, v62, v48, v27
	;;#ASMEND
	;;#ASMSTART
	v_dot2_f32_f16 v27, v63, v49, v27
	;;#ASMEND
	ds_load_b128 v[33:36], v204 offset:64
	ds_load_b128 v[37:40], v203 offset:64
	;; [unrolled: 1-line block ×6, first 2 shown]
	s_wait_dscnt 0x4
	;;#ASMSTART
	v_dot2_f32_f16 v20, v33, v37, v20
	;;#ASMEND
	;;#ASMSTART
	v_dot2_f32_f16 v20, v34, v38, v20
	;;#ASMEND
	;;#ASMSTART
	v_dot2_f32_f16 v20, v35, v39, v20
	;;#ASMEND
	;;#ASMSTART
	v_dot2_f32_f16 v20, v36, v40, v20
	;;#ASMEND
	s_wait_dscnt 0x3
	;;#ASMSTART
	v_dot2_f32_f16 v21, v33, v46, v21
	;;#ASMEND
	;;#ASMSTART
	v_dot2_f32_f16 v21, v34, v47, v21
	;;#ASMEND
	;;#ASMSTART
	v_dot2_f32_f16 v21, v35, v48, v21
	;;#ASMEND
	;;#ASMSTART
	v_dot2_f32_f16 v21, v36, v49, v21
	;;#ASMEND
	s_wait_dscnt 0x2
	;;#ASMSTART
	v_dot2_f32_f16 v22, v52, v37, v22
	;;#ASMEND
	;;#ASMSTART
	v_dot2_f32_f16 v22, v53, v38, v22
	;;#ASMEND
	;;#ASMSTART
	v_dot2_f32_f16 v22, v54, v39, v22
	;;#ASMEND
	;;#ASMSTART
	v_dot2_f32_f16 v22, v55, v40, v22
	;;#ASMEND
	;;#ASMSTART
	v_dot2_f32_f16 v23, v52, v46, v23
	;;#ASMEND
	;;#ASMSTART
	v_dot2_f32_f16 v23, v53, v47, v23
	;;#ASMEND
	;; [unrolled: 3-line block ×4, first 2 shown]
	s_wait_dscnt 0x1
	;;#ASMSTART
	v_dot2_f32_f16 v24, v56, v37, v24
	;;#ASMEND
	;;#ASMSTART
	v_dot2_f32_f16 v24, v57, v38, v24
	;;#ASMEND
	;; [unrolled: 3-line block ×8, first 2 shown]
	s_wait_dscnt 0x0
	;;#ASMSTART
	v_dot2_f32_f16 v26, v60, v37, v26
	;;#ASMEND
	;;#ASMSTART
	v_dot2_f32_f16 v26, v61, v38, v26
	;;#ASMEND
	;; [unrolled: 3-line block ×8, first 2 shown]
	ds_load_b128 v[33:36], v204 offset:80
	ds_load_b128 v[37:40], v203 offset:80
	;; [unrolled: 1-line block ×6, first 2 shown]
	s_wait_dscnt 0x4
	;;#ASMSTART
	v_dot2_f32_f16 v20, v33, v37, v20
	;;#ASMEND
	;;#ASMSTART
	v_dot2_f32_f16 v20, v34, v38, v20
	;;#ASMEND
	;;#ASMSTART
	v_dot2_f32_f16 v20, v35, v39, v20
	;;#ASMEND
	;;#ASMSTART
	v_dot2_f32_f16 v20, v36, v40, v20
	;;#ASMEND
	s_wait_dscnt 0x3
	;;#ASMSTART
	v_dot2_f32_f16 v21, v33, v46, v21
	;;#ASMEND
	;;#ASMSTART
	v_dot2_f32_f16 v21, v34, v47, v21
	;;#ASMEND
	;;#ASMSTART
	v_dot2_f32_f16 v21, v35, v48, v21
	;;#ASMEND
	;;#ASMSTART
	v_dot2_f32_f16 v21, v36, v49, v21
	;;#ASMEND
	;; [unrolled: 13-line block ×3, first 2 shown]
	;;#ASMSTART
	v_dot2_f32_f16 v23, v52, v46, v23
	;;#ASMEND
	;;#ASMSTART
	v_dot2_f32_f16 v23, v53, v47, v23
	;;#ASMEND
	;; [unrolled: 3-line block ×4, first 2 shown]
	s_wait_dscnt 0x1
	;;#ASMSTART
	v_dot2_f32_f16 v24, v56, v37, v24
	;;#ASMEND
	;;#ASMSTART
	v_dot2_f32_f16 v24, v57, v38, v24
	;;#ASMEND
	;; [unrolled: 3-line block ×8, first 2 shown]
	s_wait_dscnt 0x0
	;;#ASMSTART
	v_dot2_f32_f16 v26, v60, v37, v26
	;;#ASMEND
	;;#ASMSTART
	v_dot2_f32_f16 v26, v61, v38, v26
	;;#ASMEND
	;;#ASMSTART
	v_dot2_f32_f16 v26, v62, v39, v26
	;;#ASMEND
	;;#ASMSTART
	v_dot2_f32_f16 v26, v63, v40, v26
	;;#ASMEND
	;;#ASMSTART
	v_dot2_f32_f16 v27, v60, v46, v27
	;;#ASMEND
	;;#ASMSTART
	v_dot2_f32_f16 v27, v61, v47, v27
	;;#ASMEND
	;;#ASMSTART
	v_dot2_f32_f16 v27, v62, v48, v27
	;;#ASMEND
	;;#ASMSTART
	v_dot2_f32_f16 v27, v63, v49, v27
	;;#ASMEND
	ds_load_b128 v[33:36], v204 offset:96
	ds_load_b128 v[37:40], v203 offset:96
	ds_load_b128 v[46:49], v203 offset:352
	ds_load_b128 v[52:55], v204 offset:8800
	ds_load_b128 v[56:59], v204 offset:17504
	ds_load_b128 v[60:63], v204 offset:26208
	s_wait_dscnt 0x4
	;;#ASMSTART
	v_dot2_f32_f16 v20, v33, v37, v20
	;;#ASMEND
	;;#ASMSTART
	v_dot2_f32_f16 v20, v34, v38, v20
	;;#ASMEND
	;;#ASMSTART
	v_dot2_f32_f16 v20, v35, v39, v20
	;;#ASMEND
	;;#ASMSTART
	v_dot2_f32_f16 v20, v36, v40, v20
	;;#ASMEND
	s_wait_dscnt 0x3
	;;#ASMSTART
	v_dot2_f32_f16 v21, v33, v46, v21
	;;#ASMEND
	;;#ASMSTART
	v_dot2_f32_f16 v21, v34, v47, v21
	;;#ASMEND
	;;#ASMSTART
	v_dot2_f32_f16 v21, v35, v48, v21
	;;#ASMEND
	;;#ASMSTART
	v_dot2_f32_f16 v21, v36, v49, v21
	;;#ASMEND
	;; [unrolled: 13-line block ×3, first 2 shown]
	;;#ASMSTART
	v_dot2_f32_f16 v23, v52, v46, v23
	;;#ASMEND
	;;#ASMSTART
	v_dot2_f32_f16 v23, v53, v47, v23
	;;#ASMEND
	;; [unrolled: 3-line block ×4, first 2 shown]
	s_wait_dscnt 0x1
	;;#ASMSTART
	v_dot2_f32_f16 v24, v56, v37, v24
	;;#ASMEND
	;;#ASMSTART
	v_dot2_f32_f16 v24, v57, v38, v24
	;;#ASMEND
	;; [unrolled: 3-line block ×8, first 2 shown]
	s_wait_dscnt 0x0
	;;#ASMSTART
	v_dot2_f32_f16 v26, v60, v37, v26
	;;#ASMEND
	;;#ASMSTART
	v_dot2_f32_f16 v26, v61, v38, v26
	;;#ASMEND
	;; [unrolled: 3-line block ×8, first 2 shown]
	ds_load_b128 v[33:36], v204 offset:112
	ds_load_b128 v[37:40], v203 offset:112
	;; [unrolled: 1-line block ×6, first 2 shown]
	s_wait_dscnt 0x4
	;;#ASMSTART
	v_dot2_f32_f16 v20, v33, v37, v20
	;;#ASMEND
	;;#ASMSTART
	v_dot2_f32_f16 v20, v34, v38, v20
	;;#ASMEND
	;;#ASMSTART
	v_dot2_f32_f16 v20, v35, v39, v20
	;;#ASMEND
	;;#ASMSTART
	v_dot2_f32_f16 v20, v36, v40, v20
	;;#ASMEND
	s_wait_dscnt 0x3
	;;#ASMSTART
	v_dot2_f32_f16 v21, v33, v46, v21
	;;#ASMEND
	;;#ASMSTART
	v_dot2_f32_f16 v21, v34, v47, v21
	;;#ASMEND
	;;#ASMSTART
	v_dot2_f32_f16 v21, v35, v48, v21
	;;#ASMEND
	;;#ASMSTART
	v_dot2_f32_f16 v21, v36, v49, v21
	;;#ASMEND
	;; [unrolled: 13-line block ×3, first 2 shown]
	;;#ASMSTART
	v_dot2_f32_f16 v23, v52, v46, v23
	;;#ASMEND
	;;#ASMSTART
	v_dot2_f32_f16 v23, v53, v47, v23
	;;#ASMEND
	;; [unrolled: 3-line block ×4, first 2 shown]
	s_wait_dscnt 0x1
	;;#ASMSTART
	v_dot2_f32_f16 v24, v56, v37, v24
	;;#ASMEND
	;;#ASMSTART
	v_dot2_f32_f16 v24, v57, v38, v24
	;;#ASMEND
	;; [unrolled: 3-line block ×8, first 2 shown]
	s_wait_dscnt 0x0
	;;#ASMSTART
	v_dot2_f32_f16 v26, v60, v37, v26
	;;#ASMEND
	;;#ASMSTART
	v_dot2_f32_f16 v26, v61, v38, v26
	;;#ASMEND
	;; [unrolled: 3-line block ×8, first 2 shown]
	ds_load_b128 v[33:36], v204 offset:128
	ds_load_b128 v[37:40], v203 offset:128
	;; [unrolled: 1-line block ×6, first 2 shown]
	s_wait_dscnt 0x4
	;;#ASMSTART
	v_dot2_f32_f16 v20, v33, v37, v20
	;;#ASMEND
	;;#ASMSTART
	v_dot2_f32_f16 v20, v34, v38, v20
	;;#ASMEND
	;;#ASMSTART
	v_dot2_f32_f16 v20, v35, v39, v20
	;;#ASMEND
	;;#ASMSTART
	v_dot2_f32_f16 v20, v36, v40, v20
	;;#ASMEND
	s_wait_dscnt 0x3
	;;#ASMSTART
	v_dot2_f32_f16 v21, v33, v46, v21
	;;#ASMEND
	;;#ASMSTART
	v_dot2_f32_f16 v21, v34, v47, v21
	;;#ASMEND
	;;#ASMSTART
	v_dot2_f32_f16 v21, v35, v48, v21
	;;#ASMEND
	;;#ASMSTART
	v_dot2_f32_f16 v21, v36, v49, v21
	;;#ASMEND
	;; [unrolled: 13-line block ×3, first 2 shown]
	;;#ASMSTART
	v_dot2_f32_f16 v23, v52, v46, v23
	;;#ASMEND
	;;#ASMSTART
	v_dot2_f32_f16 v23, v53, v47, v23
	;;#ASMEND
	;;#ASMSTART
	v_dot2_f32_f16 v23, v54, v48, v23
	;;#ASMEND
	;;#ASMSTART
	v_dot2_f32_f16 v23, v55, v49, v23
	;;#ASMEND
	s_wait_dscnt 0x1
	;;#ASMSTART
	v_dot2_f32_f16 v24, v56, v37, v24
	;;#ASMEND
	;;#ASMSTART
	v_dot2_f32_f16 v24, v57, v38, v24
	;;#ASMEND
	;; [unrolled: 3-line block ×8, first 2 shown]
	s_wait_dscnt 0x0
	;;#ASMSTART
	v_dot2_f32_f16 v26, v60, v37, v26
	;;#ASMEND
	;;#ASMSTART
	v_dot2_f32_f16 v26, v61, v38, v26
	;;#ASMEND
	;; [unrolled: 3-line block ×8, first 2 shown]
	ds_load_b128 v[33:36], v204 offset:144
	ds_load_b128 v[37:40], v203 offset:144
	;; [unrolled: 1-line block ×6, first 2 shown]
	s_wait_dscnt 0x4
	;;#ASMSTART
	v_dot2_f32_f16 v20, v33, v37, v20
	;;#ASMEND
	;;#ASMSTART
	v_dot2_f32_f16 v20, v34, v38, v20
	;;#ASMEND
	;;#ASMSTART
	v_dot2_f32_f16 v20, v35, v39, v20
	;;#ASMEND
	;;#ASMSTART
	v_dot2_f32_f16 v20, v36, v40, v20
	;;#ASMEND
	s_wait_dscnt 0x3
	;;#ASMSTART
	v_dot2_f32_f16 v21, v33, v46, v21
	;;#ASMEND
	;;#ASMSTART
	v_dot2_f32_f16 v21, v34, v47, v21
	;;#ASMEND
	;;#ASMSTART
	v_dot2_f32_f16 v21, v35, v48, v21
	;;#ASMEND
	;;#ASMSTART
	v_dot2_f32_f16 v21, v36, v49, v21
	;;#ASMEND
	;; [unrolled: 13-line block ×3, first 2 shown]
	;;#ASMSTART
	v_dot2_f32_f16 v23, v52, v46, v23
	;;#ASMEND
	;;#ASMSTART
	v_dot2_f32_f16 v23, v53, v47, v23
	;;#ASMEND
	;; [unrolled: 3-line block ×4, first 2 shown]
	s_wait_dscnt 0x1
	;;#ASMSTART
	v_dot2_f32_f16 v24, v56, v37, v24
	;;#ASMEND
	;;#ASMSTART
	v_dot2_f32_f16 v24, v57, v38, v24
	;;#ASMEND
	;; [unrolled: 3-line block ×8, first 2 shown]
	s_wait_dscnt 0x0
	;;#ASMSTART
	v_dot2_f32_f16 v26, v60, v37, v26
	;;#ASMEND
	;;#ASMSTART
	v_dot2_f32_f16 v26, v61, v38, v26
	;;#ASMEND
	;; [unrolled: 3-line block ×8, first 2 shown]
	ds_load_b128 v[33:36], v204 offset:160
	ds_load_b128 v[37:40], v203 offset:160
	;; [unrolled: 1-line block ×6, first 2 shown]
	s_wait_dscnt 0x4
	;;#ASMSTART
	v_dot2_f32_f16 v20, v33, v37, v20
	;;#ASMEND
	;;#ASMSTART
	v_dot2_f32_f16 v20, v34, v38, v20
	;;#ASMEND
	;;#ASMSTART
	v_dot2_f32_f16 v20, v35, v39, v20
	;;#ASMEND
	;;#ASMSTART
	v_dot2_f32_f16 v20, v36, v40, v20
	;;#ASMEND
	s_wait_dscnt 0x3
	;;#ASMSTART
	v_dot2_f32_f16 v21, v33, v46, v21
	;;#ASMEND
	;;#ASMSTART
	v_dot2_f32_f16 v21, v34, v47, v21
	;;#ASMEND
	;;#ASMSTART
	v_dot2_f32_f16 v21, v35, v48, v21
	;;#ASMEND
	;;#ASMSTART
	v_dot2_f32_f16 v21, v36, v49, v21
	;;#ASMEND
	;; [unrolled: 13-line block ×3, first 2 shown]
	;;#ASMSTART
	v_dot2_f32_f16 v23, v52, v46, v23
	;;#ASMEND
	;;#ASMSTART
	v_dot2_f32_f16 v23, v53, v47, v23
	;;#ASMEND
	;; [unrolled: 3-line block ×4, first 2 shown]
	s_wait_dscnt 0x1
	;;#ASMSTART
	v_dot2_f32_f16 v24, v56, v37, v24
	;;#ASMEND
	;;#ASMSTART
	v_dot2_f32_f16 v24, v57, v38, v24
	;;#ASMEND
	;; [unrolled: 3-line block ×8, first 2 shown]
	s_wait_dscnt 0x0
	;;#ASMSTART
	v_dot2_f32_f16 v26, v60, v37, v26
	;;#ASMEND
	;;#ASMSTART
	v_dot2_f32_f16 v26, v61, v38, v26
	;;#ASMEND
	;; [unrolled: 3-line block ×8, first 2 shown]
	ds_load_b128 v[33:36], v204 offset:176
	ds_load_b128 v[37:40], v203 offset:176
	;; [unrolled: 1-line block ×6, first 2 shown]
	s_wait_dscnt 0x4
	;;#ASMSTART
	v_dot2_f32_f16 v20, v33, v37, v20
	;;#ASMEND
	;;#ASMSTART
	v_dot2_f32_f16 v20, v34, v38, v20
	;;#ASMEND
	;;#ASMSTART
	v_dot2_f32_f16 v20, v35, v39, v20
	;;#ASMEND
	;;#ASMSTART
	v_dot2_f32_f16 v20, v36, v40, v20
	;;#ASMEND
	s_wait_dscnt 0x3
	;;#ASMSTART
	v_dot2_f32_f16 v21, v33, v46, v21
	;;#ASMEND
	;;#ASMSTART
	v_dot2_f32_f16 v21, v34, v47, v21
	;;#ASMEND
	;;#ASMSTART
	v_dot2_f32_f16 v21, v35, v48, v21
	;;#ASMEND
	;;#ASMSTART
	v_dot2_f32_f16 v21, v36, v49, v21
	;;#ASMEND
	;; [unrolled: 13-line block ×3, first 2 shown]
	;;#ASMSTART
	v_dot2_f32_f16 v23, v52, v46, v23
	;;#ASMEND
	;;#ASMSTART
	v_dot2_f32_f16 v23, v53, v47, v23
	;;#ASMEND
	;;#ASMSTART
	v_dot2_f32_f16 v23, v54, v48, v23
	;;#ASMEND
	;;#ASMSTART
	v_dot2_f32_f16 v23, v55, v49, v23
	;;#ASMEND
	s_wait_dscnt 0x1
	;;#ASMSTART
	v_dot2_f32_f16 v24, v56, v37, v24
	;;#ASMEND
	;;#ASMSTART
	v_dot2_f32_f16 v24, v57, v38, v24
	;;#ASMEND
	;; [unrolled: 3-line block ×8, first 2 shown]
	s_wait_dscnt 0x0
	;;#ASMSTART
	v_dot2_f32_f16 v26, v60, v37, v26
	;;#ASMEND
	;;#ASMSTART
	v_dot2_f32_f16 v26, v61, v38, v26
	;;#ASMEND
	;; [unrolled: 3-line block ×8, first 2 shown]
	ds_load_b128 v[33:36], v204 offset:192
	ds_load_b128 v[37:40], v203 offset:192
	;; [unrolled: 1-line block ×6, first 2 shown]
	s_wait_dscnt 0x4
	;;#ASMSTART
	v_dot2_f32_f16 v20, v33, v37, v20
	;;#ASMEND
	;;#ASMSTART
	v_dot2_f32_f16 v20, v34, v38, v20
	;;#ASMEND
	;;#ASMSTART
	v_dot2_f32_f16 v20, v35, v39, v20
	;;#ASMEND
	;;#ASMSTART
	v_dot2_f32_f16 v20, v36, v40, v20
	;;#ASMEND
	s_wait_dscnt 0x3
	;;#ASMSTART
	v_dot2_f32_f16 v21, v33, v46, v21
	;;#ASMEND
	;;#ASMSTART
	v_dot2_f32_f16 v21, v34, v47, v21
	;;#ASMEND
	;;#ASMSTART
	v_dot2_f32_f16 v21, v35, v48, v21
	;;#ASMEND
	;;#ASMSTART
	v_dot2_f32_f16 v21, v36, v49, v21
	;;#ASMEND
	;; [unrolled: 13-line block ×3, first 2 shown]
	;;#ASMSTART
	v_dot2_f32_f16 v23, v52, v46, v23
	;;#ASMEND
	;;#ASMSTART
	v_dot2_f32_f16 v23, v53, v47, v23
	;;#ASMEND
	;; [unrolled: 3-line block ×4, first 2 shown]
	s_wait_dscnt 0x1
	;;#ASMSTART
	v_dot2_f32_f16 v24, v56, v37, v24
	;;#ASMEND
	;;#ASMSTART
	v_dot2_f32_f16 v24, v57, v38, v24
	;;#ASMEND
	;; [unrolled: 3-line block ×8, first 2 shown]
	s_wait_dscnt 0x0
	;;#ASMSTART
	v_dot2_f32_f16 v26, v60, v37, v26
	;;#ASMEND
	;;#ASMSTART
	v_dot2_f32_f16 v26, v61, v38, v26
	;;#ASMEND
	;; [unrolled: 3-line block ×8, first 2 shown]
	ds_load_b128 v[33:36], v204 offset:208
	ds_load_b128 v[37:40], v203 offset:208
	;; [unrolled: 1-line block ×6, first 2 shown]
	s_wait_dscnt 0x4
	;;#ASMSTART
	v_dot2_f32_f16 v20, v33, v37, v20
	;;#ASMEND
	;;#ASMSTART
	v_dot2_f32_f16 v20, v34, v38, v20
	;;#ASMEND
	;;#ASMSTART
	v_dot2_f32_f16 v20, v35, v39, v20
	;;#ASMEND
	;;#ASMSTART
	v_dot2_f32_f16 v20, v36, v40, v20
	;;#ASMEND
	s_wait_dscnt 0x3
	;;#ASMSTART
	v_dot2_f32_f16 v21, v33, v46, v21
	;;#ASMEND
	;;#ASMSTART
	v_dot2_f32_f16 v21, v34, v47, v21
	;;#ASMEND
	;;#ASMSTART
	v_dot2_f32_f16 v21, v35, v48, v21
	;;#ASMEND
	;;#ASMSTART
	v_dot2_f32_f16 v21, v36, v49, v21
	;;#ASMEND
	;; [unrolled: 13-line block ×3, first 2 shown]
	;;#ASMSTART
	v_dot2_f32_f16 v23, v52, v46, v23
	;;#ASMEND
	;;#ASMSTART
	v_dot2_f32_f16 v23, v53, v47, v23
	;;#ASMEND
	;; [unrolled: 3-line block ×4, first 2 shown]
	s_wait_dscnt 0x1
	;;#ASMSTART
	v_dot2_f32_f16 v24, v56, v37, v24
	;;#ASMEND
	;;#ASMSTART
	v_dot2_f32_f16 v24, v57, v38, v24
	;;#ASMEND
	;; [unrolled: 3-line block ×8, first 2 shown]
	s_wait_dscnt 0x0
	;;#ASMSTART
	v_dot2_f32_f16 v26, v60, v37, v26
	;;#ASMEND
	;;#ASMSTART
	v_dot2_f32_f16 v26, v61, v38, v26
	;;#ASMEND
	;; [unrolled: 3-line block ×8, first 2 shown]
	ds_load_b128 v[33:36], v204 offset:224
	ds_load_b128 v[37:40], v203 offset:224
	;; [unrolled: 1-line block ×6, first 2 shown]
	s_wait_dscnt 0x4
	;;#ASMSTART
	v_dot2_f32_f16 v20, v33, v37, v20
	;;#ASMEND
	;;#ASMSTART
	v_dot2_f32_f16 v20, v34, v38, v20
	;;#ASMEND
	;;#ASMSTART
	v_dot2_f32_f16 v20, v35, v39, v20
	;;#ASMEND
	;;#ASMSTART
	v_dot2_f32_f16 v20, v36, v40, v20
	;;#ASMEND
	s_wait_dscnt 0x3
	;;#ASMSTART
	v_dot2_f32_f16 v21, v33, v46, v21
	;;#ASMEND
	;;#ASMSTART
	v_dot2_f32_f16 v21, v34, v47, v21
	;;#ASMEND
	;;#ASMSTART
	v_dot2_f32_f16 v21, v35, v48, v21
	;;#ASMEND
	;;#ASMSTART
	v_dot2_f32_f16 v21, v36, v49, v21
	;;#ASMEND
	;; [unrolled: 13-line block ×3, first 2 shown]
	;;#ASMSTART
	v_dot2_f32_f16 v23, v52, v46, v23
	;;#ASMEND
	;;#ASMSTART
	v_dot2_f32_f16 v23, v53, v47, v23
	;;#ASMEND
	;; [unrolled: 3-line block ×4, first 2 shown]
	s_wait_dscnt 0x1
	;;#ASMSTART
	v_dot2_f32_f16 v24, v56, v37, v24
	;;#ASMEND
	;;#ASMSTART
	v_dot2_f32_f16 v24, v57, v38, v24
	;;#ASMEND
	;; [unrolled: 3-line block ×8, first 2 shown]
	s_wait_dscnt 0x0
	;;#ASMSTART
	v_dot2_f32_f16 v26, v60, v37, v26
	;;#ASMEND
	;;#ASMSTART
	v_dot2_f32_f16 v26, v61, v38, v26
	;;#ASMEND
	;; [unrolled: 3-line block ×8, first 2 shown]
	ds_load_b128 v[33:36], v204 offset:240
	ds_load_b128 v[37:40], v203 offset:240
	;; [unrolled: 1-line block ×6, first 2 shown]
	s_wait_dscnt 0x4
	;;#ASMSTART
	v_dot2_f32_f16 v20, v33, v37, v20
	;;#ASMEND
	;;#ASMSTART
	v_dot2_f32_f16 v20, v34, v38, v20
	;;#ASMEND
	;;#ASMSTART
	v_dot2_f32_f16 v20, v35, v39, v20
	;;#ASMEND
	;;#ASMSTART
	v_dot2_f32_f16 v20, v36, v40, v20
	;;#ASMEND
	s_wait_dscnt 0x3
	;;#ASMSTART
	v_dot2_f32_f16 v21, v33, v46, v21
	;;#ASMEND
	;;#ASMSTART
	v_dot2_f32_f16 v21, v34, v47, v21
	;;#ASMEND
	;;#ASMSTART
	v_dot2_f32_f16 v21, v35, v48, v21
	;;#ASMEND
	;;#ASMSTART
	v_dot2_f32_f16 v21, v36, v49, v21
	;;#ASMEND
	;; [unrolled: 13-line block ×3, first 2 shown]
	;;#ASMSTART
	v_dot2_f32_f16 v23, v52, v46, v23
	;;#ASMEND
	;;#ASMSTART
	v_dot2_f32_f16 v23, v53, v47, v23
	;;#ASMEND
	;; [unrolled: 3-line block ×4, first 2 shown]
	s_wait_dscnt 0x1
	;;#ASMSTART
	v_dot2_f32_f16 v24, v56, v37, v24
	;;#ASMEND
	;;#ASMSTART
	v_dot2_f32_f16 v24, v57, v38, v24
	;;#ASMEND
	;; [unrolled: 3-line block ×8, first 2 shown]
	s_wait_dscnt 0x0
	;;#ASMSTART
	v_dot2_f32_f16 v26, v60, v37, v26
	;;#ASMEND
	;;#ASMSTART
	v_dot2_f32_f16 v26, v61, v38, v26
	;;#ASMEND
	;; [unrolled: 3-line block ×8, first 2 shown]
	s_clause 0x3
	global_load_u16 v41, v[16:17], off
	global_load_u16 v42, v[16:17], off offset:64
	global_load_u16 v43, v[16:17], off offset:128
	;; [unrolled: 1-line block ×3, first 2 shown]
	s_wait_loadcnt 0x0
	s_barrier_signal -1
	s_barrier_wait -1
	global_inv scope:SCOPE_SE
	s_clause 0x7
	global_load_b128 v[33:36], v[0:1], off
	global_load_b128 v[0:3], v[2:3], off
	;; [unrolled: 1-line block ×8, first 2 shown]
	v_cvt_f32_f16_e32 v17, v41
	v_cvt_f32_f16_e32 v41, v42
	;; [unrolled: 1-line block ×4, first 2 shown]
	s_delay_alu instid0(VALU_DEP_4) | instskip(NEXT) | instid1(VALU_DEP_3)
	v_add_f32_e32 v20, v20, v17
	v_dual_add_f32 v17, v21, v17 :: v_dual_add_f32 v24, v24, v42
	v_add_f32_e32 v21, v23, v41
	v_add_f32_e32 v23, v25, v42
	s_delay_alu instid0(VALU_DEP_4) | instskip(NEXT) | instid1(VALU_DEP_4)
	v_add_f32_e32 v25, 0x40051340, v20
	v_add_f32_e32 v43, 0x40051340, v17
	v_dual_add_f32 v22, v22, v41 :: v_dual_add_f32 v41, 0x40051340, v24
	v_add_f32_e32 v26, v26, v16
	v_dual_add_f32 v16, v27, v16 :: v_dual_add_f32 v57, 0x40051340, v23
	s_delay_alu instid0(VALU_DEP_3) | instskip(NEXT) | instid1(VALU_DEP_3)
	v_dual_add_f32 v27, 0x40051340, v22 :: v_dual_add_f32 v56, 0x40051340, v21
	v_add_f32_e32 v42, 0x40051340, v26
	s_delay_alu instid0(VALU_DEP_2) | instskip(NEXT) | instid1(VALU_DEP_3)
	v_max3_num_f32 v25, v19, v25, v27
	v_max3_num_f32 v27, v18, v43, v56
	s_delay_alu instid0(VALU_DEP_2) | instskip(SKIP_3) | instid1(VALU_DEP_1)
	v_max3_num_f32 v25, v25, v41, v42
	ds_bpermute_b32 v41, v32, v25
	s_wait_dscnt 0x0
	v_dual_max_num_f32 v41, v41, v41 :: v_dual_add_f32 v58, 0x40051340, v16
	v_max_num_f32_e32 v25, v25, v41
	s_delay_alu instid0(VALU_DEP_2) | instskip(SKIP_3) | instid1(VALU_DEP_1)
	v_max3_num_f32 v27, v27, v57, v58
	ds_bpermute_b32 v32, v32, v27
	s_wait_dscnt 0x0
	v_max_num_f32_e32 v32, v32, v32
	v_max_num_f32_e32 v27, v27, v32
	ds_bpermute_b32 v32, v31, v25
	ds_bpermute_b32 v31, v31, v27
	s_wait_dscnt 0x0
	v_dual_max_num_f32 v31, v31, v31 :: v_dual_max_num_f32 v32, v32, v32
	s_delay_alu instid0(VALU_DEP_1) | instskip(NEXT) | instid1(VALU_DEP_2)
	v_max_num_f32_e32 v27, v27, v31
	v_max_num_f32_e32 v25, v25, v32
	ds_bpermute_b32 v31, v30, v25
	ds_bpermute_b32 v30, v30, v27
	s_wait_dscnt 0x0
	v_dual_max_num_f32 v31, v31, v31 :: v_dual_max_num_f32 v30, v30, v30
	s_delay_alu instid0(VALU_DEP_1) | instskip(NEXT) | instid1(VALU_DEP_2)
	;; [unrolled: 7-line block ×3, first 2 shown]
	v_max_num_f32_e32 v25, v25, v30
	v_max_num_f32_e32 v27, v27, v29
	ds_bpermute_b32 v29, v28, v25
	s_wait_dscnt 0x0
	v_max_num_f32_e32 v29, v29, v29
	s_delay_alu instid0(VALU_DEP_1) | instskip(NEXT) | instid1(VALU_DEP_1)
	v_max_num_f32_e32 v183, v25, v29
	v_sub_f32_e32 v24, v24, v183
	ds_bpermute_b32 v28, v28, v27
	v_cmp_ngt_f32_e64 s2, 0xc2ce8ed0, v24
	v_cmp_nlt_f32_e64 s12, 0x42b17218, v24
	s_wait_dscnt 0x0
	v_max_num_f32_e32 v28, v28, v28
	s_delay_alu instid0(VALU_DEP_1) | instskip(SKIP_1) | instid1(VALU_DEP_2)
	v_max_num_f32_e32 v184, v27, v28
	v_mul_f32_e32 v28, 0x3fb8aa3b, v24
	v_sub_f32_e32 v16, v16, v184
	v_sub_f32_e32 v20, v20, v183
	;; [unrolled: 1-line block ×6, first 2 shown]
	s_delay_alu instid0(VALU_DEP_4) | instskip(SKIP_2) | instid1(VALU_DEP_3)
	v_dual_mul_f32 v26, 0x3fb8aa3b, v20 :: v_dual_mul_f32 v27, 0x3fb8aa3b, v22
	v_mul_f32_e32 v42, 0x3fb8aa3b, v16
	v_dual_sub_f32 v17, v17, v184 :: v_dual_mul_f32 v30, 0x3fb8aa3b, v19
	v_fma_f32 v56, 0x3fb8aa3b, v20, -v26
	v_rndne_f32_e32 v57, v26
	v_sub_f32_e32 v21, v21, v184
	v_fma_f32 v58, 0x3fb8aa3b, v22, -v27
	v_rndne_f32_e32 v59, v27
	v_mul_f32_e32 v29, 0x3fb8aa3b, v25
	v_cmp_ngt_f32_e32 vcc_lo, 0xc2ce8ed0, v22
	v_cmp_ngt_f32_e64 s10, 0xc2ce8ed0, v20
	v_cmp_nlt_f32_e64 s11, 0x42b17218, v22
	v_cmp_nlt_f32_e64 s20, 0x42b17218, v20
	v_fma_f32 v64, 0x3fb8aa3b, v19, -v30
	v_rndne_f32_e32 v65, v30
	v_fma_f32 v72, 0x3fb8aa3b, v16, -v42
	v_rndne_f32_e32 v73, v42
	v_mul_f32_e32 v43, 0x3fb8aa3b, v18
	v_fmac_f32_e32 v58, 0x32a5705f, v22
	v_sub_f32_e32 v22, v27, v59
	v_rndne_f32_e32 v63, v29
	v_fmac_f32_e32 v56, 0x32a5705f, v20
	v_dual_sub_f32 v20, v26, v57 :: v_dual_sub_f32 v23, v23, v184
	v_mul_f32_e32 v32, 0x3fb8aa3b, v21
	v_cmp_ngt_f32_e64 s4, 0xc2ce8ed0, v19
	v_cmp_ngt_f32_e64 s8, 0xc2ce8ed0, v16
	v_cmp_nlt_f32_e64 s14, 0x42b17218, v19
	v_cmp_nlt_f32_e64 s18, 0x42b17218, v16
	v_fma_f32 v60, 0x3fb8aa3b, v24, -v28
	v_rndne_f32_e32 v61, v28
	v_mul_f32_e32 v41, 0x3fb8aa3b, v23
	v_fma_f32 v62, 0x3fb8aa3b, v25, -v29
	v_fma_f32 v68, 0x3fb8aa3b, v21, -v32
	v_rndne_f32_e32 v69, v32
	v_dual_fmac_f32 v64, 0x32a5705f, v19 :: v_dual_sub_f32 v19, v30, v65
	v_fmac_f32_e32 v72, 0x32a5705f, v16
	v_sub_f32_e32 v16, v42, v73
	v_fma_f32 v74, 0x3fb8aa3b, v18, -v43
	v_rndne_f32_e32 v75, v43
	v_mul_f32_e32 v31, 0x3fb8aa3b, v17
	v_cmp_ngt_f32_e64 s3, 0xc2ce8ed0, v25
	v_cmp_ngt_f32_e64 s6, 0xc2ce8ed0, v21
	;; [unrolled: 1-line block ×3, first 2 shown]
	v_cmp_nlt_f32_e64 s13, 0x42b17218, v25
	v_cmp_nlt_f32_e64 s16, 0x42b17218, v21
	;; [unrolled: 1-line block ×3, first 2 shown]
	v_fmac_f32_e32 v68, 0x32a5705f, v21
	v_sub_f32_e32 v21, v32, v69
	v_dual_add_f32 v19, v19, v64 :: v_dual_fmac_f32 v74, 0x32a5705f, v18
	v_sub_f32_e32 v18, v43, v75
	v_fma_f32 v66, 0x3fb8aa3b, v17, -v31
	v_rndne_f32_e32 v67, v31
	v_fmac_f32_e32 v60, 0x32a5705f, v24
	v_sub_f32_e32 v24, v28, v61
	v_fma_f32 v70, 0x3fb8aa3b, v23, -v41
	v_rndne_f32_e32 v71, v41
	v_dual_fmac_f32 v62, 0x32a5705f, v25 :: v_dual_sub_f32 v25, v29, v63
	v_cmp_ngt_f32_e64 s7, 0xc2ce8ed0, v23
	v_cmp_nlt_f32_e64 s17, 0x42b17218, v23
	v_fmac_f32_e32 v70, 0x32a5705f, v23
	v_dual_sub_f32 v23, v41, v71 :: v_dual_fmac_f32 v66, 0x32a5705f, v17
	v_add_f32_e32 v25, v25, v62
	v_cvt_i32_f32_e32 v29, v63
	v_add_f32_e32 v21, v21, v68
	v_cmp_ngt_f32_e64 s5, 0xc2ce8ed0, v17
	v_cmp_nlt_f32_e64 s15, 0x42b17218, v17
	v_exp_f32_e32 v25, v25
	v_sub_f32_e32 v17, v31, v67
	v_cvt_i32_f32_e32 v43, v75
	v_exp_f32_e32 v19, v19
	v_exp_f32_e32 v21, v21
	v_cvt_i32_f32_e32 v30, v65
	v_add_f32_e32 v17, v17, v66
	v_add_f32_e32 v23, v23, v70
	v_cvt_i32_f32_e32 v31, v67
	v_cvt_i32_f32_e32 v32, v69
	v_ldexp_f32 v25, v25, v29
	v_exp_f32_e32 v17, v17
	v_exp_f32_e32 v23, v23
	v_cvt_i32_f32_e32 v41, v71
	v_ldexp_f32 v19, v19, v30
	s_wait_alu 0xf1ff
	v_cndmask_b32_e64 v25, 0, v25, s3
	v_ldexp_f32 v21, v21, v32
	v_cvt_i32_f32_e32 v28, v61
	v_add_f32_e32 v16, v16, v72
	v_cndmask_b32_e64 v19, 0, v19, s4
	v_cndmask_b32_e64 v25, 0x7f800000, v25, s13
	v_add_f32_e32 v18, v18, v74
	v_ldexp_f32 v17, v17, v31
	v_ldexp_f32 v23, v23, v41
	v_cndmask_b32_e64 v21, 0, v21, s6
	v_cndmask_b32_e64 v234, 0x7f800000, v19, s14
	v_exp_f32_e32 v18, v18
	v_cndmask_b32_e64 v17, 0, v17, s5
	v_cndmask_b32_e64 v23, 0, v23, s7
	;; [unrolled: 1-line block ×3, first 2 shown]
	v_cvt_i32_f32_e32 v26, v57
	v_cvt_i32_f32_e32 v27, v59
	v_cndmask_b32_e64 v17, 0x7f800000, v17, s15
	v_add_f32_e32 v20, v20, v56
	v_cndmask_b32_e64 v21, 0x7f800000, v23, s17
	v_exp_f32_e32 v16, v16
	v_ldexp_f32 v18, v18, v43
	v_cvt_i32_f32_e32 v42, v73
	s_delay_alu instid0(VALU_DEP_3) | instskip(NEXT) | instid1(VALU_DEP_3)
	v_cvt_f16_f32_e32 v29, v21
	v_cndmask_b32_e64 v18, 0, v18, s9
	s_delay_alu instid0(TRANS32_DEP_1) | instid1(VALU_DEP_3)
	v_ldexp_f32 v16, v16, v42
	s_delay_alu instid0(VALU_DEP_2) | instskip(NEXT) | instid1(VALU_DEP_2)
	v_cndmask_b32_e64 v235, 0x7f800000, v18, s19
	v_cndmask_b32_e64 v16, 0, v16, s8
	s_delay_alu instid0(VALU_DEP_2) | instskip(SKIP_1) | instid1(VALU_DEP_3)
	v_cvt_f16_f32_e64 v30, v235
	v_add_f32_e32 v24, v24, v60
	v_cndmask_b32_e64 v16, 0x7f800000, v16, s18
	s_delay_alu instid0(VALU_DEP_2) | instskip(NEXT) | instid1(VALU_DEP_1)
	v_exp_f32_e32 v24, v24
	v_cvt_f16_f32_e32 v31, v16
	s_delay_alu instid0(TRANS32_DEP_1) | instskip(SKIP_3) | instid1(VALU_DEP_3)
	v_ldexp_f32 v24, v24, v28
	v_cvt_f16_f32_e32 v28, v17
	v_dual_add_f32 v17, v17, v19 :: v_dual_add_f32 v22, v22, v58
	v_exp_f32_e32 v20, v20
	v_cndmask_b32_e64 v24, 0, v24, s2
	v_cvt_f16_f32_e32 v19, v19
	s_delay_alu instid0(VALU_DEP_3) | instskip(SKIP_3) | instid1(VALU_DEP_3)
	v_add_f32_e32 v17, v21, v17
	v_exp_f32_e32 v22, v22
	v_and_b32_e32 v21, 0xffff, v30
	v_cndmask_b32_e64 v24, 0x7f800000, v24, s12
	v_add_f32_e32 v236, v16, v17
	s_delay_alu instid0(TRANS32_DEP_2) | instskip(NEXT) | instid1(VALU_DEP_3)
	v_ldexp_f32 v20, v20, v26
	v_cvt_f16_f32_e32 v23, v24
	v_cvt_f16_f32_e32 v26, v25
	v_mul_u32_u24_e32 v104, 0x10001, v21
	s_delay_alu instid0(TRANS32_DEP_1) | instskip(SKIP_2) | instid1(VALU_DEP_4)
	v_ldexp_f32 v22, v22, v27
	v_cndmask_b32_e64 v20, 0, v20, s10
	v_cvt_f16_f32_e64 v27, v234
	v_pk_mul_f16 v44, v44, v104
	s_wait_alu 0xfffd
	v_cndmask_b32_e32 v22, 0, v22, vcc_lo
	v_cndmask_b32_e64 v20, 0x7f800000, v20, s20
	s_delay_alu instid0(VALU_DEP_2) | instskip(NEXT) | instid1(VALU_DEP_2)
	v_cndmask_b32_e64 v22, 0x7f800000, v22, s11
	v_cvt_f16_f32_e32 v18, v20
	s_delay_alu instid0(VALU_DEP_2) | instskip(SKIP_1) | instid1(VALU_DEP_3)
	v_add_f32_e32 v20, v20, v22
	v_cvt_f16_f32_e32 v22, v22
	v_pack_b32_f16 v18, v18, v28
	s_delay_alu instid0(VALU_DEP_3) | instskip(NEXT) | instid1(VALU_DEP_3)
	v_add_f32_e32 v20, v24, v20
	v_pack_b32_f16 v19, v22, v19
	v_pack_b32_f16 v22, v23, v29
	;; [unrolled: 1-line block ×3, first 2 shown]
	ds_store_2addr_b32 v215, v18, v19 offset1:32
	ds_store_2addr_b32 v215, v22, v23 offset0:64 offset1:96
	s_wait_loadcnt 0x7
	ds_store_b128 v205, v[33:36]
	s_wait_loadcnt 0x6
	ds_store_b128 v207, v[0:3]
	;; [unrolled: 2-line block ×8, first 2 shown]
	v_dual_add_f32 v233, v25, v20 :: v_dual_and_b32 v24, 0xffff, v27
	s_wait_dscnt 0x0
	s_barrier_signal -1
	s_barrier_wait -1
	global_inv scope:SCOPE_SE
	v_fmac_f32_e32 v233, v231, v234
	v_mul_u32_u24_e32 v105, 0x10001, v24
	ds_load_2addr_b64 v[80:83], v187 offset1:32
	ds_load_2addr_b64 v[88:91], v187 offset0:64 offset1:96
	ds_load_2addr_b64 v[84:87], v187 offset0:128 offset1:160
	ds_load_b128 v[96:99], v206
	ds_load_b128 v[72:75], v206 offset:16
	ds_load_2addr_b64 v[68:71], v187 offset0:192 offset1:224
	ds_load_2addr_b64 v[40:43], v216 offset1:32
	ds_load_2addr_b64 v[24:27], v216 offset0:64 offset1:96
	ds_load_2addr_b64 v[56:59], v216 offset0:128 offset1:160
	ds_load_b128 v[100:103], v206 offset:32
	ds_load_b128 v[46:49], v206 offset:48
	ds_load_2addr_b64 v[28:31], v216 offset0:192 offset1:224
	ds_load_2addr_b64 v[52:55], v217 offset1:32
	ds_load_b128 v[32:35], v206 offset:64
	ds_load_b128 v[36:39], v206 offset:80
	;; [unrolled: 1-line block ×10, first 2 shown]
	ds_load_2addr_b64 v[108:111], v217 offset0:64 offset1:96
	ds_load_2addr_b64 v[237:240], v217 offset0:128 offset1:160
	;; [unrolled: 1-line block ×3, first 2 shown]
	ds_load_2addr_b64 v[120:123], v218 offset1:32
	ds_load_2addr_b64 v[144:147], v218 offset0:64 offset1:96
	ds_load_2addr_b64 v[124:127], v218 offset0:128 offset1:160
	;; [unrolled: 1-line block ×3, first 2 shown]
	ds_load_2addr_b64 v[132:135], v219 offset1:32
	ds_load_2addr_b64 v[136:139], v219 offset0:64 offset1:96
	ds_load_2addr_b64 v[92:95], v219 offset0:128 offset1:160
	;; [unrolled: 1-line block ×3, first 2 shown]
	s_wait_dscnt 0x1e
	v_and_b32_e32 v106, 0xffff, v96
	v_lshrrev_b32_e32 v96, 16, v96
	ds_load_2addr_b64 v[128:131], v220 offset1:32
	v_pk_mul_f16 v51, v51, v105
	ds_load_2addr_b64 v[116:119], v220 offset0:128 offset1:160
	v_mul_u32_u24_e32 v106, 0x10001, v106
	v_mul_u32_u24_e32 v96, 0x10001, v96
	ds_load_2addr_b64 v[112:115], v220 offset0:192 offset1:224
	v_pk_mul_f16 v107, v80, v106
	v_pk_mul_f16 v80, v80, v96
	v_pk_fma_f16 v44, v81, v96, v44
	v_and_b32_e32 v96, 0xffff, v98
	v_pk_fma_f16 v51, v81, v106, v51
	v_pk_fma_f16 v50, v50, v105, v107
	v_and_b32_e32 v105, 0xffff, v97
	v_lshrrev_b32_e32 v97, 16, v97
	v_pk_fma_f16 v45, v45, v104, v80
	v_mul_u32_u24_e32 v96, 0x10001, v96
	s_delay_alu instid0(VALU_DEP_4) | instskip(NEXT) | instid1(VALU_DEP_4)
	v_mul_u32_u24_e32 v105, 0x10001, v105
	v_mul_u32_u24_e32 v97, 0x10001, v97
	s_delay_alu instid0(VALU_DEP_2) | instskip(NEXT) | instid1(VALU_DEP_2)
	v_pk_fma_f16 v50, v82, v105, v50
	v_pk_fma_f16 v44, v83, v97, v44
	;; [unrolled: 1-line block ×3, first 2 shown]
	v_lshrrev_b32_e32 v97, 16, v98
	v_lshrrev_b32_e32 v98, 16, v99
	v_pk_fma_f16 v51, v83, v105, v51
	v_and_b32_e32 v99, 0xffff, v99
	v_pk_fma_f16 v50, v88, v96, v50
	v_mul_u32_u24_e32 v97, 0x10001, v97
	v_mul_u32_u24_e32 v98, 0x10001, v98
	v_pk_fma_f16 v51, v89, v96, v51
	v_mul_u32_u24_e32 v99, 0x10001, v99
	ds_load_2addr_b64 v[80:83], v220 offset0:64 offset1:96
	v_pk_fma_f16 v44, v89, v97, v44
	v_pk_fma_f16 v45, v88, v97, v45
	s_wait_dscnt 0x21
	v_and_b32_e32 v88, 0xffff, v72
	v_lshrrev_b32_e32 v72, 16, v72
	v_and_b32_e32 v89, 0xffff, v73
	v_pk_fma_f16 v44, v91, v98, v44
	v_pk_fma_f16 v45, v90, v98, v45
	v_lshrrev_b32_e32 v73, 16, v73
	v_mul_u32_u24_e32 v72, 0x10001, v72
	v_pk_fma_f16 v51, v91, v99, v51
	v_pk_fma_f16 v50, v90, v99, v50
	v_mul_u32_u24_e32 v88, 0x10001, v88
	v_mul_u32_u24_e32 v73, 0x10001, v73
	v_pk_fma_f16 v44, v85, v72, v44
	v_pk_fma_f16 v45, v84, v72, v45
	v_mul_u32_u24_e32 v89, 0x10001, v89
	v_pk_fma_f16 v51, v85, v88, v51
	v_pk_fma_f16 v50, v84, v88, v50
	;; [unrolled: 1-line block ×4, first 2 shown]
	v_and_b32_e32 v72, 0xffff, v74
	v_lshrrev_b32_e32 v73, 16, v74
	v_pk_fma_f16 v51, v87, v89, v51
	v_pk_fma_f16 v50, v86, v89, v50
	v_lshrrev_b32_e32 v74, 16, v75
	v_and_b32_e32 v75, 0xffff, v75
	v_mul_u32_u24_e32 v72, 0x10001, v72
	v_mul_u32_u24_e32 v73, 0x10001, v73
	s_wait_dscnt 0x15
	v_and_b32_e32 v88, 0xffff, v64
	v_mul_u32_u24_e32 v74, 0x10001, v74
	v_mul_u32_u24_e32 v75, 0x10001, v75
	v_pk_fma_f16 v51, v69, v72, v51
	v_pk_fma_f16 v44, v69, v73, v44
	;; [unrolled: 1-line block ×4, first 2 shown]
	v_and_b32_e32 v68, 0xffff, v100
	v_lshrrev_b32_e32 v69, 16, v100
	v_pk_fma_f16 v51, v71, v75, v51
	v_pk_fma_f16 v44, v71, v74, v44
	v_pk_fma_f16 v50, v70, v75, v50
	v_pk_fma_f16 v45, v70, v74, v45
	v_and_b32_e32 v70, 0xffff, v101
	v_lshrrev_b32_e32 v71, 16, v101
	v_mul_u32_u24_e32 v68, 0x10001, v68
	v_mul_u32_u24_e32 v69, 0x10001, v69
	v_and_b32_e32 v72, 0xffff, v60
	v_mul_u32_u24_e32 v70, 0x10001, v70
	v_mul_u32_u24_e32 v71, 0x10001, v71
	v_pk_fma_f16 v51, v41, v68, v51
	v_pk_fma_f16 v41, v41, v69, v44
	v_pk_fma_f16 v44, v40, v68, v50
	v_pk_fma_f16 v40, v40, v69, v45
	v_and_b32_e32 v68, 0xffff, v102
	v_lshrrev_b32_e32 v69, 16, v102
	v_pk_fma_f16 v45, v43, v70, v51
	v_pk_fma_f16 v50, v43, v71, v41
	;; [unrolled: 1-line block ×4, first 2 shown]
	v_lshrrev_b32_e32 v70, 16, v103
	v_and_b32_e32 v71, 0xffff, v103
	v_mul_u32_u24_e32 v68, 0x10001, v68
	v_mul_u32_u24_e32 v69, 0x10001, v69
	v_lshrrev_b32_e32 v60, 16, v60
	v_mul_u32_u24_e32 v70, 0x10001, v70
	v_mul_u32_u24_e32 v71, 0x10001, v71
	v_pk_fma_f16 v45, v25, v68, v45
	v_pk_fma_f16 v25, v25, v69, v50
	;; [unrolled: 1-line block ×3, first 2 shown]
	v_and_b32_e32 v68, 0xffff, v46
	v_lshrrev_b32_e32 v46, 16, v46
	v_pk_fma_f16 v24, v24, v69, v51
	v_pk_fma_f16 v45, v27, v71, v45
	;; [unrolled: 1-line block ×4, first 2 shown]
	v_and_b32_e32 v69, 0xffff, v47
	v_lshrrev_b32_e32 v47, 16, v47
	v_mul_u32_u24_e32 v68, 0x10001, v68
	v_mul_u32_u24_e32 v46, 0x10001, v46
	v_pk_fma_f16 v51, v26, v70, v24
	v_mul_u32_u24_e32 v69, 0x10001, v69
	v_mul_u32_u24_e32 v47, 0x10001, v47
	v_pk_fma_f16 v45, v57, v68, v45
	v_pk_fma_f16 v50, v57, v46, v50
	;; [unrolled: 1-line block ×4, first 2 shown]
	v_and_b32_e32 v68, 0xffff, v48
	v_pk_fma_f16 v56, v59, v69, v45
	v_pk_fma_f16 v57, v59, v47, v50
	v_pk_fma_f16 v59, v58, v69, v44
	v_lshrrev_b32_e32 v69, 16, v48
	v_lshrrev_b32_e32 v70, 16, v49
	v_and_b32_e32 v71, 0xffff, v49
	v_mul_u32_u24_e32 v68, 0x10001, v68
	v_pk_fma_f16 v58, v58, v47, v46
	v_mul_u32_u24_e32 v69, 0x10001, v69
	v_mul_u32_u24_e32 v70, 0x10001, v70
	;; [unrolled: 1-line block ×3, first 2 shown]
	v_pk_fma_f16 v56, v29, v68, v56
	v_and_b32_e32 v73, 0xffff, v61
	v_pk_fma_f16 v29, v29, v69, v57
	v_pk_fma_f16 v57, v28, v68, v59
	v_and_b32_e32 v68, 0xffff, v32
	v_lshrrev_b32_e32 v32, 16, v32
	v_pk_fma_f16 v28, v28, v69, v58
	v_pk_fma_f16 v56, v31, v71, v56
	;; [unrolled: 1-line block ×4, first 2 shown]
	v_and_b32_e32 v69, 0xffff, v33
	v_lshrrev_b32_e32 v33, 16, v33
	v_mul_u32_u24_e32 v68, 0x10001, v68
	v_mul_u32_u24_e32 v32, 0x10001, v32
	v_pk_fma_f16 v59, v30, v70, v28
	v_mul_u32_u24_e32 v69, 0x10001, v69
	v_mul_u32_u24_e32 v33, 0x10001, v33
	v_pk_fma_f16 v56, v53, v68, v56
	v_pk_fma_f16 v53, v53, v32, v58
	;; [unrolled: 1-line block ×4, first 2 shown]
	v_lshrrev_b32_e32 v58, 16, v35
	v_pk_fma_f16 v52, v55, v69, v56
	v_pk_fma_f16 v53, v55, v33, v53
	;; [unrolled: 1-line block ×3, first 2 shown]
	v_lshrrev_b32_e32 v57, 16, v34
	v_pk_fma_f16 v54, v54, v33, v32
	v_and_b32_e32 v56, 0xffff, v34
	v_mul_u32_u24_e32 v58, 0x10001, v58
	v_and_b32_e32 v68, 0xffff, v36
	v_mul_u32_u24_e32 v57, 0x10001, v57
	v_lshrrev_b32_e32 v36, 16, v36
	v_and_b32_e32 v59, 0xffff, v35
	v_mul_u32_u24_e32 v56, 0x10001, v56
	v_and_b32_e32 v69, 0xffff, v37
	s_wait_dscnt 0xe
	v_pk_fma_f16 v53, v109, v57, v53
	v_pk_fma_f16 v54, v108, v57, v54
	v_lshrrev_b32_e32 v37, 16, v37
	v_mul_u32_u24_e32 v36, 0x10001, v36
	v_mul_u32_u24_e32 v59, 0x10001, v59
	v_pk_fma_f16 v57, v111, v58, v53
	v_pk_fma_f16 v58, v110, v58, v54
	v_pk_fma_f16 v52, v109, v56, v52
	v_pk_fma_f16 v55, v108, v56, v55
	v_mul_u32_u24_e32 v37, 0x10001, v37
	s_wait_dscnt 0xd
	v_pk_fma_f16 v57, v238, v36, v57
	v_pk_fma_f16 v36, v237, v36, v58
	;; [unrolled: 1-line block ×4, first 2 shown]
	v_mul_u32_u24_e32 v68, 0x10001, v68
	v_pk_fma_f16 v70, v240, v37, v57
	v_pk_fma_f16 v36, v239, v37, v36
	v_and_b32_e32 v37, 0xffff, v38
	v_lshrrev_b32_e32 v38, 16, v38
	v_mul_u32_u24_e32 v69, 0x10001, v69
	v_pk_fma_f16 v56, v238, v68, v56
	v_pk_fma_f16 v59, v237, v68, v59
	v_lshrrev_b32_e32 v71, 16, v39
	v_mul_u32_u24_e32 v38, 0x10001, v38
	v_and_b32_e32 v39, 0xffff, v39
	v_pk_fma_f16 v68, v240, v69, v56
	v_pk_fma_f16 v69, v239, v69, v59
	v_mul_u32_u24_e32 v37, 0x10001, v37
	v_mul_u32_u24_e32 v71, 0x10001, v71
	s_wait_dscnt 0xc
	v_pk_fma_f16 v70, v242, v38, v70
	v_pk_fma_f16 v36, v241, v38, v36
	v_mul_u32_u24_e32 v39, 0x10001, v39
	v_pk_fma_f16 v68, v242, v37, v68
	v_pk_fma_f16 v37, v241, v37, v69
	;; [unrolled: 1-line block ×4, first 2 shown]
	v_lshrrev_b32_e32 v61, 16, v61
	v_mul_u32_u24_e32 v60, 0x10001, v60
	v_pk_fma_f16 v68, v244, v39, v68
	v_pk_fma_f16 v70, v243, v39, v37
	v_mul_u32_u24_e32 v72, 0x10001, v72
	v_mul_u32_u24_e32 v61, 0x10001, v61
	s_wait_dscnt 0xb
	v_pk_fma_f16 v69, v121, v60, v69
	v_pk_fma_f16 v60, v120, v60, v71
	v_mul_u32_u24_e32 v73, 0x10001, v73
	v_pk_fma_f16 v68, v121, v72, v68
	v_pk_fma_f16 v70, v120, v72, v70
	;; [unrolled: 1-line block ×4, first 2 shown]
	v_and_b32_e32 v61, 0xffff, v62
	v_lshrrev_b32_e32 v62, 16, v62
	v_pk_fma_f16 v72, v123, v73, v68
	v_pk_fma_f16 v73, v122, v73, v70
	v_lshrrev_b32_e32 v75, 16, v63
	v_and_b32_e32 v63, 0xffff, v63
	v_mul_u32_u24_e32 v61, 0x10001, v61
	v_mul_u32_u24_e32 v62, 0x10001, v62
	v_lshrrev_b32_e32 v64, 16, v64
	v_mul_u32_u24_e32 v75, 0x10001, v75
	v_mul_u32_u24_e32 v63, 0x10001, v63
	s_wait_dscnt 0xa
	v_pk_fma_f16 v72, v145, v61, v72
	v_pk_fma_f16 v74, v145, v62, v74
	;; [unrolled: 1-line block ×4, first 2 shown]
	v_and_b32_e32 v89, 0xffff, v65
	v_pk_fma_f16 v72, v147, v63, v72
	v_pk_fma_f16 v73, v147, v75, v74
	;; [unrolled: 1-line block ×3, first 2 shown]
	v_mul_u32_u24_e32 v88, 0x10001, v88
	v_pk_fma_f16 v75, v146, v75, v60
	v_lshrrev_b32_e32 v65, 16, v65
	v_mul_u32_u24_e32 v64, 0x10001, v64
	v_mul_u32_u24_e32 v89, 0x10001, v89
	s_wait_dscnt 0x9
	v_pk_fma_f16 v72, v125, v88, v72
	v_pk_fma_f16 v74, v124, v88, v74
	v_mul_u32_u24_e32 v65, 0x10001, v65
	v_pk_fma_f16 v73, v125, v64, v73
	v_pk_fma_f16 v64, v124, v64, v75
	;; [unrolled: 1-line block ×4, first 2 shown]
	v_and_b32_e32 v88, 0xffff, v66
	v_lshrrev_b32_e32 v89, 16, v66
	v_pk_fma_f16 v73, v127, v65, v73
	v_pk_fma_f16 v75, v126, v65, v64
	v_lshrrev_b32_e32 v90, 16, v67
	v_mul_u32_u24_e32 v88, 0x10001, v88
	v_mul_u32_u24_e32 v89, 0x10001, v89
	v_and_b32_e32 v91, 0xffff, v67
	ds_load_2addr_b64 v[104:107], v221 offset1:32
	v_mul_u32_u24_e32 v90, 0x10001, v90
	s_wait_dscnt 0x9
	v_pk_fma_f16 v74, v140, v88, v74
	v_pk_fma_f16 v73, v141, v89, v73
	;; [unrolled: 1-line block ×3, first 2 shown]
	v_and_b32_e32 v140, 0xffff, v20
	v_lshrrev_b32_e32 v20, 16, v20
	v_mul_u32_u24_e32 v91, 0x10001, v91
	v_pk_fma_f16 v72, v141, v88, v72
	v_pk_fma_f16 v89, v143, v90, v73
	;; [unrolled: 1-line block ×3, first 2 shown]
	v_and_b32_e32 v141, 0xffff, v21
	v_lshrrev_b32_e32 v21, 16, v21
	v_mul_u32_u24_e32 v20, 0x10001, v20
	v_pk_fma_f16 v88, v143, v91, v72
	v_mul_u32_u24_e32 v140, 0x10001, v140
	v_pk_fma_f16 v91, v142, v91, v74
	v_mul_u32_u24_e32 v21, 0x10001, v21
	s_wait_dscnt 0x8
	v_pk_fma_f16 v89, v133, v20, v89
	v_pk_fma_f16 v20, v132, v20, v90
	v_mul_u32_u24_e32 v141, 0x10001, v141
	v_pk_fma_f16 v88, v133, v140, v88
	v_pk_fma_f16 v91, v132, v140, v91
	;; [unrolled: 1-line block ×4, first 2 shown]
	v_and_b32_e32 v21, 0xffff, v22
	v_pk_fma_f16 v140, v135, v141, v88
	v_lshrrev_b32_e32 v22, 16, v22
	v_lshrrev_b32_e32 v143, 16, v23
	v_and_b32_e32 v23, 0xffff, v23
	v_mul_u32_u24_e32 v21, 0x10001, v21
	v_pk_fma_f16 v141, v134, v141, v91
	v_mul_u32_u24_e32 v22, 0x10001, v22
	v_mul_u32_u24_e32 v143, 0x10001, v143
	;; [unrolled: 1-line block ×3, first 2 shown]
	s_wait_dscnt 0x7
	v_pk_fma_f16 v140, v137, v21, v140
	v_pk_fma_f16 v21, v136, v21, v141
	;; [unrolled: 1-line block ×4, first 2 shown]
	v_and_b32_e32 v141, 0xffff, v17
	v_pk_fma_f16 v136, v139, v23, v140
	v_and_b32_e32 v140, 0xffff, v16
	v_lshrrev_b32_e32 v16, 16, v16
	v_pk_fma_f16 v137, v139, v143, v137
	v_pk_fma_f16 v139, v138, v23, v21
	;; [unrolled: 1-line block ×3, first 2 shown]
	v_lshrrev_b32_e32 v17, 16, v17
	v_mul_u32_u24_e32 v140, 0x10001, v140
	v_mul_u32_u24_e32 v16, 0x10001, v16
	;; [unrolled: 1-line block ×3, first 2 shown]
	v_lshrrev_b32_e32 v143, 16, v19
	v_mul_u32_u24_e32 v17, 0x10001, v17
	s_wait_dscnt 0x6
	v_pk_fma_f16 v136, v93, v140, v136
	v_pk_fma_f16 v93, v93, v16, v137
	;; [unrolled: 1-line block ×4, first 2 shown]
	v_and_b32_e32 v19, 0xffff, v19
	v_pk_fma_f16 v140, v95, v141, v136
	v_pk_fma_f16 v142, v95, v17, v93
	;; [unrolled: 1-line block ×3, first 2 shown]
	v_and_b32_e32 v17, 0xffff, v18
	v_pk_fma_f16 v141, v94, v141, v137
	v_lshrrev_b32_e32 v18, 16, v18
	v_mul_u32_u24_e32 v19, 0x10001, v19
	v_mul_u32_u24_e32 v143, 0x10001, v143
	;; [unrolled: 1-line block ×3, first 2 shown]
	ds_load_2addr_b64 v[96:99], v221 offset0:64 offset1:96
	v_mul_u32_u24_e32 v18, 0x10001, v18
	ds_load_2addr_b64 v[84:87], v221 offset0:128 offset1:160
	ds_load_2addr_b64 v[40:43], v221 offset0:192 offset1:224
	s_wait_dscnt 0x8
	v_pk_fma_f16 v140, v77, v17, v140
	v_pk_fma_f16 v17, v76, v17, v141
	;; [unrolled: 1-line block ×4, first 2 shown]
	v_and_b32_e32 v141, 0xffff, v13
	v_pk_fma_f16 v18, v79, v19, v140
	v_pk_fma_f16 v17, v78, v19, v17
	v_and_b32_e32 v19, 0xffff, v12
	v_lshrrev_b32_e32 v12, 16, v12
	v_pk_fma_f16 v140, v79, v143, v77
	v_pk_fma_f16 v16, v78, v143, v16
	v_lshrrev_b32_e32 v13, 16, v13
	v_mul_u32_u24_e32 v19, 0x10001, v19
	v_mul_u32_u24_e32 v12, 0x10001, v12
	;; [unrolled: 1-line block ×3, first 2 shown]
	v_lshrrev_b32_e32 v143, 16, v15
	v_mul_u32_u24_e32 v13, 0x10001, v13
	s_wait_dscnt 0x7
	v_pk_fma_f16 v18, v129, v19, v18
	v_pk_fma_f16 v129, v129, v12, v140
	;; [unrolled: 1-line block ×4, first 2 shown]
	v_and_b32_e32 v15, 0xffff, v15
	v_pk_fma_f16 v140, v131, v141, v18
	v_pk_fma_f16 v142, v131, v13, v129
	v_pk_fma_f16 v12, v130, v13, v12
	v_and_b32_e32 v13, 0xffff, v14
	v_pk_fma_f16 v141, v130, v141, v17
	v_lshrrev_b32_e32 v14, 16, v14
	v_mul_u32_u24_e32 v15, 0x10001, v15
	v_mul_u32_u24_e32 v143, 0x10001, v143
	;; [unrolled: 1-line block ×3, first 2 shown]
	ds_load_b128 v[44:47], v206 offset:224
	ds_load_b128 v[100:103], v206 offset:240
	v_mul_u32_u24_e32 v14, 0x10001, v14
	ds_load_2addr_b64 v[24:27], v222 offset1:32
	s_wait_dscnt 0x7
	v_pk_fma_f16 v140, v81, v13, v140
	v_pk_fma_f16 v13, v80, v13, v141
	v_and_b32_e32 v141, 0xffff, v9
	v_pk_fma_f16 v81, v81, v14, v142
	v_pk_fma_f16 v12, v80, v14, v12
	;; [unrolled: 1-line block ×4, first 2 shown]
	v_and_b32_e32 v15, 0xffff, v8
	v_lshrrev_b32_e32 v8, 16, v8
	v_pk_fma_f16 v140, v83, v143, v81
	v_pk_fma_f16 v12, v82, v143, v12
	v_lshrrev_b32_e32 v9, 16, v9
	v_mul_u32_u24_e32 v15, 0x10001, v15
	v_mul_u32_u24_e32 v8, 0x10001, v8
	;; [unrolled: 1-line block ×3, first 2 shown]
	v_lshrrev_b32_e32 v143, 16, v11
	v_mul_u32_u24_e32 v9, 0x10001, v9
	v_pk_fma_f16 v14, v117, v15, v14
	v_pk_fma_f16 v117, v117, v8, v140
	;; [unrolled: 1-line block ×4, first 2 shown]
	v_and_b32_e32 v11, 0xffff, v11
	v_pk_fma_f16 v140, v119, v141, v14
	v_pk_fma_f16 v142, v119, v9, v117
	;; [unrolled: 1-line block ×3, first 2 shown]
	v_and_b32_e32 v9, 0xffff, v10
	v_lshrrev_b32_e32 v10, 16, v10
	v_pk_fma_f16 v141, v118, v141, v13
	v_mul_u32_u24_e32 v11, 0x10001, v11
	v_mul_u32_u24_e32 v143, 0x10001, v143
	;; [unrolled: 1-line block ×4, first 2 shown]
	ds_load_2addr_b64 v[48:51], v222 offset0:64 offset1:96
	ds_load_2addr_b64 v[28:31], v222 offset0:128 offset1:160
	s_wait_dscnt 0x4
	v_and_b32_e32 v147, 0xffff, v46
	v_pk_fma_f16 v140, v113, v9, v140
	v_pk_fma_f16 v113, v113, v10, v142
	;; [unrolled: 1-line block ×4, first 2 shown]
	v_and_b32_e32 v141, 0xffff, v5
	v_pk_fma_f16 v112, v115, v11, v140
	v_and_b32_e32 v140, 0xffff, v4
	v_lshrrev_b32_e32 v4, 16, v4
	v_pk_fma_f16 v113, v115, v143, v113
	v_pk_fma_f16 v115, v114, v11, v9
	v_lshrrev_b32_e32 v5, 16, v5
	v_mul_u32_u24_e32 v140, 0x10001, v140
	v_mul_u32_u24_e32 v4, 0x10001, v4
	;; [unrolled: 1-line block ×3, first 2 shown]
	v_pk_fma_f16 v114, v114, v143, v8
	v_mul_u32_u24_e32 v5, 0x10001, v5
	v_pk_fma_f16 v112, v105, v140, v112
	v_pk_fma_f16 v105, v105, v4, v113
	;; [unrolled: 1-line block ×3, first 2 shown]
	v_and_b32_e32 v140, 0xffff, v6
	v_pk_fma_f16 v4, v104, v4, v114
	v_pk_fma_f16 v112, v107, v141, v112
	;; [unrolled: 1-line block ×4, first 2 shown]
	v_lshrrev_b32_e32 v141, 16, v6
	v_lshrrev_b32_e32 v142, 16, v7
	v_and_b32_e32 v143, 0xffff, v7
	v_mul_u32_u24_e32 v140, 0x10001, v140
	v_pk_fma_f16 v115, v106, v5, v4
	v_mul_u32_u24_e32 v141, 0x10001, v141
	v_mul_u32_u24_e32 v142, 0x10001, v142
	;; [unrolled: 1-line block ×3, first 2 shown]
	v_pk_fma_f16 v112, v97, v140, v112
	v_pk_fma_f16 v113, v96, v140, v113
	;; [unrolled: 1-line block ×3, first 2 shown]
	v_and_b32_e32 v140, 0xffff, v0
	v_lshrrev_b32_e32 v0, 16, v0
	v_pk_fma_f16 v96, v96, v141, v115
	v_pk_fma_f16 v112, v99, v143, v112
	;; [unrolled: 1-line block ×4, first 2 shown]
	v_and_b32_e32 v141, 0xffff, v1
	v_lshrrev_b32_e32 v1, 16, v1
	v_mul_u32_u24_e32 v140, 0x10001, v140
	v_mul_u32_u24_e32 v0, 0x10001, v0
	v_pk_fma_f16 v115, v98, v142, v96
	v_mul_u32_u24_e32 v141, 0x10001, v141
	v_mul_u32_u24_e32 v1, 0x10001, v1
	v_pk_fma_f16 v112, v85, v140, v112
	v_pk_fma_f16 v85, v85, v0, v114
	;; [unrolled: 1-line block ×4, first 2 shown]
	v_and_b32_e32 v140, 0xffff, v2
	v_pk_fma_f16 v84, v87, v141, v112
	v_pk_fma_f16 v85, v87, v1, v85
	;; [unrolled: 1-line block ×3, first 2 shown]
	v_lshrrev_b32_e32 v141, 16, v2
	v_pk_fma_f16 v86, v86, v1, v0
	v_lshrrev_b32_e32 v142, 16, v3
	v_and_b32_e32 v143, 0xffff, v3
	v_mul_u32_u24_e32 v140, 0x10001, v140
	v_mul_u32_u24_e32 v141, 0x10001, v141
	v_lshrrev_b32_e32 v46, 16, v46
	v_mul_u32_u24_e32 v142, 0x10001, v142
	v_mul_u32_u24_e32 v143, 0x10001, v143
	v_pk_fma_f16 v84, v41, v140, v84
	v_pk_fma_f16 v41, v41, v141, v85
	;; [unrolled: 1-line block ×4, first 2 shown]
	v_and_b32_e32 v140, 0xffff, v44
	v_lshrrev_b32_e32 v44, 16, v44
	v_pk_fma_f16 v84, v43, v143, v84
	v_pk_fma_f16 v86, v43, v142, v41
	;; [unrolled: 1-line block ×4, first 2 shown]
	v_and_b32_e32 v141, 0xffff, v45
	v_lshrrev_b32_e32 v45, 16, v45
	v_mul_u32_u24_e32 v140, 0x10001, v140
	v_mul_u32_u24_e32 v44, 0x10001, v44
	ds_load_b128 v[108:111], v206 offset:256
	ds_load_b128 v[120:123], v206 offset:272
	v_mul_u32_u24_e32 v141, 0x10001, v141
	v_mul_u32_u24_e32 v45, 0x10001, v45
	s_wait_dscnt 0x4
	v_pk_fma_f16 v84, v25, v140, v84
	v_pk_fma_f16 v25, v25, v44, v86
	;; [unrolled: 1-line block ×4, first 2 shown]
	v_lshrrev_b32_e32 v231, 16, v47
	v_pk_fma_f16 v44, v27, v141, v84
	v_pk_fma_f16 v145, v27, v45, v25
	;; [unrolled: 1-line block ×4, first 2 shown]
	v_and_b32_e32 v47, 0xffff, v47
	v_mul_u32_u24_e32 v147, 0x10001, v147
	v_mul_u32_u24_e32 v46, 0x10001, v46
	ds_load_2addr_b64 v[32:35], v222 offset0:192 offset1:224
	ds_load_2addr_b64 v[52:55], v223 offset1:32
	v_mul_u32_u24_e32 v47, 0x10001, v47
	s_wait_dscnt 0x5
	v_pk_fma_f16 v44, v49, v147, v44
	v_pk_fma_f16 v146, v48, v147, v146
	v_lshrrev_b32_e32 v147, 16, v100
	v_pk_fma_f16 v49, v49, v46, v145
	v_pk_fma_f16 v45, v48, v46, v45
	v_and_b32_e32 v46, 0xffff, v100
	v_mul_u32_u24_e32 v100, 0x10001, v231
	v_pk_fma_f16 v44, v51, v47, v44
	v_pk_fma_f16 v47, v50, v47, v146
	v_lshrrev_b32_e32 v48, 16, v101
	v_mul_u32_u24_e32 v46, 0x10001, v46
	v_pk_fma_f16 v49, v51, v100, v49
	v_pk_fma_f16 v45, v50, v100, v45
	v_and_b32_e32 v50, 0xffff, v101
	v_mul_u32_u24_e32 v147, 0x10001, v147
	v_lshrrev_b32_e32 v51, 16, v102
	v_and_b32_e32 v145, 0xffff, v102
	s_wait_dscnt 0x4
	v_pk_fma_f16 v44, v29, v46, v44
	v_pk_fma_f16 v46, v28, v46, v47
	;; [unrolled: 1-line block ×3, first 2 shown]
	v_mul_u32_u24_e32 v49, 0x10001, v50
	v_mul_u32_u24_e32 v48, 0x10001, v48
	v_and_b32_e32 v231, 0xffff, v103
	s_wait_dscnt 0x3
	v_lshrrev_b32_e32 v47, 16, v108
	v_pk_fma_f16 v28, v28, v147, v45
	v_and_b32_e32 v45, 0xffff, v108
	v_pk_fma_f16 v44, v31, v49, v44
	v_pk_fma_f16 v46, v30, v49, v46
	v_lshrrev_b32_e32 v49, 16, v109
	v_pk_fma_f16 v50, v31, v48, v29
	v_and_b32_e32 v108, 0xffff, v109
	v_mul_u32_u24_e32 v109, 0x10001, v145
	v_mul_u32_u24_e32 v51, 0x10001, v51
	ds_load_b128 v[124:127], v206 offset:288
	ds_load_b128 v[132:135], v206 offset:304
	v_lshrrev_b32_e32 v146, 16, v103
	v_pk_fma_f16 v48, v30, v48, v28
	s_wait_dscnt 0x3
	v_pk_fma_f16 v44, v33, v109, v44
	v_pk_fma_f16 v46, v32, v109, v46
	;; [unrolled: 1-line block ×3, first 2 shown]
	v_mul_u32_u24_e32 v50, 0x10001, v231
	ds_load_2addr_b64 v[56:59], v223 offset0:64 offset1:96
	v_pk_fma_f16 v32, v32, v51, v48
	v_mul_u32_u24_e32 v51, 0x10001, v146
	v_mul_u32_u24_e32 v45, 0x10001, v45
	v_pk_fma_f16 v44, v35, v50, v44
	v_pk_fma_f16 v46, v34, v50, v46
	v_mov_b32_e32 v140, v236
	v_pk_fma_f16 v109, v35, v51, v33
	v_pk_fma_f16 v51, v34, v51, v32
	s_wait_dscnt 0x3
	v_pk_fma_f16 v44, v53, v45, v44
	v_pk_fma_f16 v45, v52, v45, v46
	v_mul_u32_u24_e32 v46, 0x10001, v47
	ds_load_2addr_b64 v[36:39], v223 offset0:128 offset1:160
	v_fmac_f32_e32 v140, v232, v235
	v_lshrrev_b32_e32 v147, 16, v110
	v_and_b32_e32 v232, 0xffff, v110
	v_pk_fma_f16 v47, v53, v46, v109
	v_pk_fma_f16 v46, v52, v46, v51
	v_mul_u32_u24_e32 v52, 0x10001, v108
	v_mul_u32_u24_e32 v49, 0x10001, v49
	v_and_b32_e32 v235, 0xffff, v111
	s_wait_dscnt 0x3
	v_lshrrev_b32_e32 v53, 16, v126
	v_lshrrev_b32_e32 v234, 16, v111
	v_pk_fma_f16 v44, v55, v52, v44
	v_pk_fma_f16 v45, v54, v52, v45
	v_lshrrev_b32_e32 v52, 16, v125
	v_pk_fma_f16 v47, v55, v49, v47
	v_pk_fma_f16 v46, v54, v49, v46
	v_and_b32_e32 v49, 0xffff, v125
	v_and_b32_e32 v54, 0xffff, v126
	v_mul_u32_u24_e32 v125, 0x10001, v232
	v_mul_u32_u24_e32 v126, 0x10001, v147
	v_and_b32_e32 v48, 0xffff, v120
	ds_load_2addr_b64 v[68:71], v223 offset0:192 offset1:224
	v_lshrrev_b32_e32 v145, 16, v120
	s_wait_dscnt 0x2
	v_pk_fma_f16 v44, v57, v125, v44
	v_pk_fma_f16 v45, v56, v125, v45
	;; [unrolled: 1-line block ×3, first 2 shown]
	v_mul_u32_u24_e32 v56, 0x10001, v235
	v_pk_fma_f16 v47, v57, v126, v47
	v_mul_u32_u24_e32 v48, 0x10001, v48
	v_and_b32_e32 v120, 0xffff, v121
	v_lshrrev_b32_e32 v50, 16, v121
	v_pk_fma_f16 v57, v59, v56, v44
	v_pk_fma_f16 v56, v58, v56, v45
	v_mul_u32_u24_e32 v44, 0x10001, v234
	v_lshrrev_b32_e32 v121, 16, v122
	v_and_b32_e32 v122, 0xffff, v122
	s_wait_dscnt 0x1
	v_pk_fma_f16 v57, v37, v48, v57
	v_pk_fma_f16 v48, v36, v48, v56
	;; [unrolled: 1-line block ×4, first 2 shown]
	v_mul_u32_u24_e32 v56, 0x10001, v145
	ds_load_2addr_b64 v[60:63], v224 offset1:32
	v_mul_u32_u24_e32 v50, 0x10001, v50
	v_lshrrev_b32_e32 v146, 16, v123
	v_and_b32_e32 v123, 0xffff, v123
	v_pk_fma_f16 v37, v37, v56, v59
	v_pk_fma_f16 v36, v36, v56, v58
	v_mul_u32_u24_e32 v56, 0x10001, v120
	v_mul_u32_u24_e32 v58, 0x10001, v122
	v_and_b32_e32 v51, 0xffff, v124
	ds_load_2addr_b64 v[64:67], v224 offset0:64 offset1:96
	v_lshrrev_b32_e32 v231, 16, v124
	v_pk_fma_f16 v57, v39, v56, v57
	v_pk_fma_f16 v48, v38, v56, v48
	;; [unrolled: 1-line block ×4, first 2 shown]
	v_mul_u32_u24_e32 v51, 0x10001, v51
	s_wait_dscnt 0x2
	v_pk_fma_f16 v57, v69, v58, v57
	v_pk_fma_f16 v48, v68, v58, v48
	v_mul_u32_u24_e32 v58, 0x10001, v121
	v_mul_u32_u24_e32 v49, 0x10001, v49
	ds_load_2addr_b64 v[72:75], v224 offset0:128 offset1:160
	v_and_b32_e32 v124, 0xffff, v127
	v_mul_u32_u24_e32 v54, 0x10001, v54
	v_pk_fma_f16 v56, v69, v58, v56
	v_pk_fma_f16 v50, v68, v58, v50
	v_mul_u32_u24_e32 v58, 0x10001, v123
	v_mul_u32_u24_e32 v53, 0x10001, v53
	v_lshrrev_b32_e32 v55, 16, v127
	v_and_b32_e32 v126, 0xffff, v132
	ds_load_2addr_b64 v[88:91], v224 offset0:192 offset1:224
	v_pk_fma_f16 v68, v71, v58, v57
	v_pk_fma_f16 v48, v70, v58, v48
	v_mul_u32_u24_e32 v57, 0x10001, v146
	v_lshrrev_b32_e32 v125, 16, v132
	v_and_b32_e32 v132, 0xffff, v133
	s_wait_dscnt 0x3
	v_pk_fma_f16 v68, v61, v51, v68
	v_pk_fma_f16 v48, v60, v51, v48
	;; [unrolled: 1-line block ×4, first 2 shown]
	v_mul_u32_u24_e32 v51, 0x10001, v231
	ds_load_b128 v[136:139], v206 offset:320
	ds_load_b128 v[128:131], v206 offset:336
	v_lshrrev_b32_e32 v127, 16, v133
	v_lshrrev_b32_e32 v133, 16, v134
	v_pk_fma_f16 v61, v61, v51, v69
	v_pk_fma_f16 v50, v60, v51, v50
	;; [unrolled: 1-line block ×4, first 2 shown]
	v_mul_u32_u24_e32 v48, 0x10001, v52
	v_and_b32_e32 v134, 0xffff, v134
	ds_load_2addr_b64 v[20:23], v225 offset1:32
	s_wait_dscnt 0x5
	v_pk_fma_f16 v60, v65, v54, v60
	v_pk_fma_f16 v54, v64, v54, v68
	;; [unrolled: 1-line block ×4, first 2 shown]
	v_mul_u32_u24_e32 v68, 0x10001, v134
	v_lshrrev_b32_e32 v147, 16, v135
	v_and_b32_e32 v135, 0xffff, v135
	v_pk_fma_f16 v52, v65, v53, v52
	v_pk_fma_f16 v53, v64, v53, v61
	v_mul_u32_u24_e32 v61, 0x10001, v124
	v_mul_u32_u24_e32 v64, 0x10001, v126
	s_wait_dscnt 0x2
	v_lshrrev_b32_e32 v232, 16, v136
	v_and_b32_e32 v136, 0xffff, v136
	ds_load_2addr_b64 v[92:95], v225 offset0:64 offset1:96
	v_pk_fma_f16 v60, v67, v61, v60
	v_pk_fma_f16 v61, v66, v61, v54
	v_mul_u32_u24_e32 v54, 0x10001, v55
	v_lshrrev_b32_e32 v120, 16, v137
	v_and_b32_e32 v137, 0xffff, v137
	v_pk_fma_f16 v60, v73, v64, v60
	v_pk_fma_f16 v61, v72, v64, v61
	;; [unrolled: 1-line block ×4, first 2 shown]
	v_mul_u32_u24_e32 v64, 0x10001, v125
	v_mul_u32_u24_e32 v134, 0x10001, v232
	ds_load_2addr_b64 v[76:79], v225 offset0:128 offset1:160
	ds_load_2addr_b64 v[16:19], v225 offset0:192 offset1:224
	ds_load_2addr_b64 v[80:83], v226 offset1:32
	v_pk_fma_f16 v62, v73, v64, v62
	v_pk_fma_f16 v63, v72, v64, v63
	v_mul_u32_u24_e32 v64, 0x10001, v132
	ds_load_b128 v[116:119], v206 offset:352
	ds_load_b128 v[104:107], v206 offset:368
	ds_load_2addr_b64 v[12:15], v226 offset0:64 offset1:96
	ds_load_2addr_b64 v[8:11], v226 offset0:128 offset1:160
	v_pk_fma_f16 v65, v75, v64, v60
	v_pk_fma_f16 v64, v74, v64, v61
	v_mul_u32_u24_e32 v60, 0x10001, v127
	ds_load_2addr_b64 v[4:7], v226 offset0:192 offset1:224
	ds_load_2addr_b64 v[96:99], v227 offset1:32
	v_pk_fma_f16 v65, v89, v68, v65
	v_pk_fma_f16 v64, v88, v68, v64
	;; [unrolled: 1-line block ×4, first 2 shown]
	v_mul_u32_u24_e32 v68, 0x10001, v133
	v_mul_u32_u24_e32 v133, 0x10001, v136
	ds_load_b128 v[112:115], v206 offset:384
	ds_load_2addr_b64 v[0:3], v227 offset0:64 offset1:96
	ds_load_2addr_b64 v[40:43], v227 offset0:128 offset1:160
	v_pk_fma_f16 v66, v89, v68, v66
	v_pk_fma_f16 v67, v88, v68, v67
	v_mul_u32_u24_e32 v68, 0x10001, v135
	ds_load_b128 v[141:144], v206 offset:400
	ds_load_2addr_b64 v[84:87], v227 offset0:192 offset1:224
	ds_load_b128 v[100:103], v206 offset:416
	ds_load_b128 v[108:111], v206 offset:432
	v_lshrrev_b32_e32 v145, 16, v138
	v_pk_fma_f16 v69, v91, v68, v65
	v_pk_fma_f16 v68, v90, v68, v64
	v_mul_u32_u24_e32 v64, 0x10001, v147
	v_and_b32_e32 v138, 0xffff, v138
	v_lshrrev_b32_e32 v234, 16, v139
	s_wait_dscnt 0x11
	v_pk_fma_f16 v69, v21, v133, v69
	v_pk_fma_f16 v68, v20, v133, v68
	;; [unrolled: 1-line block ×4, first 2 shown]
	v_and_b32_e32 v139, 0xffff, v139
	ds_load_b128 v[56:59], v206 offset:448
	ds_load_b128 v[60:63], v206 offset:464
	v_pk_fma_f16 v21, v21, v134, v70
	v_mul_u32_u24_e32 v70, 0x10001, v137
	v_pk_fma_f16 v20, v20, v134, v71
	v_mul_u32_u24_e32 v136, 0x10001, v138
	v_mul_u32_u24_e32 v137, 0x10001, v145
	v_lshrrev_b32_e32 v122, 16, v128
	v_pk_fma_f16 v69, v23, v70, v69
	v_pk_fma_f16 v68, v22, v70, v68
	v_mul_u32_u24_e32 v70, 0x10001, v120
	v_and_b32_e32 v121, 0xffff, v128
	v_and_b32_e32 v128, 0xffff, v129
	s_wait_dscnt 0x12
	v_pk_fma_f16 v69, v93, v136, v69
	v_pk_fma_f16 v68, v92, v136, v68
	;; [unrolled: 1-line block ×4, first 2 shown]
	s_wait_dscnt 0x2
	v_lshrrev_b32_e32 v136, 16, v108
	v_mul_u32_u24_e32 v121, 0x10001, v121
	v_mul_u32_u24_e32 v122, 0x10001, v122
	v_pk_fma_f16 v71, v93, v137, v71
	v_mul_u32_u24_e32 v93, 0x10001, v139
	v_pk_fma_f16 v70, v92, v137, v70
	v_and_b32_e32 v92, 0xffff, v108
	v_lshrrev_b32_e32 v123, 16, v129
	v_lshrrev_b32_e32 v129, 16, v130
	v_pk_fma_f16 v108, v95, v93, v69
	v_pk_fma_f16 v93, v94, v93, v68
	v_mul_u32_u24_e32 v68, 0x10001, v234
	v_and_b32_e32 v130, 0xffff, v130
	v_lshrrev_b32_e32 v146, 16, v131
	v_pk_fma_f16 v108, v77, v121, v108
	v_pk_fma_f16 v93, v76, v121, v93
	v_pk_fma_f16 v94, v94, v68, v70
	v_pk_fma_f16 v95, v95, v68, v71
	s_wait_dscnt 0x1
	v_lshrrev_b32_e32 v121, 16, v56
	v_and_b32_e32 v131, 0xffff, v131
	v_mul_u32_u24_e32 v130, 0x10001, v130
	v_pk_fma_f16 v76, v76, v122, v94
	v_and_b32_e32 v94, 0xffff, v56
	v_mul_u32_u24_e32 v56, 0x10001, v128
	v_pk_fma_f16 v77, v77, v122, v95
	v_mul_u32_u24_e32 v129, 0x10001, v129
	v_lshrrev_b32_e32 v235, 16, v116
	v_and_b32_e32 v116, 0xffff, v116
	v_pk_fma_f16 v95, v79, v56, v108
	v_pk_fma_f16 v93, v78, v56, v93
	v_mul_u32_u24_e32 v56, 0x10001, v123
	v_lshrrev_b32_e32 v231, 16, v117
	v_and_b32_e32 v117, 0xffff, v117
	v_pk_fma_f16 v95, v17, v130, v95
	v_pk_fma_f16 v93, v16, v130, v93
	;; [unrolled: 1-line block ×4, first 2 shown]
	s_wait_dscnt 0x0
	v_lshrrev_b32_e32 v130, 16, v60
	v_lshrrev_b32_e32 v126, 16, v112
	v_and_b32_e32 v72, 0xffff, v112
	v_pk_fma_f16 v16, v16, v129, v76
	v_and_b32_e32 v76, 0xffff, v60
	v_mul_u32_u24_e32 v60, 0x10001, v131
	v_pk_fma_f16 v17, v17, v129, v77
	v_and_b32_e32 v131, 0xffff, v61
	v_lshrrev_b32_e32 v73, 16, v113
	v_and_b32_e32 v74, 0xffff, v113
	v_pk_fma_f16 v77, v19, v60, v95
	v_pk_fma_f16 v60, v18, v60, v93
	v_lshrrev_b32_e32 v93, 16, v61
	v_mul_u32_u24_e32 v95, 0x10001, v146
	v_mul_u32_u24_e32 v61, 0x10001, v116
	v_lshrrev_b32_e32 v75, 16, v114
	v_and_b32_e32 v112, 0xffff, v114
	v_lshrrev_b32_e32 v113, 16, v115
	v_and_b32_e32 v114, 0xffff, v115
	;; [unrolled: 2-line block ×4, first 2 shown]
	v_pk_fma_f16 v129, v19, v95, v17
	v_pk_fma_f16 v95, v18, v95, v16
	v_lshrrev_b32_e32 v141, 16, v62
	v_and_b32_e32 v142, 0xffff, v62
	v_pk_fma_f16 v62, v81, v61, v77
	v_pk_fma_f16 v60, v80, v61, v60
	v_mul_u32_u24_e32 v61, 0x10001, v235
	v_lshrrev_b32_e32 v91, 16, v143
	v_and_b32_e32 v125, 0xffff, v143
	v_lshrrev_b32_e32 v127, 16, v144
	v_and_b32_e32 v132, 0xffff, v144
	;; [unrolled: 2-line block ×3, first 2 shown]
	v_pk_fma_f16 v63, v81, v61, v129
	v_pk_fma_f16 v61, v80, v61, v95
	v_mul_u32_u24_e32 v80, 0x10001, v117
	v_lshrrev_b32_e32 v236, 16, v118
	v_and_b32_e32 v118, 0xffff, v118
	v_lshrrev_b32_e32 v237, 16, v119
	v_and_b32_e32 v119, 0xffff, v119
	v_pk_fma_f16 v81, v83, v80, v62
	v_pk_fma_f16 v80, v82, v80, v60
	v_mul_u32_u24_e32 v60, 0x10001, v231
	v_mul_u32_u24_e32 v118, 0x10001, v118
	;; [unrolled: 1-line block ×3, first 2 shown]
	v_lshrrev_b32_e32 v238, 16, v104
	v_and_b32_e32 v104, 0xffff, v104
	v_pk_fma_f16 v83, v83, v60, v63
	v_pk_fma_f16 v82, v82, v60, v61
	;; [unrolled: 1-line block ×4, first 2 shown]
	v_lshrrev_b32_e32 v124, 16, v105
	v_pk_fma_f16 v13, v13, v129, v83
	v_pk_fma_f16 v12, v12, v129, v82
	v_mul_u32_u24_e32 v82, 0x10001, v119
	v_mul_u32_u24_e32 v83, 0x10001, v237
	v_and_b32_e32 v105, 0xffff, v105
	v_mul_u32_u24_e32 v104, 0x10001, v104
	v_mul_u32_u24_e32 v146, 0x10001, v238
	v_pk_fma_f16 v81, v15, v82, v81
	v_pk_fma_f16 v80, v14, v82, v80
	;; [unrolled: 1-line block ×4, first 2 shown]
	v_lshrrev_b32_e32 v239, 16, v106
	v_and_b32_e32 v106, 0xffff, v106
	v_mul_u32_u24_e32 v105, 0x10001, v105
	v_mul_u32_u24_e32 v124, 0x10001, v124
	v_pk_fma_f16 v81, v9, v104, v81
	v_pk_fma_f16 v9, v9, v146, v119
	;; [unrolled: 1-line block ×4, first 2 shown]
	v_lshrrev_b32_e32 v240, 16, v107
	v_and_b32_e32 v107, 0xffff, v107
	v_mul_u32_u24_e32 v106, 0x10001, v106
	v_mul_u32_u24_e32 v147, 0x10001, v239
	v_pk_fma_f16 v81, v11, v105, v81
	v_pk_fma_f16 v9, v11, v124, v9
	v_pk_fma_f16 v11, v10, v105, v80
	v_pk_fma_f16 v8, v10, v124, v8
	v_mul_u32_u24_e32 v107, 0x10001, v107
	v_mul_u32_u24_e32 v231, 0x10001, v240
	v_pk_fma_f16 v80, v5, v106, v81
	v_pk_fma_f16 v5, v5, v147, v9
	v_pk_fma_f16 v9, v4, v106, v11
	v_pk_fma_f16 v4, v4, v147, v8
	;; [unrolled: 6-line block ×7, first 2 shown]
	ds_load_2addr_b64 v[24:27], v228 offset1:32
	v_mul_u32_u24_e32 v90, 0x10001, v90
	v_mul_u32_u24_e32 v89, 0x10001, v89
	v_pk_fma_f16 v5, v41, v88, v7
	v_pk_fma_f16 v1, v41, v115, v1
	;; [unrolled: 1-line block ×4, first 2 shown]
	v_mul_u32_u24_e32 v125, 0x10001, v125
	v_mul_u32_u24_e32 v91, 0x10001, v91
	v_pk_fma_f16 v5, v43, v90, v5
	v_pk_fma_f16 v1, v43, v89, v1
	v_pk_fma_f16 v3, v42, v90, v3
	v_pk_fma_f16 v0, v42, v89, v0
	ds_load_2addr_b64 v[28:31], v228 offset0:64 offset1:96
	v_lshrrev_b32_e32 v133, 16, v100
	v_and_b32_e32 v100, 0xffff, v100
	v_mul_u32_u24_e32 v132, 0x10001, v132
	v_mul_u32_u24_e32 v127, 0x10001, v127
	v_pk_fma_f16 v5, v85, v125, v5
	v_pk_fma_f16 v1, v85, v91, v1
	;; [unrolled: 1-line block ×4, first 2 shown]
	v_lshrrev_b32_e32 v134, 16, v101
	v_and_b32_e32 v101, 0xffff, v101
	v_mul_u32_u24_e32 v100, 0x10001, v100
	v_mul_u32_u24_e32 v133, 0x10001, v133
	v_pk_fma_f16 v5, v87, v132, v5
	v_pk_fma_f16 v1, v87, v127, v1
	;; [unrolled: 1-line block ×4, first 2 shown]
	ds_load_2addr_b64 v[32:35], v228 offset0:128 offset1:160
	v_lshrrev_b32_e32 v120, 16, v102
	v_and_b32_e32 v102, 0xffff, v102
	v_mul_u32_u24_e32 v101, 0x10001, v101
	v_mul_u32_u24_e32 v134, 0x10001, v134
	s_wait_dscnt 0x2
	v_pk_fma_f16 v5, v25, v100, v5
	v_pk_fma_f16 v1, v25, v133, v1
	;; [unrolled: 1-line block ×4, first 2 shown]
	v_lshrrev_b32_e32 v135, 16, v103
	v_and_b32_e32 v103, 0xffff, v103
	v_mul_u32_u24_e32 v102, 0x10001, v102
	v_mul_u32_u24_e32 v120, 0x10001, v120
	v_pk_fma_f16 v5, v27, v101, v5
	v_pk_fma_f16 v1, v27, v134, v1
	;; [unrolled: 1-line block ×4, first 2 shown]
	ds_load_2addr_b64 v[44:47], v228 offset0:192 offset1:224
	v_mul_u32_u24_e32 v103, 0x10001, v103
	v_mul_u32_u24_e32 v135, 0x10001, v135
	s_wait_dscnt 0x2
	v_pk_fma_f16 v5, v29, v102, v5
	v_pk_fma_f16 v1, v29, v120, v1
	;; [unrolled: 1-line block ×4, first 2 shown]
	v_lshrrev_b32_e32 v137, 16, v109
	v_and_b32_e32 v109, 0xffff, v109
	v_mul_u32_u24_e32 v92, 0x10001, v92
	v_mul_u32_u24_e32 v136, 0x10001, v136
	v_pk_fma_f16 v5, v31, v103, v5
	v_pk_fma_f16 v1, v31, v135, v1
	;; [unrolled: 1-line block ×4, first 2 shown]
	ds_load_2addr_b64 v[36:39], v229 offset1:32
	v_lshrrev_b32_e32 v138, 16, v110
	v_and_b32_e32 v110, 0xffff, v110
	v_mul_u32_u24_e32 v109, 0x10001, v109
	v_mul_u32_u24_e32 v137, 0x10001, v137
	s_wait_dscnt 0x2
	v_pk_fma_f16 v5, v33, v92, v5
	v_pk_fma_f16 v1, v33, v136, v1
	;; [unrolled: 1-line block ×4, first 2 shown]
	v_lshrrev_b32_e32 v139, 16, v111
	v_and_b32_e32 v111, 0xffff, v111
	v_mul_u32_u24_e32 v110, 0x10001, v110
	v_mul_u32_u24_e32 v138, 0x10001, v138
	v_pk_fma_f16 v5, v35, v109, v5
	v_pk_fma_f16 v1, v35, v137, v1
	;; [unrolled: 1-line block ×4, first 2 shown]
	ds_load_2addr_b64 v[48:51], v229 offset0:64 offset1:96
	v_mul_u32_u24_e32 v83, 0x10001, v111
	v_mul_u32_u24_e32 v10, 0x10001, v139
	s_wait_dscnt 0x2
	v_pk_fma_f16 v5, v45, v110, v5
	v_pk_fma_f16 v1, v45, v138, v1
	;; [unrolled: 1-line block ×4, first 2 shown]
	v_lshrrev_b32_e32 v108, 16, v57
	v_and_b32_e32 v78, 0xffff, v57
	v_mul_u32_u24_e32 v8, 0x10001, v94
	v_mul_u32_u24_e32 v6, 0x10001, v121
	v_pk_fma_f16 v5, v47, v83, v5
	v_pk_fma_f16 v1, v47, v10, v1
	;; [unrolled: 1-line block ×4, first 2 shown]
	ds_load_2addr_b64 v[52:55], v229 offset0:128 offset1:160
	v_lshrrev_b32_e32 v79, 16, v58
	v_and_b32_e32 v122, 0xffff, v58
	v_mul_u32_u24_e32 v11, 0x10001, v78
	v_mul_u32_u24_e32 v72, 0x10001, v108
	s_wait_dscnt 0x2
	v_pk_fma_f16 v5, v37, v8, v5
	v_pk_fma_f16 v1, v37, v6, v1
	;; [unrolled: 1-line block ×4, first 2 shown]
	v_lshrrev_b32_e32 v123, 16, v59
	v_and_b32_e32 v128, 0xffff, v59
	v_mul_u32_u24_e32 v4, 0x10001, v122
	v_mul_u32_u24_e32 v2, 0x10001, v79
	v_pk_fma_f16 v5, v39, v11, v5
	v_pk_fma_f16 v1, v39, v72, v1
	;; [unrolled: 1-line block ×4, first 2 shown]
	ds_load_2addr_b64 v[64:67], v229 offset0:192 offset1:224
	ds_load_b128 v[68:71], v206 offset:480
	ds_load_b128 v[16:19], v206 offset:496
	v_mul_u32_u24_e32 v7, 0x10001, v128
	v_mul_u32_u24_e32 v9, 0x10001, v123
	s_wait_dscnt 0x4
	v_pk_fma_f16 v5, v49, v4, v5
	v_pk_fma_f16 v1, v49, v2, v1
	;; [unrolled: 1-line block ×4, first 2 shown]
	v_mul_u32_u24_e32 v40, 0x10001, v76
	v_mul_u32_u24_e32 v41, 0x10001, v130
	v_pk_fma_f16 v4, v51, v7, v5
	v_pk_fma_f16 v1, v51, v9, v1
	;; [unrolled: 1-line block ×4, first 2 shown]
	ds_load_2addr_b64 v[20:23], v230 offset1:32
	v_mul_u32_u24_e32 v24, 0x10001, v131
	v_mul_u32_u24_e32 v25, 0x10001, v93
	s_wait_dscnt 0x4
	v_pk_fma_f16 v4, v53, v40, v4
	v_pk_fma_f16 v1, v53, v41, v1
	;; [unrolled: 1-line block ×4, first 2 shown]
	v_mul_u32_u24_e32 v26, 0x10001, v142
	v_mul_u32_u24_e32 v27, 0x10001, v141
	v_pk_fma_f16 v4, v55, v24, v4
	v_pk_fma_f16 v1, v55, v25, v1
	;; [unrolled: 1-line block ×4, first 2 shown]
	ds_load_2addr_b64 v[56:59], v230 offset0:64 offset1:96
	s_wait_dscnt 0x3
	v_lshrrev_b32_e32 v77, 16, v68
	v_and_b32_e32 v68, 0xffff, v68
	v_mul_u32_u24_e32 v28, 0x10001, v144
	v_mul_u32_u24_e32 v29, 0x10001, v143
	v_pk_fma_f16 v4, v65, v26, v4
	v_pk_fma_f16 v1, v65, v27, v1
	;; [unrolled: 1-line block ×4, first 2 shown]
	v_lshrrev_b32_e32 v95, 16, v69
	v_and_b32_e32 v69, 0xffff, v69
	v_mul_u32_u24_e32 v30, 0x10001, v68
	v_mul_u32_u24_e32 v10, 0x10001, v77
	v_pk_fma_f16 v4, v67, v28, v4
	v_pk_fma_f16 v1, v67, v29, v1
	v_pk_fma_f16 v3, v66, v28, v3
	v_pk_fma_f16 v0, v66, v29, v0
	v_lshrrev_b32_e32 v116, 16, v70
	v_and_b32_e32 v70, 0xffff, v70
	ds_load_2addr_b64 v[60:63], v230 offset0:128 offset1:160
	v_mul_u32_u24_e32 v6, 0x10001, v69
	v_mul_u32_u24_e32 v8, 0x10001, v95
	s_wait_dscnt 0x2
	v_pk_fma_f16 v4, v21, v30, v4
	v_pk_fma_f16 v1, v21, v10, v1
	v_pk_fma_f16 v3, v20, v30, v3
	v_pk_fma_f16 v0, v20, v10, v0
	v_lshrrev_b32_e32 v117, 16, v71
	v_and_b32_e32 v71, 0xffff, v71
	v_mul_u32_u24_e32 v2, 0x10001, v70
	v_mul_u32_u24_e32 v5, 0x10001, v116
	v_pk_fma_f16 v4, v23, v6, v4
	v_pk_fma_f16 v1, v23, v8, v1
	v_pk_fma_f16 v3, v22, v6, v3
	v_pk_fma_f16 v0, v22, v8, v0
	v_lshrrev_b32_e32 v118, 16, v16
	v_and_b32_e32 v16, 0xffff, v16
	ds_load_2addr_b64 v[12:15], v230 offset0:192 offset1:224
	v_mul_u32_u24_e32 v7, 0x10001, v71
	v_mul_u32_u24_e32 v9, 0x10001, v117
	s_wait_dscnt 0x2
	v_pk_fma_f16 v4, v57, v2, v4
	v_pk_fma_f16 v1, v57, v5, v1
	;; [unrolled: 1-line block ×4, first 2 shown]
	s_wait_loadcnt_dscnt 0x0
	s_barrier_signal -1
	s_barrier_wait -1
	global_inv scope:SCOPE_SE
	s_load_b32 s2, s[50:51], 0x4
	v_lshrrev_b32_e32 v82, 16, v17
	v_and_b32_e32 v17, 0xffff, v17
	v_mul_u32_u24_e32 v11, 0x10001, v16
	v_mul_u32_u24_e32 v16, 0x10001, v118
	v_pk_fma_f16 v4, v59, v7, v4
	v_pk_fma_f16 v1, v59, v9, v1
	v_pk_fma_f16 v2, v58, v7, v2
	v_pk_fma_f16 v0, v58, v9, v0
	v_lshrrev_b32_e32 v129, 16, v18
	v_and_b32_e32 v18, 0xffff, v18
	v_mul_u32_u24_e32 v10, 0x10001, v17
	v_mul_u32_u24_e32 v6, 0x10001, v82
	v_pk_fma_f16 v4, v61, v11, v4
	v_pk_fma_f16 v1, v61, v16, v1
	v_pk_fma_f16 v2, v60, v11, v2
	v_pk_fma_f16 v0, v60, v16, v0
	;; [unrolled: 8-line block ×3, first 2 shown]
	v_mul_u32_u24_e32 v7, 0x10001, v19
	v_mul_u32_u24_e32 v6, 0x10001, v145
	v_pk_fma_f16 v4, v13, v3, v4
	v_pk_fma_f16 v1, v13, v5, v1
	;; [unrolled: 1-line block ×4, first 2 shown]
	s_wait_kmcnt 0x0
	s_lshl_b32 s2, s2, 7
	v_pk_fma_f16 v51, v15, v7, v4
	v_pk_fma_f16 v44, v15, v6, v1
	;; [unrolled: 1-line block ×4, first 2 shown]
	s_wait_alu 0xfffe
	s_add_co_i32 s26, s2, s26
	s_wait_alu 0xfffe
	s_cmp_ge_i32 s26, s40
	s_cbranch_scc0 .LBB24_9
; %bb.10:
	v_mov_b32_e32 v3, v188
.LBB24_11:
	v_cmp_lt_i32_e32 vcc_lo, v196, v189
	s_cmp_lg_u64 s[24:25], 0
	s_cselect_b32 s2, -1, 0
	s_cmp_eq_u32 s22, 0
	s_wait_alu 0xfffd
	v_cndmask_b32_e32 v0, v3, v196, vcc_lo
	v_cmp_lt_i32_e32 vcc_lo, v195, v189
	s_cselect_b32 s3, -1, 0
	s_wait_alu 0xfffe
	s_and_b32 s2, s3, s2
	s_wait_alu 0xfffd
	v_cndmask_b32_e32 v2, v3, v195, vcc_lo
	v_cmp_lt_i32_e32 vcc_lo, v193, v189
	s_wait_alu 0xfffd
	v_dual_cndmask_b32 v5, v3, v193 :: v_dual_lshlrev_b32 v0, 2, v0
	ds_bpermute_b32 v1, v0, v233
	ds_bpermute_b32 v0, v0, v140
	v_cmp_lt_i32_e32 vcc_lo, v192, v189
	v_lshlrev_b32_e32 v5, 2, v5
	s_wait_dscnt 0x1
	v_dual_add_f32 v1, v233, v1 :: v_dual_lshlrev_b32 v2, 2, v2
	s_wait_dscnt 0x0
	v_add_f32_e32 v0, v140, v0
	ds_bpermute_b32 v4, v2, v1
	s_wait_dscnt 0x0
	v_add_f32_e32 v1, v1, v4
	ds_bpermute_b32 v2, v2, v0
	;; [unrolled: 3-line block ×3, first 2 shown]
	ds_bpermute_b32 v4, v5, v0
	s_wait_alu 0xfffd
	v_cndmask_b32_e32 v5, v3, v192, vcc_lo
	v_cmp_lt_i32_e32 vcc_lo, v190, v189
	s_delay_alu instid0(VALU_DEP_2)
	v_lshlrev_b32_e32 v5, 2, v5
	s_wait_dscnt 0x0
	v_dual_add_f32 v1, v1, v2 :: v_dual_add_f32 v0, v0, v4
	ds_bpermute_b32 v2, v5, v1
	ds_bpermute_b32 v4, v5, v0
	s_wait_alu 0xfffd
	v_cndmask_b32_e32 v3, v3, v190, vcc_lo
	s_wait_alu 0xfffe
	s_and_b32 vcc_lo, exec_lo, s2
	s_wait_dscnt 0x0
	v_dual_add_f32 v1, v1, v2 :: v_dual_add_f32 v2, v0, v4
	v_lshlrev_b32_e32 v3, 2, v3
	ds_bpermute_b32 v0, v3, v1
	s_wait_dscnt 0x0
	v_add_f32_e32 v0, v1, v0
	ds_bpermute_b32 v3, v3, v2
	s_wait_dscnt 0x0
	v_add_f32_e32 v1, v2, v3
	s_wait_alu 0xfffe
	s_cbranch_vccz .LBB24_14
; %bb.12:
	v_add_nc_u32_e32 v2, s33, v185
	s_delay_alu instid0(VALU_DEP_1) | instskip(NEXT) | instid1(VALU_DEP_1)
	v_ashrrev_i32_e32 v3, 31, v2
	v_lshlrev_b64_e32 v[2:3], 2, v[2:3]
	s_delay_alu instid0(VALU_DEP_1) | instskip(SKIP_1) | instid1(VALU_DEP_2)
	v_add_co_u32 v2, vcc_lo, s24, v2
	s_wait_alu 0xfffd
	v_add_co_ci_u32_e64 v3, null, s25, v3, vcc_lo
	global_load_b64 v[2:3], v[2:3], off
	v_max_num_f32_e32 v4, v183, v183
	s_wait_loadcnt 0x0
	v_dual_max_num_f32 v6, v184, v184 :: v_dual_max_num_f32 v5, v2, v2
	s_delay_alu instid0(VALU_DEP_1) | instskip(NEXT) | instid1(VALU_DEP_1)
	v_dual_max_num_f32 v7, v3, v3 :: v_dual_max_num_f32 v4, v4, v5
	v_dual_max_num_f32 v5, v6, v7 :: v_dual_sub_f32 v6, v183, v4
	s_delay_alu instid0(VALU_DEP_1) | instskip(SKIP_2) | instid1(VALU_DEP_4)
	v_sub_f32_e32 v7, v184, v5
	v_dual_sub_f32 v3, v3, v5 :: v_dual_sub_f32 v2, v2, v4
	v_mov_b32_e32 v184, v5
	v_cmp_ngt_f32_e32 vcc_lo, 0xc2ce8ed0, v6
	s_delay_alu instid0(VALU_DEP_4) | instskip(NEXT) | instid1(VALU_DEP_4)
	v_mul_f32_e32 v10, 0x3fb8aa3b, v7
	v_mul_f32_e32 v11, 0x3fb8aa3b, v3
	;; [unrolled: 1-line block ×3, first 2 shown]
	v_mov_b32_e32 v183, v4
	s_delay_alu instid0(VALU_DEP_4) | instskip(SKIP_1) | instid1(VALU_DEP_4)
	v_fma_f32 v15, 0x3fb8aa3b, v7, -v10
	v_rndne_f32_e32 v16, v10
	v_rndne_f32_e32 v17, v9
	v_mul_f32_e32 v8, 0x3fb8aa3b, v6
	v_fma_f32 v14, 0x3fb8aa3b, v2, -v9
	v_fma_f32 v18, 0x3fb8aa3b, v3, -v11
	v_rndne_f32_e32 v19, v11
	v_sub_f32_e32 v9, v9, v17
	v_fma_f32 v12, 0x3fb8aa3b, v6, -v8
	v_rndne_f32_e32 v13, v8
	v_dual_fmac_f32 v15, 0x32a5705f, v7 :: v_dual_fmac_f32 v14, 0x32a5705f, v2
	v_sub_f32_e32 v10, v10, v16
	s_delay_alu instid0(VALU_DEP_4) | instskip(NEXT) | instid1(VALU_DEP_4)
	v_fmac_f32_e32 v12, 0x32a5705f, v6
	v_dual_sub_f32 v8, v8, v13 :: v_dual_sub_f32 v11, v11, v19
	s_delay_alu instid0(VALU_DEP_4) | instskip(NEXT) | instid1(VALU_DEP_4)
	v_dual_fmac_f32 v18, 0x32a5705f, v3 :: v_dual_add_f32 v9, v9, v14
	v_add_f32_e32 v10, v10, v15
	s_delay_alu instid0(VALU_DEP_3) | instskip(SKIP_1) | instid1(VALU_DEP_4)
	v_add_f32_e32 v8, v8, v12
	v_cvt_i32_f32_e32 v12, v13
	v_add_f32_e32 v11, v11, v18
	v_cvt_i32_f32_e32 v13, v16
	v_exp_f32_e32 v10, v10
	v_exp_f32_e32 v8, v8
	;; [unrolled: 1-line block ×3, first 2 shown]
	v_cvt_i32_f32_e32 v14, v17
	v_exp_f32_e32 v11, v11
	v_ldexp_f32 v10, v10, v13
	s_delay_alu instid0(TRANS32_DEP_3) | instskip(SKIP_1) | instid1(TRANS32_DEP_2)
	v_ldexp_f32 v8, v8, v12
	v_cvt_i32_f32_e32 v12, v19
	v_ldexp_f32 v9, v9, v14
	s_wait_alu 0xfffd
	s_delay_alu instid0(VALU_DEP_3)
	v_cndmask_b32_e32 v8, 0, v8, vcc_lo
	v_cmp_ngt_f32_e32 vcc_lo, 0xc2ce8ed0, v7
	s_wait_alu 0xfffd
	v_cndmask_b32_e32 v10, 0, v10, vcc_lo
	v_cmp_nlt_f32_e32 vcc_lo, 0x42b17218, v6
	s_wait_alu 0xfffd
	v_cndmask_b32_e32 v6, 0x7f800000, v8, vcc_lo
	v_cmp_nlt_f32_e32 vcc_lo, 0x42b17218, v7
	v_ldexp_f32 v8, v11, v12
	s_wait_alu 0xfffd
	v_cndmask_b32_e32 v7, 0x7f800000, v10, vcc_lo
	v_cmp_ngt_f32_e32 vcc_lo, 0xc2ce8ed0, v2
	s_wait_alu 0xfffd
	v_cndmask_b32_e32 v9, 0, v9, vcc_lo
	v_cmp_ngt_f32_e32 vcc_lo, 0xc2ce8ed0, v3
	s_wait_alu 0xfffd
	v_cndmask_b32_e32 v8, 0, v8, vcc_lo
	v_cmp_nlt_f32_e32 vcc_lo, 0x42b17218, v2
	s_wait_alu 0xfffd
	v_cndmask_b32_e32 v2, 0x7f800000, v9, vcc_lo
	v_cmp_nlt_f32_e32 vcc_lo, 0x42b17218, v3
	s_wait_alu 0xfffd
	v_cndmask_b32_e32 v3, 0x7f800000, v8, vcc_lo
	s_delay_alu instid0(VALU_DEP_1) | instskip(NEXT) | instid1(VALU_DEP_1)
	v_fmac_f32_e32 v3, v1, v7
	v_dual_mov_b32 v1, v3 :: v_dual_fmac_f32 v2, v0, v6
	v_cvt_f16_f32_e32 v10, v6
	s_delay_alu instid0(VALU_DEP_2) | instskip(SKIP_1) | instid1(VALU_DEP_3)
	v_mov_b32_e32 v0, v2
	v_cvt_f16_f32_e32 v11, v7
	v_and_b32_e32 v9, 0xffff, v10
	s_delay_alu instid0(VALU_DEP_2) | instskip(NEXT) | instid1(VALU_DEP_2)
	v_and_b32_e32 v10, 0xffff, v11
	v_mul_u32_u24_e32 v6, 0x10001, v9
	s_delay_alu instid0(VALU_DEP_2) | instskip(NEXT) | instid1(VALU_DEP_2)
	v_mul_u32_u24_e32 v4, 0x10001, v10
	v_pk_mul_f16 v50, v50, v6
	v_pk_mul_f16 v51, v51, v6
	s_delay_alu instid0(VALU_DEP_3)
	v_pk_mul_f16 v45, v45, v4
	v_pk_mul_f16 v44, v44, v4
	s_mov_b32 s2, exec_lo
	v_cmpx_gt_i32_e64 s38, v148
	s_cbranch_execnz .LBB24_15
.LBB24_13:
	s_nop 0
	s_sendmsg sendmsg(MSG_DEALLOC_VGPRS)
	s_endpgm
.LBB24_14:
	s_delay_alu instid0(VALU_DEP_1)
	v_dual_mov_b32 v3, v1 :: v_dual_mov_b32 v2, v0
	s_mov_b32 s2, exec_lo
	v_cmpx_gt_i32_e64 s38, v148
	s_cbranch_execz .LBB24_13
.LBB24_15:
	s_load_b32 s1, s[0:1], 0xd4
	v_mov_b32_e32 v6, 1.0
	s_wait_kmcnt 0x0
	s_cmp_lg_u32 s1, 1
	s_cselect_b32 s3, -1, 0
	s_cmp_eq_u32 s1, 1
	s_cselect_b32 s2, -1, 0
	s_wait_alu 0xfffe
	s_and_b32 vcc_lo, exec_lo, s3
	s_wait_alu 0xfffe
	s_cbranch_vccnz .LBB24_17
; %bb.16:
	v_div_scale_f32 v4, null, v0, v0, 1.0
	s_delay_alu instid0(VALU_DEP_1) | instskip(NEXT) | instid1(TRANS32_DEP_1)
	v_rcp_f32_e32 v5, v4
	v_fma_f32 v6, -v4, v5, 1.0
	s_delay_alu instid0(VALU_DEP_1) | instskip(SKIP_1) | instid1(VALU_DEP_1)
	v_fmac_f32_e32 v5, v6, v5
	v_div_scale_f32 v6, vcc_lo, 1.0, v0, 1.0
	v_mul_f32_e32 v7, v6, v5
	s_delay_alu instid0(VALU_DEP_1) | instskip(NEXT) | instid1(VALU_DEP_1)
	v_fma_f32 v8, -v4, v7, v6
	v_fmac_f32_e32 v7, v8, v5
	s_delay_alu instid0(VALU_DEP_1) | instskip(SKIP_1) | instid1(VALU_DEP_1)
	v_fma_f32 v4, -v4, v7, v6
	s_wait_alu 0xfffd
	v_div_fmas_f32 v4, v4, v5, v7
	s_delay_alu instid0(VALU_DEP_1)
	v_div_fixup_f32 v6, v4, v0, 1.0
.LBB24_17:
	v_mad_co_u64_u32 v[4:5], null, s34, s38, v[148:149]
	v_cvt_f32_f16_e32 v9, v50
	v_mov_b32_e32 v8, 0
	v_cvt_f32_f16_e32 v10, v51
	v_cmp_eq_u32_e32 vcc_lo, 0, v149
	v_mul_lo_u32 v0, v4, s39
	s_delay_alu instid0(VALU_DEP_1) | instskip(NEXT) | instid1(VALU_DEP_1)
	v_add3_u32 v0, s33, v185, v0
	v_mad_co_u64_u32 v[4:5], null, s1, v0, s[22:23]
	v_lshrrev_b32_e32 v5, 16, v51
	v_lshrrev_b32_e32 v0, 16, v50
	s_delay_alu instid0(VALU_DEP_2) | instskip(NEXT) | instid1(VALU_DEP_4)
	v_cvt_f32_f16_e32 v5, v5
	v_lshl_add_u32 v7, v4, 7, v186
	s_delay_alu instid0(VALU_DEP_3) | instskip(NEXT) | instid1(VALU_DEP_2)
	v_cvt_f32_f16_e32 v0, v0
	v_lshlrev_b64_e32 v[11:12], 2, v[7:8]
	v_mul_f32_e32 v7, v6, v9
	v_mul_f32_e32 v9, v6, v10
	;; [unrolled: 1-line block ×4, first 2 shown]
	v_add_co_u32 v5, s0, s28, v11
	s_wait_alu 0xf1ff
	v_add_co_ci_u32_e64 v6, null, s29, v12, s0
	s_and_b32 s0, vcc_lo, s3
	global_store_b128 v[5:6], v[7:10], off
	s_wait_alu 0xfffe
	s_and_saveexec_b32 s3, s0
	s_cbranch_execz .LBB24_19
; %bb.18:
	v_ashrrev_i32_e32 v5, 31, v4
	v_dual_mov_b32 v7, v183 :: v_dual_mov_b32 v8, v2
	s_delay_alu instid0(VALU_DEP_2) | instskip(NEXT) | instid1(VALU_DEP_1)
	v_lshlrev_b64_e32 v[5:6], 3, v[4:5]
	v_add_co_u32 v5, vcc_lo, s30, v5
	s_wait_alu 0xfffd
	s_delay_alu instid0(VALU_DEP_2)
	v_add_co_ci_u32_e64 v6, null, s31, v6, vcc_lo
	global_store_b64 v[5:6], v[7:8], off
.LBB24_19:
	s_wait_alu 0xfffe
	s_or_b32 exec_lo, exec_lo, s3
	v_mov_b32_e32 v2, 1.0
	s_and_not1_b32 vcc_lo, exec_lo, s2
	s_wait_alu 0xfffe
	s_cbranch_vccnz .LBB24_21
; %bb.20:
	v_div_scale_f32 v0, null, v1, v1, 1.0
	s_delay_alu instid0(VALU_DEP_1) | instskip(NEXT) | instid1(TRANS32_DEP_1)
	v_rcp_f32_e32 v2, v0
	v_fma_f32 v5, -v0, v2, 1.0
	s_delay_alu instid0(VALU_DEP_1) | instskip(SKIP_1) | instid1(VALU_DEP_1)
	v_fmac_f32_e32 v2, v5, v2
	v_div_scale_f32 v5, vcc_lo, 1.0, v1, 1.0
	v_mul_f32_e32 v6, v5, v2
	s_delay_alu instid0(VALU_DEP_1) | instskip(NEXT) | instid1(VALU_DEP_1)
	v_fma_f32 v7, -v0, v6, v5
	v_fmac_f32_e32 v6, v7, v2
	s_delay_alu instid0(VALU_DEP_1) | instskip(SKIP_1) | instid1(VALU_DEP_1)
	v_fma_f32 v0, -v0, v6, v5
	s_wait_alu 0xfffd
	v_div_fmas_f32 v0, v0, v2, v6
	s_delay_alu instid0(VALU_DEP_1)
	v_div_fixup_f32 v2, v0, v1, 1.0
.LBB24_21:
	v_dual_mov_b32 v5, 0 :: v_dual_add_nc_u32 v0, s1, v4
	v_lshrrev_b32_e32 v1, 16, v45
	v_lshrrev_b32_e32 v6, 16, v44
	v_cvt_f32_f16_e32 v7, v45
	s_delay_alu instid0(VALU_DEP_4) | instskip(SKIP_3) | instid1(VALU_DEP_4)
	v_lshl_add_u32 v4, v0, 7, v186
	v_cvt_f32_f16_e32 v10, v44
	v_cvt_f32_f16_e32 v1, v1
	;; [unrolled: 1-line block ×3, first 2 shown]
	v_lshlrev_b64_e32 v[8:9], 2, v[4:5]
	v_mul_f32_e32 v4, v2, v7
	s_delay_alu instid0(VALU_DEP_4)
	v_mul_f32_e32 v5, v2, v1
	v_mul_f32_e32 v6, v2, v10
	;; [unrolled: 1-line block ×3, first 2 shown]
	v_add_co_u32 v1, vcc_lo, s28, v8
	s_wait_alu 0xfffd
	v_add_co_ci_u32_e64 v2, null, s29, v9, vcc_lo
	global_store_b128 v[1:2], v[4:7], off
	s_and_b32 exec_lo, exec_lo, s0
	s_cbranch_execz .LBB24_13
; %bb.22:
	v_ashrrev_i32_e32 v1, 31, v0
	v_mov_b32_e32 v2, v184
	s_delay_alu instid0(VALU_DEP_2) | instskip(NEXT) | instid1(VALU_DEP_1)
	v_lshlrev_b64_e32 v[0:1], 3, v[0:1]
	v_add_co_u32 v0, vcc_lo, s30, v0
	s_wait_alu 0xfffd
	s_delay_alu instid0(VALU_DEP_2)
	v_add_co_ci_u32_e64 v1, null, s31, v1, vcc_lo
	global_store_b64 v[0:1], v[2:3], off
	s_nop 0
	s_sendmsg sendmsg(MSG_DEALLOC_VGPRS)
	s_endpgm
	.section	.rodata,"a",@progbits
	.p2align	6, 0x0
	.amdhsa_kernel _ZL15flash_attn_tileILi128ELi128ELi4ELi4ELb0EEvPKcS1_S1_S1_S1_PKiPfP15HIP_vector_typeIfLj2EEffffjfiS5_IjLj3EEiiiiiiiiiiiliiliiiiil
		.amdhsa_group_segment_fixed_size 43008
		.amdhsa_private_segment_fixed_size 0
		.amdhsa_kernarg_size 464
		.amdhsa_user_sgpr_count 2
		.amdhsa_user_sgpr_dispatch_ptr 0
		.amdhsa_user_sgpr_queue_ptr 0
		.amdhsa_user_sgpr_kernarg_segment_ptr 1
		.amdhsa_user_sgpr_dispatch_id 0
		.amdhsa_user_sgpr_private_segment_size 0
		.amdhsa_wavefront_size32 1
		.amdhsa_uses_dynamic_stack 0
		.amdhsa_enable_private_segment 0
		.amdhsa_system_sgpr_workgroup_id_x 1
		.amdhsa_system_sgpr_workgroup_id_y 1
		.amdhsa_system_sgpr_workgroup_id_z 1
		.amdhsa_system_sgpr_workgroup_info 0
		.amdhsa_system_vgpr_workitem_id 1
		.amdhsa_next_free_vgpr 245
		.amdhsa_next_free_sgpr 52
		.amdhsa_reserve_vcc 1
		.amdhsa_float_round_mode_32 0
		.amdhsa_float_round_mode_16_64 0
		.amdhsa_float_denorm_mode_32 3
		.amdhsa_float_denorm_mode_16_64 3
		.amdhsa_fp16_overflow 0
		.amdhsa_workgroup_processor_mode 1
		.amdhsa_memory_ordered 1
		.amdhsa_forward_progress 1
		.amdhsa_inst_pref_size 130
		.amdhsa_round_robin_scheduling 0
		.amdhsa_exception_fp_ieee_invalid_op 0
		.amdhsa_exception_fp_denorm_src 0
		.amdhsa_exception_fp_ieee_div_zero 0
		.amdhsa_exception_fp_ieee_overflow 0
		.amdhsa_exception_fp_ieee_underflow 0
		.amdhsa_exception_fp_ieee_inexact 0
		.amdhsa_exception_int_div_zero 0
	.end_amdhsa_kernel
	.section	.text._ZL15flash_attn_tileILi128ELi128ELi4ELi4ELb0EEvPKcS1_S1_S1_S1_PKiPfP15HIP_vector_typeIfLj2EEffffjfiS5_IjLj3EEiiiiiiiiiiiliiliiiiil,"axG",@progbits,_ZL15flash_attn_tileILi128ELi128ELi4ELi4ELb0EEvPKcS1_S1_S1_S1_PKiPfP15HIP_vector_typeIfLj2EEffffjfiS5_IjLj3EEiiiiiiiiiiiliiliiiiil,comdat
.Lfunc_end24:
	.size	_ZL15flash_attn_tileILi128ELi128ELi4ELi4ELb0EEvPKcS1_S1_S1_S1_PKiPfP15HIP_vector_typeIfLj2EEffffjfiS5_IjLj3EEiiiiiiiiiiiliiliiiiil, .Lfunc_end24-_ZL15flash_attn_tileILi128ELi128ELi4ELi4ELb0EEvPKcS1_S1_S1_S1_PKiPfP15HIP_vector_typeIfLj2EEffffjfiS5_IjLj3EEiiiiiiiiiiiliiliiiiil
                                        ; -- End function
	.set _ZL15flash_attn_tileILi128ELi128ELi4ELi4ELb0EEvPKcS1_S1_S1_S1_PKiPfP15HIP_vector_typeIfLj2EEffffjfiS5_IjLj3EEiiiiiiiiiiiliiliiiiil.num_vgpr, 245
	.set _ZL15flash_attn_tileILi128ELi128ELi4ELi4ELb0EEvPKcS1_S1_S1_S1_PKiPfP15HIP_vector_typeIfLj2EEffffjfiS5_IjLj3EEiiiiiiiiiiiliiliiiiil.num_agpr, 0
	.set _ZL15flash_attn_tileILi128ELi128ELi4ELi4ELb0EEvPKcS1_S1_S1_S1_PKiPfP15HIP_vector_typeIfLj2EEffffjfiS5_IjLj3EEiiiiiiiiiiiliiliiiiil.numbered_sgpr, 52
	.set _ZL15flash_attn_tileILi128ELi128ELi4ELi4ELb0EEvPKcS1_S1_S1_S1_PKiPfP15HIP_vector_typeIfLj2EEffffjfiS5_IjLj3EEiiiiiiiiiiiliiliiiiil.num_named_barrier, 0
	.set _ZL15flash_attn_tileILi128ELi128ELi4ELi4ELb0EEvPKcS1_S1_S1_S1_PKiPfP15HIP_vector_typeIfLj2EEffffjfiS5_IjLj3EEiiiiiiiiiiiliiliiiiil.private_seg_size, 0
	.set _ZL15flash_attn_tileILi128ELi128ELi4ELi4ELb0EEvPKcS1_S1_S1_S1_PKiPfP15HIP_vector_typeIfLj2EEffffjfiS5_IjLj3EEiiiiiiiiiiiliiliiiiil.uses_vcc, 1
	.set _ZL15flash_attn_tileILi128ELi128ELi4ELi4ELb0EEvPKcS1_S1_S1_S1_PKiPfP15HIP_vector_typeIfLj2EEffffjfiS5_IjLj3EEiiiiiiiiiiiliiliiiiil.uses_flat_scratch, 0
	.set _ZL15flash_attn_tileILi128ELi128ELi4ELi4ELb0EEvPKcS1_S1_S1_S1_PKiPfP15HIP_vector_typeIfLj2EEffffjfiS5_IjLj3EEiiiiiiiiiiiliiliiiiil.has_dyn_sized_stack, 0
	.set _ZL15flash_attn_tileILi128ELi128ELi4ELi4ELb0EEvPKcS1_S1_S1_S1_PKiPfP15HIP_vector_typeIfLj2EEffffjfiS5_IjLj3EEiiiiiiiiiiiliiliiiiil.has_recursion, 0
	.set _ZL15flash_attn_tileILi128ELi128ELi4ELi4ELb0EEvPKcS1_S1_S1_S1_PKiPfP15HIP_vector_typeIfLj2EEffffjfiS5_IjLj3EEiiiiiiiiiiiliiliiiiil.has_indirect_call, 0
	.section	.AMDGPU.csdata,"",@progbits
; Kernel info:
; codeLenInByte = 16516
; TotalNumSgprs: 54
; NumVgprs: 245
; ScratchSize: 0
; MemoryBound: 0
; FloatMode: 240
; IeeeMode: 1
; LDSByteSize: 43008 bytes/workgroup (compile time only)
; SGPRBlocks: 0
; VGPRBlocks: 30
; NumSGPRsForWavesPerEU: 54
; NumVGPRsForWavesPerEU: 245
; Occupancy: 5
; WaveLimiterHint : 1
; COMPUTE_PGM_RSRC2:SCRATCH_EN: 0
; COMPUTE_PGM_RSRC2:USER_SGPR: 2
; COMPUTE_PGM_RSRC2:TRAP_HANDLER: 0
; COMPUTE_PGM_RSRC2:TGID_X_EN: 1
; COMPUTE_PGM_RSRC2:TGID_Y_EN: 1
; COMPUTE_PGM_RSRC2:TGID_Z_EN: 1
; COMPUTE_PGM_RSRC2:TIDIG_COMP_CNT: 1
	.section	.text._ZL33flash_attn_stream_k_fixup_uniformILi128ELi4ELi4EEvPfPK15HIP_vector_typeIfLj2EEiiiiiiS1_IjLj3EES5_S5_,"axG",@progbits,_ZL33flash_attn_stream_k_fixup_uniformILi128ELi4ELi4EEvPfPK15HIP_vector_typeIfLj2EEiiiiiiS1_IjLj3EES5_S5_,comdat
	.globl	_ZL33flash_attn_stream_k_fixup_uniformILi128ELi4ELi4EEvPfPK15HIP_vector_typeIfLj2EEiiiiiiS1_IjLj3EES5_S5_ ; -- Begin function _ZL33flash_attn_stream_k_fixup_uniformILi128ELi4ELi4EEvPfPK15HIP_vector_typeIfLj2EEiiiiiiS1_IjLj3EES5_S5_
	.p2align	8
	.type	_ZL33flash_attn_stream_k_fixup_uniformILi128ELi4ELi4EEvPfPK15HIP_vector_typeIfLj2EEiiiiiiS1_IjLj3EES5_S5_,@function
_ZL33flash_attn_stream_k_fixup_uniformILi128ELi4ELi4EEvPfPK15HIP_vector_typeIfLj2EEiiiiiiS1_IjLj3EES5_S5_: ; @_ZL33flash_attn_stream_k_fixup_uniformILi128ELi4ELi4EEvPfPK15HIP_vector_typeIfLj2EEiiiiiiS1_IjLj3EES5_S5_
; %bb.0:
	s_clause 0x1
	s_load_b256 s[4:11], s[0:1], 0x1c
	s_load_b128 s[12:15], s[0:1], 0x3c
	s_wait_kmcnt 0x0
	s_mul_hi_u32 s2, s7, ttmp9
	s_delay_alu instid0(SALU_CYCLE_1) | instskip(NEXT) | instid1(SALU_CYCLE_1)
	s_add_co_i32 s2, ttmp9, s2
	s_lshr_b32 s2, s2, s8
	s_delay_alu instid0(SALU_CYCLE_1) | instskip(SKIP_2) | instid1(SALU_CYCLE_1)
	s_mul_i32 s3, s2, s9
	s_load_b64 s[8:9], s[0:1], 0x10
	s_sub_co_i32 s7, ttmp9, s3
	s_mul_hi_u32 s3, s7, s10
	s_delay_alu instid0(SALU_CYCLE_1) | instskip(NEXT) | instid1(SALU_CYCLE_1)
	s_add_co_i32 s3, s7, s3
	s_lshr_b32 s3, s3, s11
	s_delay_alu instid0(SALU_CYCLE_1) | instskip(NEXT) | instid1(SALU_CYCLE_1)
	s_mul_i32 s10, s3, s12
	s_sub_co_i32 s7, s7, s10
	s_delay_alu instid0(SALU_CYCLE_1) | instskip(NEXT) | instid1(SALU_CYCLE_1)
	s_mul_hi_u32 s10, s7, s13
	s_add_co_i32 s10, s7, s10
	s_delay_alu instid0(SALU_CYCLE_1) | instskip(NEXT) | instid1(SALU_CYCLE_1)
	s_lshr_b32 s12, s10, s14
	s_mul_i32 s10, s12, s15
	s_lshl_b32 s12, s12, 2
	s_sub_co_i32 s11, s7, s10
	s_and_b32 s7, ttmp7, 0xffff
	s_lshl_b32 s13, s11, 2
	s_lshr_b32 s10, ttmp7, 16
	s_add_co_i32 s13, s13, s7
	s_wait_kmcnt 0x0
	s_cmp_lt_i32 s13, s8
	s_cselect_b32 s13, -1, 0
	s_add_co_i32 s14, s12, s10
	s_delay_alu instid0(SALU_CYCLE_1) | instskip(SKIP_1) | instid1(SALU_CYCLE_1)
	s_cmp_lt_i32 s14, s5
	s_cselect_b32 s14, -1, 0
	s_and_b32 s13, s13, s14
	s_delay_alu instid0(SALU_CYCLE_1)
	s_and_not1_b32 vcc_lo, exec_lo, s13
	s_cbranch_vccnz .LBB25_6
; %bb.1:
	s_mul_i32 s2, s2, s8
	s_mul_i32 s5, s3, s5
	s_add_co_i32 s2, s2, s7
	s_delay_alu instid0(SALU_CYCLE_1) | instskip(NEXT) | instid1(SALU_CYCLE_1)
	s_mul_i32 s2, s2, s9
	s_add_co_i32 s8, s2, s10
	s_load_b128 s[0:3], s[0:1], 0x0
	s_add_co_i32 s5, s8, s5
	s_mul_i32 s8, s9, s11
	s_add_co_i32 s5, s5, s12
	s_lshl_b32 s8, s8, 9
	s_lshl_b32 s5, s5, 7
	s_delay_alu instid0(SALU_CYCLE_1)
	s_add_co_i32 s8, s8, s5
	s_lshl_b32 s5, s7, 2
	v_or_b32_e32 v1, s8, v0
	s_mul_i32 s8, s6, ttmp9
	s_wait_alu 0xfffe
	s_add_co_i32 s9, s8, s6
	s_wait_alu 0xfffe
	s_add_co_i32 s12, s9, -2
	v_ashrrev_i32_e32 v2, 31, v1
	s_delay_alu instid0(VALU_DEP_1) | instskip(SKIP_1) | instid1(VALU_DEP_1)
	v_lshlrev_b64_e32 v[1:2], 2, v[1:2]
	s_wait_kmcnt 0x0
	v_add_co_u32 v1, vcc_lo, s0, v1
	s_delay_alu instid0(VALU_DEP_1)
	v_add_co_ci_u32_e64 v2, null, s1, v2, vcc_lo
	s_add_co_i32 s0, s5, s10
	s_lshl_b32 s1, s9, 4
	global_load_b32 v5, v[1:2], off
	s_wait_alu 0xfffe
	s_add_co_i32 s0, s0, s1
	s_wait_alu 0xfffe
	s_add_co_i32 s0, s0, -16
	s_wait_alu 0xfffe
	s_ashr_i32 s1, s0, 31
	s_wait_alu 0xfffe
	s_lshl_b64 s[0:1], s[0:1], 3
	s_cmp_lt_i32 s12, s8
	s_wait_alu 0xfffe
	s_add_nc_u64 s[0:1], s[2:3], s[0:1]
	s_load_b32 s11, s[0:1], 0x4
	s_cbranch_scc1 .LBB25_4
; %bb.2:
	s_load_b32 s0, s[0:1], 0x0
	s_add_co_i32 s13, ttmp9, 1
	s_lshl_b32 s12, s4, 6
	s_mul_i32 s1, s6, s13
	s_lshl_b32 s6, s7, 9
	s_lshl_b32 s7, s10, 7
	s_wait_alu 0xfffe
	s_lshl_b32 s14, s1, 11
	s_add_co_i32 s6, s7, s6
	s_lshl_b32 s1, s1, 4
	s_add_co_i32 s14, s6, s14
	s_wait_alu 0xfffe
	s_add_co_i32 s1, s10, s1
	v_or_b32_e32 v0, s14, v0
	s_lshl_b32 s4, s4, 4
	s_ashr_i32 s13, s12, 31
	s_wait_alu 0xfffe
	s_add_co_i32 s1, s1, s4
	s_wait_kmcnt 0x0
	v_dual_mov_b32 v6, s11 :: v_dual_add_nc_u32 v3, 0xfffff000, v0
	s_lshl_b64 s[6:7], s[12:13], 2
	s_wait_alu 0xfffe
	s_add_co_i32 s4, s1, s5
	s_add_nc_u64 s[6:7], s[2:3], s[6:7]
	s_add_co_i32 s1, s9, -1
	s_sub_co_i32 s4, s4, 32
.LBB25_3:                               ; =>This Inner Loop Header: Depth=1
	v_ashrrev_i32_e32 v4, 31, v3
	s_ashr_i32 s5, s4, 31
	v_mov_b32_e32 v10, v6
	s_lshl_b64 s[10:11], s[4:5], 3
	s_wait_loadcnt 0x0
	v_mov_b32_e32 v9, v5
	v_lshlrev_b64_e32 v[7:8], 2, v[3:4]
	s_wait_alu 0xfffe
	s_add_nc_u64 s[10:11], s[2:3], s[10:11]
	v_max_num_f32_e64 v4, s0, s0
	s_load_b64 s[10:11], s[10:11], 0x0
	v_add_nc_u32_e32 v3, 0xfffff800, v3
	v_add_co_u32 v7, vcc_lo, s6, v7
	s_wait_alu 0xfffd
	v_add_co_ci_u32_e64 v8, null, s7, v8, vcc_lo
	v_readfirstlane_b32 s5, v4
	global_load_b32 v0, v[7:8], off
	s_wait_kmcnt 0x0
	v_max_num_f32_e64 v4, s10, s10
	s_delay_alu instid0(VALU_DEP_1) | instskip(SKIP_1) | instid1(SALU_CYCLE_3)
	v_readfirstlane_b32 s9, v4
	s_max_num_f32 s5, s5, s9
	s_sub_f32 s0, s0, s5
	s_sub_f32 s9, s10, s5
	s_wait_alu 0xfffe
	s_delay_alu instid0(SALU_CYCLE_1) | instskip(NEXT) | instid1(SALU_CYCLE_1)
	s_mul_f32 s10, s0, 0x3fb8aa3b
	s_mul_f32 s12, s9, 0x3fb8aa3b
	s_wait_alu 0xfffe
	s_delay_alu instid0(SALU_CYCLE_1)
	s_xor_b32 s13, s10, 0x80000000
	s_rndne_f32 s14, s10
	s_fmamk_f32 s13, s0, 0x3fb8aa3b, s13
	s_cmp_nlt_f32 s0, 0xc2ce8ed0
	s_rndne_f32 s15, s12
	s_wait_alu 0xfffe
	s_sub_f32 s10, s10, s14
	s_fmamk_f32 s13, s0, 0x32a5705f, s13
	s_cvt_i32_f32 s14, s14
	s_cselect_b32 vcc_lo, -1, 0
	s_cmp_ngt_f32 s0, 0x42b17218
	s_wait_alu 0xfffe
	s_add_f32 s10, s10, s13
	s_sub_f32 s13, s12, s15
	s_wait_alu 0xfffe
	s_delay_alu instid0(SALU_CYCLE_1) | instskip(SKIP_1) | instid1(TRANS32_DEP_1)
	v_s_exp_f32 s10, s10
	s_wait_alu 0xf1ff
	v_ldexp_f32 v4, s10, s14
	s_cvt_i32_f32 s10, s15
	s_delay_alu instid0(VALU_DEP_1) | instskip(SKIP_3) | instid1(VALU_DEP_1)
	v_cndmask_b32_e32 v4, 0, v4, vcc_lo
	s_cselect_b32 vcc_lo, -1, 0
	s_cmp_ge_f32 s0, 0xc1a00000
	s_wait_alu 0xfffe
	v_cndmask_b32_e32 v4, 0x7f800000, v4, vcc_lo
	s_cselect_b32 vcc_lo, -1, 0
	s_xor_b32 s0, s12, 0x80000000
	s_cmp_nlt_f32 s9, 0xc2ce8ed0
	s_wait_alu 0xfffe
	s_fmamk_f32 s0, s9, 0x3fb8aa3b, s0
	s_wait_alu 0xfffe
	s_delay_alu instid0(SALU_CYCLE_2) | instskip(SKIP_1) | instid1(SALU_CYCLE_2)
	s_fmamk_f32 s0, s9, 0x32a5705f, s0
	s_wait_alu 0xfffe
	s_add_f32 s0, s13, s0
	s_wait_alu 0xfffe
	s_delay_alu instid0(SALU_CYCLE_2) | instskip(SKIP_1) | instid1(TRANS32_DEP_1)
	v_s_exp_f32 s0, s0
	s_wait_alu 0xf1ff
	v_ldexp_f32 v7, s0, s10
	s_cselect_b32 s0, -1, 0
	s_cmp_ngt_f32 s9, 0x42b17218
	s_wait_alu 0xfffe
	s_delay_alu instid0(VALU_DEP_1) | instskip(SKIP_3) | instid1(VALU_DEP_1)
	v_cndmask_b32_e64 v7, 0, v7, s0
	s_cselect_b32 s0, -1, 0
	s_cmp_ge_f32 s9, 0xc1a00000
	s_wait_alu 0xfffe
	v_cndmask_b32_e64 v7, 0x7f800000, v7, s0
	s_cselect_b32 s0, -1, 0
	s_add_co_i32 s1, s1, -1
	s_add_co_i32 s4, s4, -16
	s_wait_alu 0xfffe
	s_cmp_le_i32 s1, s8
	v_cndmask_b32_e64 v7, 0, v7, s0
	s_mov_b32 s0, s5
	s_wait_loadcnt 0x0
	s_delay_alu instid0(VALU_DEP_1) | instskip(NEXT) | instid1(VALU_DEP_1)
	v_dual_mul_f32 v5, v0, v7 :: v_dual_cndmask_b32 v4, 0, v4
	v_dual_mul_f32 v8, s11, v7 :: v_dual_fmac_f32 v5, v9, v4
	s_delay_alu instid0(VALU_DEP_1) | instskip(NEXT) | instid1(VALU_DEP_1)
	v_mov_b32_e32 v6, v8
	v_fmac_f32_e32 v6, v10, v4
	s_cbranch_scc0 .LBB25_3
	s_branch .LBB25_5
.LBB25_4:
	s_wait_kmcnt 0x0
	v_mov_b32_e32 v6, s11
.LBB25_5:
	s_wait_loadcnt 0x0
	s_delay_alu instid0(VALU_DEP_1) | instskip(NEXT) | instid1(VALU_DEP_1)
	v_div_scale_f32 v0, null, v6, v6, v5
	v_rcp_f32_e32 v3, v0
	s_delay_alu instid0(TRANS32_DEP_1) | instskip(NEXT) | instid1(VALU_DEP_1)
	v_fma_f32 v4, -v0, v3, 1.0
	v_fmac_f32_e32 v3, v4, v3
	v_div_scale_f32 v4, vcc_lo, v5, v6, v5
	s_delay_alu instid0(VALU_DEP_1) | instskip(NEXT) | instid1(VALU_DEP_1)
	v_mul_f32_e32 v7, v4, v3
	v_fma_f32 v8, -v0, v7, v4
	s_delay_alu instid0(VALU_DEP_1) | instskip(NEXT) | instid1(VALU_DEP_1)
	v_fmac_f32_e32 v7, v8, v3
	v_fma_f32 v0, -v0, v7, v4
	s_wait_alu 0xfffd
	s_delay_alu instid0(VALU_DEP_1) | instskip(NEXT) | instid1(VALU_DEP_1)
	v_div_fmas_f32 v0, v0, v3, v7
	v_div_fixup_f32 v0, v0, v6, v5
	global_store_b32 v[1:2], v0, off
.LBB25_6:
	s_endpgm
	.section	.rodata,"a",@progbits
	.p2align	6, 0x0
	.amdhsa_kernel _ZL33flash_attn_stream_k_fixup_uniformILi128ELi4ELi4EEvPfPK15HIP_vector_typeIfLj2EEiiiiiiS1_IjLj3EES5_S5_
		.amdhsa_group_segment_fixed_size 0
		.amdhsa_private_segment_fixed_size 0
		.amdhsa_kernarg_size 76
		.amdhsa_user_sgpr_count 2
		.amdhsa_user_sgpr_dispatch_ptr 0
		.amdhsa_user_sgpr_queue_ptr 0
		.amdhsa_user_sgpr_kernarg_segment_ptr 1
		.amdhsa_user_sgpr_dispatch_id 0
		.amdhsa_user_sgpr_private_segment_size 0
		.amdhsa_wavefront_size32 1
		.amdhsa_uses_dynamic_stack 0
		.amdhsa_enable_private_segment 0
		.amdhsa_system_sgpr_workgroup_id_x 1
		.amdhsa_system_sgpr_workgroup_id_y 1
		.amdhsa_system_sgpr_workgroup_id_z 1
		.amdhsa_system_sgpr_workgroup_info 0
		.amdhsa_system_vgpr_workitem_id 0
		.amdhsa_next_free_vgpr 11
		.amdhsa_next_free_sgpr 16
		.amdhsa_reserve_vcc 1
		.amdhsa_float_round_mode_32 0
		.amdhsa_float_round_mode_16_64 0
		.amdhsa_float_denorm_mode_32 3
		.amdhsa_float_denorm_mode_16_64 3
		.amdhsa_fp16_overflow 0
		.amdhsa_workgroup_processor_mode 1
		.amdhsa_memory_ordered 1
		.amdhsa_forward_progress 1
		.amdhsa_inst_pref_size 9
		.amdhsa_round_robin_scheduling 0
		.amdhsa_exception_fp_ieee_invalid_op 0
		.amdhsa_exception_fp_denorm_src 0
		.amdhsa_exception_fp_ieee_div_zero 0
		.amdhsa_exception_fp_ieee_overflow 0
		.amdhsa_exception_fp_ieee_underflow 0
		.amdhsa_exception_fp_ieee_inexact 0
		.amdhsa_exception_int_div_zero 0
	.end_amdhsa_kernel
	.section	.text._ZL33flash_attn_stream_k_fixup_uniformILi128ELi4ELi4EEvPfPK15HIP_vector_typeIfLj2EEiiiiiiS1_IjLj3EES5_S5_,"axG",@progbits,_ZL33flash_attn_stream_k_fixup_uniformILi128ELi4ELi4EEvPfPK15HIP_vector_typeIfLj2EEiiiiiiS1_IjLj3EES5_S5_,comdat
.Lfunc_end25:
	.size	_ZL33flash_attn_stream_k_fixup_uniformILi128ELi4ELi4EEvPfPK15HIP_vector_typeIfLj2EEiiiiiiS1_IjLj3EES5_S5_, .Lfunc_end25-_ZL33flash_attn_stream_k_fixup_uniformILi128ELi4ELi4EEvPfPK15HIP_vector_typeIfLj2EEiiiiiiS1_IjLj3EES5_S5_
                                        ; -- End function
	.set _ZL33flash_attn_stream_k_fixup_uniformILi128ELi4ELi4EEvPfPK15HIP_vector_typeIfLj2EEiiiiiiS1_IjLj3EES5_S5_.num_vgpr, 11
	.set _ZL33flash_attn_stream_k_fixup_uniformILi128ELi4ELi4EEvPfPK15HIP_vector_typeIfLj2EEiiiiiiS1_IjLj3EES5_S5_.num_agpr, 0
	.set _ZL33flash_attn_stream_k_fixup_uniformILi128ELi4ELi4EEvPfPK15HIP_vector_typeIfLj2EEiiiiiiS1_IjLj3EES5_S5_.numbered_sgpr, 16
	.set _ZL33flash_attn_stream_k_fixup_uniformILi128ELi4ELi4EEvPfPK15HIP_vector_typeIfLj2EEiiiiiiS1_IjLj3EES5_S5_.num_named_barrier, 0
	.set _ZL33flash_attn_stream_k_fixup_uniformILi128ELi4ELi4EEvPfPK15HIP_vector_typeIfLj2EEiiiiiiS1_IjLj3EES5_S5_.private_seg_size, 0
	.set _ZL33flash_attn_stream_k_fixup_uniformILi128ELi4ELi4EEvPfPK15HIP_vector_typeIfLj2EEiiiiiiS1_IjLj3EES5_S5_.uses_vcc, 1
	.set _ZL33flash_attn_stream_k_fixup_uniformILi128ELi4ELi4EEvPfPK15HIP_vector_typeIfLj2EEiiiiiiS1_IjLj3EES5_S5_.uses_flat_scratch, 0
	.set _ZL33flash_attn_stream_k_fixup_uniformILi128ELi4ELi4EEvPfPK15HIP_vector_typeIfLj2EEiiiiiiS1_IjLj3EES5_S5_.has_dyn_sized_stack, 0
	.set _ZL33flash_attn_stream_k_fixup_uniformILi128ELi4ELi4EEvPfPK15HIP_vector_typeIfLj2EEiiiiiiS1_IjLj3EES5_S5_.has_recursion, 0
	.set _ZL33flash_attn_stream_k_fixup_uniformILi128ELi4ELi4EEvPfPK15HIP_vector_typeIfLj2EEiiiiiiS1_IjLj3EES5_S5_.has_indirect_call, 0
	.section	.AMDGPU.csdata,"",@progbits
; Kernel info:
; codeLenInByte = 1140
; TotalNumSgprs: 18
; NumVgprs: 11
; ScratchSize: 0
; MemoryBound: 0
; FloatMode: 240
; IeeeMode: 1
; LDSByteSize: 0 bytes/workgroup (compile time only)
; SGPRBlocks: 0
; VGPRBlocks: 1
; NumSGPRsForWavesPerEU: 18
; NumVGPRsForWavesPerEU: 11
; Occupancy: 16
; WaveLimiterHint : 0
; COMPUTE_PGM_RSRC2:SCRATCH_EN: 0
; COMPUTE_PGM_RSRC2:USER_SGPR: 2
; COMPUTE_PGM_RSRC2:TRAP_HANDLER: 0
; COMPUTE_PGM_RSRC2:TGID_X_EN: 1
; COMPUTE_PGM_RSRC2:TGID_Y_EN: 1
; COMPUTE_PGM_RSRC2:TGID_Z_EN: 1
; COMPUTE_PGM_RSRC2:TIDIG_COMP_CNT: 0
	.section	.text._ZL33flash_attn_stream_k_fixup_generalILi128ELi4ELi4EEvPfPK15HIP_vector_typeIfLj2EEiiiiS1_IjLj3EES5_S5_S5_,"axG",@progbits,_ZL33flash_attn_stream_k_fixup_generalILi128ELi4ELi4EEvPfPK15HIP_vector_typeIfLj2EEiiiiS1_IjLj3EES5_S5_S5_,comdat
	.globl	_ZL33flash_attn_stream_k_fixup_generalILi128ELi4ELi4EEvPfPK15HIP_vector_typeIfLj2EEiiiiS1_IjLj3EES5_S5_S5_ ; -- Begin function _ZL33flash_attn_stream_k_fixup_generalILi128ELi4ELi4EEvPfPK15HIP_vector_typeIfLj2EEiiiiS1_IjLj3EES5_S5_S5_
	.p2align	8
	.type	_ZL33flash_attn_stream_k_fixup_generalILi128ELi4ELi4EEvPfPK15HIP_vector_typeIfLj2EEiiiiS1_IjLj3EES5_S5_S5_,@function
_ZL33flash_attn_stream_k_fixup_generalILi128ELi4ELi4EEvPfPK15HIP_vector_typeIfLj2EEiiiiS1_IjLj3EES5_S5_S5_: ; @_ZL33flash_attn_stream_k_fixup_generalILi128ELi4ELi4EEvPfPK15HIP_vector_typeIfLj2EEiiiiS1_IjLj3EES5_S5_S5_
; %bb.0:
	s_clause 0x1
	s_load_b128 s[4:7], s[0:1], 0x10
	s_load_b32 s16, s[0:1], 0x50
	s_mov_b32 s2, ttmp9
	s_ashr_i32 s3, ttmp9, 31
	s_mov_b32 s17, 0
	s_delay_alu instid0(SALU_CYCLE_1) | instskip(SKIP_3) | instid1(SALU_CYCLE_1)
	s_mov_b32 s8, s17
	s_wait_kmcnt 0x0
	s_ashr_i32 s19, s7, 31
	s_mov_b32 s18, s7
	s_mul_u64 s[2:3], s[18:19], s[2:3]
	s_delay_alu instid0(SALU_CYCLE_1) | instskip(NEXT) | instid1(SALU_CYCLE_1)
	s_mov_b32 s9, s3
	s_cmp_lg_u64 s[8:9], 0
	s_cbranch_scc0 .LBB26_21
; %bb.1:
	s_add_nc_u64 s[8:9], s[16:17], 0
	s_mov_b32 s15, s17
	s_xor_b64 s[8:9], s[8:9], 0
	s_mov_b32 s23, s17
	s_cvt_f32_u32 s7, s8
	s_cvt_f32_u32 s10, s9
	s_sub_nc_u64 s[12:13], 0, s[8:9]
	s_delay_alu instid0(SALU_CYCLE_2) | instskip(NEXT) | instid1(SALU_CYCLE_3)
	s_fmamk_f32 s7, s10, 0x4f800000, s7
	v_s_rcp_f32 s7, s7
	s_delay_alu instid0(TRANS32_DEP_1) | instskip(SKIP_1) | instid1(SALU_CYCLE_2)
	s_mul_f32 s7, s7, 0x5f7ffffc
	s_wait_alu 0xfffe
	s_mul_f32 s10, s7, 0x2f800000
	s_delay_alu instid0(SALU_CYCLE_3) | instskip(NEXT) | instid1(SALU_CYCLE_3)
	s_trunc_f32 s10, s10
	s_fmamk_f32 s7, s10, 0xcf800000, s7
	s_cvt_u32_f32 s11, s10
	s_wait_alu 0xfffe
	s_delay_alu instid0(SALU_CYCLE_1) | instskip(NEXT) | instid1(SALU_CYCLE_3)
	s_cvt_u32_f32 s10, s7
	s_mul_u64 s[20:21], s[12:13], s[10:11]
	s_delay_alu instid0(SALU_CYCLE_1)
	s_mul_hi_u32 s25, s10, s21
	s_mul_i32 s24, s10, s21
	s_mul_hi_u32 s14, s10, s20
	s_mul_i32 s22, s11, s20
	s_add_nc_u64 s[14:15], s[14:15], s[24:25]
	s_mul_hi_u32 s7, s11, s20
	s_mul_hi_u32 s26, s11, s21
	s_add_co_u32 s14, s14, s22
	s_wait_alu 0xfffe
	s_add_co_ci_u32 s22, s15, s7
	s_mul_i32 s20, s11, s21
	s_add_co_ci_u32 s21, s26, 0
	s_delay_alu instid0(SALU_CYCLE_1)
	s_add_nc_u64 s[14:15], s[22:23], s[20:21]
	s_mov_b32 s21, s17
	s_add_co_u32 s10, s10, s14
	s_cselect_b32 s7, -1, 0
	s_wait_alu 0xfffe
	s_cmp_lg_u32 s7, 0
	s_add_co_ci_u32 s11, s11, s15
	s_mov_b32 s15, s17
	s_mul_u64 s[12:13], s[12:13], s[10:11]
	s_delay_alu instid0(SALU_CYCLE_1)
	s_mul_hi_u32 s23, s10, s13
	s_mul_i32 s22, s10, s13
	s_mul_hi_u32 s14, s10, s12
	s_mul_i32 s20, s11, s12
	s_add_nc_u64 s[14:15], s[14:15], s[22:23]
	s_mul_hi_u32 s7, s11, s12
	s_mul_hi_u32 s24, s11, s13
	s_mul_i32 s12, s11, s13
	s_add_co_u32 s13, s14, s20
	s_wait_alu 0xfffe
	s_add_co_ci_u32 s20, s15, s7
	s_add_co_ci_u32 s13, s24, 0
	s_mov_b32 s15, s17
	s_add_nc_u64 s[12:13], s[20:21], s[12:13]
	s_delay_alu instid0(SALU_CYCLE_1) | instskip(SKIP_1) | instid1(SALU_CYCLE_1)
	s_add_co_u32 s7, s10, s12
	s_cselect_b32 s10, -1, 0
	s_cmp_lg_u32 s10, 0
	s_add_co_ci_u32 s20, s11, s13
	s_ashr_i32 s10, s3, 31
	s_delay_alu instid0(SALU_CYCLE_1) | instskip(NEXT) | instid1(SALU_CYCLE_1)
	s_mov_b32 s11, s10
	s_add_nc_u64 s[12:13], s[2:3], s[10:11]
	s_delay_alu instid0(SALU_CYCLE_1) | instskip(NEXT) | instid1(SALU_CYCLE_1)
	s_xor_b64 s[12:13], s[12:13], s[10:11]
	s_mul_hi_u32 s23, s12, s20
	s_mul_i32 s22, s12, s20
	s_wait_alu 0xfffe
	s_mul_hi_u32 s14, s12, s7
	s_mul_hi_u32 s24, s13, s7
	s_mul_i32 s7, s13, s7
	s_add_nc_u64 s[14:15], s[14:15], s[22:23]
	s_mul_hi_u32 s3, s13, s20
	s_wait_alu 0xfffe
	s_add_co_u32 s7, s14, s7
	s_mul_i32 s22, s13, s20
	s_add_co_ci_u32 s20, s15, s24
	s_add_co_ci_u32 s23, s3, 0
	s_delay_alu instid0(SALU_CYCLE_1) | instskip(NEXT) | instid1(SALU_CYCLE_1)
	s_add_nc_u64 s[14:15], s[20:21], s[22:23]
	s_mul_u64 s[20:21], s[8:9], s[14:15]
	s_delay_alu instid0(SALU_CYCLE_1)
	s_sub_co_u32 s3, s12, s20
	s_cselect_b32 s7, -1, 0
	s_sub_co_i32 s12, s13, s21
	s_wait_alu 0xfffe
	s_cmp_lg_u32 s7, 0
	s_sub_co_ci_u32 s12, s12, s9
	s_sub_co_u32 s20, s3, s8
	s_cselect_b32 s22, -1, 0
	s_delay_alu instid0(SALU_CYCLE_1) | instskip(SKIP_2) | instid1(SALU_CYCLE_1)
	s_cmp_lg_u32 s22, 0
	s_add_nc_u64 s[22:23], s[14:15], 1
	s_sub_co_ci_u32 s12, s12, 0
	s_cmp_ge_u32 s12, s9
	s_cselect_b32 s24, -1, 0
	s_cmp_ge_u32 s20, s8
	s_cselect_b32 s20, -1, 0
	s_cmp_eq_u32 s12, s9
	s_cselect_b32 s12, s20, s24
	s_add_nc_u64 s[24:25], s[14:15], 2
	s_cmp_lg_u32 s12, 0
	s_cselect_b32 s12, s24, s22
	s_cselect_b32 s20, s25, s23
	s_cmp_lg_u32 s7, 0
	s_sub_co_ci_u32 s7, s13, s21
	s_wait_alu 0xfffe
	s_cmp_ge_u32 s7, s9
	s_cselect_b32 s13, -1, 0
	s_cmp_ge_u32 s3, s8
	s_cselect_b32 s3, -1, 0
	s_cmp_eq_u32 s7, s9
	s_cselect_b32 s3, s3, s13
	s_delay_alu instid0(SALU_CYCLE_1) | instskip(SKIP_4) | instid1(SALU_CYCLE_1)
	s_cmp_lg_u32 s3, 0
	s_mov_b32 s3, s17
	s_cselect_b32 s9, s20, s15
	s_cselect_b32 s8, s12, s14
	s_xor_b64 s[10:11], s[10:11], 0
	s_xor_b64 s[8:9], s[8:9], s[10:11]
	s_delay_alu instid0(SALU_CYCLE_1)
	s_sub_nc_u64 s[20:21], s[8:9], s[10:11]
	s_and_not1_b32 vcc_lo, exec_lo, s3
	s_cbranch_vccnz .LBB26_3
.LBB26_2:
	v_cvt_f32_u32_e32 v1, s16
	s_sub_co_i32 s7, 0, s16
	s_delay_alu instid0(VALU_DEP_1) | instskip(NEXT) | instid1(TRANS32_DEP_1)
	v_rcp_iflag_f32_e32 v1, v1
	v_mul_f32_e32 v1, 0x4f7ffffe, v1
	s_delay_alu instid0(VALU_DEP_1) | instskip(NEXT) | instid1(VALU_DEP_1)
	v_cvt_u32_f32_e32 v1, v1
	v_readfirstlane_b32 s3, v1
	s_wait_alu 0xfffe
	s_mul_i32 s7, s7, s3
	s_wait_alu 0xfffe
	s_mul_hi_u32 s7, s3, s7
	s_wait_alu 0xfffe
	s_add_co_i32 s3, s3, s7
	s_delay_alu instid0(SALU_CYCLE_1) | instskip(NEXT) | instid1(SALU_CYCLE_1)
	s_mul_hi_u32 s3, s2, s3
	s_mul_i32 s7, s3, s16
	s_wait_alu 0xfffe
	s_sub_co_i32 s2, s2, s7
	s_add_co_i32 s7, s3, 1
	s_sub_co_i32 s8, s2, s16
	s_cmp_ge_u32 s2, s16
	s_wait_alu 0xfffe
	s_cselect_b32 s3, s7, s3
	s_cselect_b32 s2, s8, s2
	s_add_co_i32 s7, s3, 1
	s_cmp_ge_u32 s2, s16
	s_wait_alu 0xfffe
	s_cselect_b32 s20, s7, s3
.LBB26_3:
	s_add_co_i32 s2, ttmp9, 1
	s_mov_b32 s8, 0
	s_ashr_i32 s3, s2, 31
	s_delay_alu instid0(SALU_CYCLE_1) | instskip(NEXT) | instid1(SALU_CYCLE_1)
	s_mul_u64 s[2:3], s[18:19], s[2:3]
	s_mov_b32 s9, s3
	s_delay_alu instid0(SALU_CYCLE_1)
	s_cmp_lg_u64 s[8:9], 0
	s_cbranch_scc0 .LBB26_22
; %bb.4:
	s_add_nc_u64 s[10:11], s[16:17], 0
	s_mov_b32 s23, s8
	s_xor_b64 s[10:11], s[10:11], 0
	s_mov_b32 s27, s8
	s_cvt_f32_u32 s7, s10
	s_cvt_f32_u32 s9, s11
	s_sub_nc_u64 s[14:15], 0, s[10:11]
	s_wait_alu 0xfffe
	s_delay_alu instid0(SALU_CYCLE_1) | instskip(SKIP_1) | instid1(SALU_CYCLE_2)
	s_fmamk_f32 s7, s9, 0x4f800000, s7
	s_wait_alu 0xfffe
	v_s_rcp_f32 s7, s7
	s_delay_alu instid0(TRANS32_DEP_1) | instskip(SKIP_1) | instid1(SALU_CYCLE_2)
	s_mul_f32 s7, s7, 0x5f7ffffc
	s_wait_alu 0xfffe
	s_mul_f32 s9, s7, 0x2f800000
	s_delay_alu instid0(SALU_CYCLE_3) | instskip(NEXT) | instid1(SALU_CYCLE_3)
	s_trunc_f32 s9, s9
	s_fmamk_f32 s7, s9, 0xcf800000, s7
	s_cvt_u32_f32 s13, s9
	s_wait_alu 0xfffe
	s_delay_alu instid0(SALU_CYCLE_1) | instskip(NEXT) | instid1(SALU_CYCLE_3)
	s_cvt_u32_f32 s12, s7
	s_mul_u64 s[24:25], s[14:15], s[12:13]
	s_delay_alu instid0(SALU_CYCLE_1)
	s_mul_hi_u32 s29, s12, s25
	s_mul_i32 s28, s12, s25
	s_mul_hi_u32 s22, s12, s24
	s_mul_i32 s9, s13, s24
	s_add_nc_u64 s[22:23], s[22:23], s[28:29]
	s_mul_hi_u32 s7, s13, s24
	s_mul_hi_u32 s21, s13, s25
	s_add_co_u32 s9, s22, s9
	s_wait_alu 0xfffe
	s_add_co_ci_u32 s26, s23, s7
	s_mul_i32 s24, s13, s25
	s_add_co_ci_u32 s25, s21, 0
	s_delay_alu instid0(SALU_CYCLE_1)
	s_add_nc_u64 s[22:23], s[26:27], s[24:25]
	s_mov_b32 s25, s8
	s_add_co_u32 s12, s12, s22
	s_cselect_b32 s7, -1, 0
	s_wait_alu 0xfffe
	s_cmp_lg_u32 s7, 0
	s_add_co_ci_u32 s13, s13, s23
	s_mov_b32 s23, s8
	s_mul_u64 s[14:15], s[14:15], s[12:13]
	s_delay_alu instid0(SALU_CYCLE_1)
	s_mul_hi_u32 s27, s12, s15
	s_mul_i32 s26, s12, s15
	s_mul_hi_u32 s22, s12, s14
	s_mul_i32 s9, s13, s14
	s_add_nc_u64 s[22:23], s[22:23], s[26:27]
	s_mul_hi_u32 s7, s13, s14
	s_mul_hi_u32 s21, s13, s15
	s_add_co_u32 s9, s22, s9
	s_wait_alu 0xfffe
	s_add_co_ci_u32 s24, s23, s7
	s_mul_i32 s14, s13, s15
	s_add_co_ci_u32 s15, s21, 0
	s_mov_b32 s23, s8
	s_add_nc_u64 s[14:15], s[24:25], s[14:15]
	s_delay_alu instid0(SALU_CYCLE_1) | instskip(SKIP_1) | instid1(SALU_CYCLE_1)
	s_add_co_u32 s7, s12, s14
	s_cselect_b32 s9, -1, 0
	s_cmp_lg_u32 s9, 0
	s_add_co_ci_u32 s9, s13, s15
	s_ashr_i32 s12, s3, 31
	s_delay_alu instid0(SALU_CYCLE_1) | instskip(NEXT) | instid1(SALU_CYCLE_1)
	s_mov_b32 s13, s12
	s_add_nc_u64 s[14:15], s[2:3], s[12:13]
	s_delay_alu instid0(SALU_CYCLE_1) | instskip(NEXT) | instid1(SALU_CYCLE_1)
	s_xor_b64 s[14:15], s[14:15], s[12:13]
	s_mul_hi_u32 s27, s14, s9
	s_mul_i32 s26, s14, s9
	s_wait_alu 0xfffe
	s_mul_hi_u32 s22, s14, s7
	s_mul_hi_u32 s21, s15, s7
	s_mul_i32 s7, s15, s7
	s_add_nc_u64 s[22:23], s[22:23], s[26:27]
	s_mul_hi_u32 s3, s15, s9
	s_wait_alu 0xfffe
	s_add_co_u32 s7, s22, s7
	s_add_co_ci_u32 s24, s23, s21
	s_mul_i32 s26, s15, s9
	s_add_co_ci_u32 s27, s3, 0
	s_delay_alu instid0(SALU_CYCLE_1) | instskip(NEXT) | instid1(SALU_CYCLE_1)
	s_add_nc_u64 s[22:23], s[24:25], s[26:27]
	s_mul_u64 s[24:25], s[10:11], s[22:23]
	s_add_nc_u64 s[26:27], s[22:23], 1
	s_sub_co_u32 s3, s14, s24
	s_cselect_b32 s7, -1, 0
	s_sub_co_i32 s9, s15, s25
	s_wait_alu 0xfffe
	s_cmp_lg_u32 s7, 0
	s_add_nc_u64 s[28:29], s[22:23], 2
	s_sub_co_ci_u32 s9, s9, s11
	s_sub_co_u32 s14, s3, s10
	s_cselect_b32 s21, -1, 0
	s_delay_alu instid0(SALU_CYCLE_1) | instskip(SKIP_1) | instid1(SALU_CYCLE_1)
	s_cmp_lg_u32 s21, 0
	s_sub_co_ci_u32 s9, s9, 0
	s_cmp_ge_u32 s9, s11
	s_cselect_b32 s21, -1, 0
	s_cmp_ge_u32 s14, s10
	s_cselect_b32 s14, -1, 0
	s_cmp_eq_u32 s9, s11
	s_cselect_b32 s9, s14, s21
	s_delay_alu instid0(SALU_CYCLE_1)
	s_cmp_lg_u32 s9, 0
	s_cselect_b32 s9, s28, s26
	s_cselect_b32 s14, s29, s27
	s_cmp_lg_u32 s7, 0
	s_sub_co_ci_u32 s7, s15, s25
	s_wait_alu 0xfffe
	s_cmp_ge_u32 s7, s11
	s_cselect_b32 s15, -1, 0
	s_cmp_ge_u32 s3, s10
	s_cselect_b32 s3, -1, 0
	s_cmp_eq_u32 s7, s11
	s_cselect_b32 s3, s3, s15
	s_delay_alu instid0(SALU_CYCLE_1) | instskip(SKIP_3) | instid1(SALU_CYCLE_1)
	s_cmp_lg_u32 s3, 0
	s_cselect_b32 s11, s14, s23
	s_cselect_b32 s10, s9, s22
	s_xor_b64 s[12:13], s[12:13], 0
	s_xor_b64 s[10:11], s[10:11], s[12:13]
	s_delay_alu instid0(SALU_CYCLE_1)
	s_sub_nc_u64 s[10:11], s[10:11], s[12:13]
	s_load_b96 s[12:14], s[0:1], 0x44
	s_and_not1_b32 vcc_lo, exec_lo, s8
	s_cbranch_vccnz .LBB26_6
.LBB26_5:
	v_cvt_f32_u32_e32 v1, s16
	s_sub_co_i32 s7, 0, s16
	s_delay_alu instid0(VALU_DEP_1) | instskip(NEXT) | instid1(TRANS32_DEP_1)
	v_rcp_iflag_f32_e32 v1, v1
	v_mul_f32_e32 v1, 0x4f7ffffe, v1
	s_delay_alu instid0(VALU_DEP_1) | instskip(NEXT) | instid1(VALU_DEP_1)
	v_cvt_u32_f32_e32 v1, v1
	v_readfirstlane_b32 s3, v1
	s_wait_alu 0xfffe
	s_mul_i32 s7, s7, s3
	s_wait_alu 0xfffe
	s_mul_hi_u32 s7, s3, s7
	s_wait_alu 0xfffe
	s_add_co_i32 s3, s3, s7
	s_delay_alu instid0(SALU_CYCLE_1) | instskip(NEXT) | instid1(SALU_CYCLE_1)
	s_mul_hi_u32 s3, s2, s3
	s_mul_i32 s7, s3, s16
	s_wait_alu 0xfffe
	s_sub_co_i32 s2, s2, s7
	s_add_co_i32 s7, s3, 1
	s_sub_co_i32 s8, s2, s16
	s_cmp_ge_u32 s2, s16
	s_wait_alu 0xfffe
	s_cselect_b32 s3, s7, s3
	s_cselect_b32 s2, s8, s2
	s_add_co_i32 s7, s3, 1
	s_cmp_ge_u32 s2, s16
	s_wait_alu 0xfffe
	s_cselect_b32 s10, s7, s3
.LBB26_6:
	s_mov_b32 s21, 0
	s_wait_kmcnt 0x0
	s_mov_b32 s22, s12
	s_mov_b32 s23, s21
	s_cmp_eq_u32 s20, s10
	s_mul_u64 s[2:3], s[20:21], s[22:23]
	s_cselect_b32 s7, -1, 0
	s_add_co_i32 s2, s3, s20
	s_mov_b32 s11, s21
	s_lshr_b32 s12, s2, s13
	s_mul_u64 s[2:3], s[10:11], s[22:23]
	s_mul_i32 s2, s12, s14
	s_delay_alu instid0(SALU_CYCLE_1) | instskip(SKIP_2) | instid1(SALU_CYCLE_1)
	s_cmp_eq_u32 s2, s20
	s_cselect_b32 s2, -1, 0
	s_add_co_i32 s3, s3, s10
	s_lshr_b32 s3, s3, s13
	s_delay_alu instid0(SALU_CYCLE_1)
	s_cmp_eq_u32 s12, s3
	s_mul_i32 s3, s3, s14
	s_cselect_b32 s8, -1, 0
	s_cmp_lg_u32 s3, s10
	s_cselect_b32 s3, -1, 0
	s_wait_alu 0xfffe
	s_or_b32 s2, s7, s2
	s_and_b32 s3, s8, s3
	s_delay_alu instid0(SALU_CYCLE_1) | instskip(NEXT) | instid1(SALU_CYCLE_1)
	s_or_b32 s2, s2, s3
	s_and_b32 vcc_lo, exec_lo, s2
	s_cbranch_vccnz .LBB26_24
; %bb.7:
	s_load_b256 s[24:31], s[0:1], 0x20
	s_mov_b32 s3, s21
	s_wait_kmcnt 0x0
	s_mov_b32 s2, s24
	s_delay_alu instid0(SALU_CYCLE_1) | instskip(NEXT) | instid1(SALU_CYCLE_1)
	s_mul_u64 s[2:3], s[20:21], s[2:3]
	s_add_co_i32 s2, s3, s20
	s_delay_alu instid0(SALU_CYCLE_1) | instskip(SKIP_2) | instid1(SALU_CYCLE_1)
	s_lshr_b32 s7, s2, s25
	s_load_b32 s2, s[0:1], 0x40
	s_mul_i32 s3, s7, s26
	s_sub_co_i32 s3, s20, s3
	s_delay_alu instid0(SALU_CYCLE_1) | instskip(NEXT) | instid1(SALU_CYCLE_1)
	s_mul_hi_u32 s8, s3, s27
	s_add_co_i32 s8, s3, s8
	s_delay_alu instid0(SALU_CYCLE_1) | instskip(NEXT) | instid1(SALU_CYCLE_1)
	s_lshr_b32 s8, s8, s28
	s_mul_i32 s9, s8, s29
	s_delay_alu instid0(SALU_CYCLE_1) | instskip(NEXT) | instid1(SALU_CYCLE_1)
	s_sub_co_i32 s9, s3, s9
	s_mul_hi_u32 s3, s9, s30
	s_delay_alu instid0(SALU_CYCLE_1) | instskip(NEXT) | instid1(SALU_CYCLE_1)
	s_add_co_i32 s3, s9, s3
	s_lshr_b32 s24, s3, s31
	s_mov_b32 s3, s21
	s_wait_kmcnt 0x0
	s_mul_i32 s2, s24, s2
	s_lshl_b32 s21, s24, 2
	s_sub_co_i32 s2, s9, s2
	s_delay_alu instid0(SALU_CYCLE_1) | instskip(SKIP_2) | instid1(SALU_CYCLE_1)
	s_mul_u64 s[10:11], s[2:3], s[22:23]
	s_lshr_b32 s3, ttmp7, 16
	s_add_co_i32 s2, s2, s11
	s_lshr_b32 s15, s2, s13
	s_and_b32 s2, ttmp7, 0xffff
	s_lshl_b32 s9, s15, 2
	s_delay_alu instid0(SALU_CYCLE_1) | instskip(NEXT) | instid1(SALU_CYCLE_1)
	s_add_co_i32 s9, s9, s2
	s_cmp_lt_i32 s9, s4
	s_cselect_b32 s9, -1, 0
	s_add_co_i32 s10, s21, s3
	s_delay_alu instid0(SALU_CYCLE_1) | instskip(SKIP_1) | instid1(SALU_CYCLE_1)
	s_cmp_lt_i32 s10, s6
	s_cselect_b32 s10, -1, 0
	s_and_b32 s9, s9, s10
	s_delay_alu instid0(SALU_CYCLE_1)
	s_and_not1_b32 vcc_lo, exec_lo, s9
	s_cbranch_vccnz .LBB26_24
; %bb.8:
	s_mul_i32 s4, s7, s4
	s_mul_i32 s6, s8, s6
	s_add_co_i32 s4, s4, s2
	s_load_b128 s[8:11], s[0:1], 0x0
	s_mul_i32 s4, s4, s5
	s_mul_i32 s1, s5, s15
	s_add_co_i32 s4, s4, s3
	s_lshl_b32 s1, s1, 9
	s_add_co_i32 s0, s4, s6
	s_lshl_b32 s15, s2, 2
	s_add_co_i32 s0, s0, s21
	s_add_co_i32 s15, s15, s3
	s_lshl_b32 s0, s0, 7
	v_cvt_f32_u32_e32 v4, s16
	s_add_co_i32 s1, s1, s0
	s_add_co_i32 s34, ttmp9, -1
	v_or_b32_e32 v1, s1, v0
	s_add_nc_u64 s[0:1], s[16:17], 0
	v_rcp_iflag_f32_e32 v4, v4
	s_wait_alu 0xfffe
	s_xor_b64 s[6:7], s[0:1], 0
	s_lshl_b32 s0, ttmp9, 4
	v_ashrrev_i32_e32 v2, 31, v1
	s_wait_alu 0xfffe
	s_cvt_f32_u32 s1, s6
	s_cvt_f32_u32 s2, s7
	s_add_co_i32 s0, s15, s0
	v_lshl_or_b32 v0, s15, 7, v0
	v_lshlrev_b64_e32 v[1:2], 2, v[1:2]
	s_wait_alu 0xfffe
	s_fmamk_f32 s2, s2, 0x4f800000, s1
	s_ashr_i32 s1, s0, 31
	s_sub_nc_u64 s[30:31], 0, s[6:7]
	s_wait_alu 0xfffe
	s_lshl_b64 s[0:1], s[0:1], 3
	v_s_rcp_f32 s2, s2
	s_wait_kmcnt 0x0
	v_add_co_u32 v1, vcc_lo, s8, v1
	s_delay_alu instid0(VALU_DEP_1)
	v_add_co_ci_u32_e64 v2, null, s9, v2, vcc_lo
	s_wait_alu 0xfffe
	s_add_nc_u64 s[0:1], s[10:11], s[0:1]
	s_mov_b32 s8, 0
	s_load_b64 s[26:27], s[0:1], 0x0
	global_load_b32 v3, v[1:2], off
	s_mul_f32 s2, s2, 0x5f7ffffc
	v_mul_f32_e32 v4, 0x4f7ffffe, v4
	s_lshl_b32 s0, s16, 6
	s_wait_alu 0xfffe
	s_mul_f32 s1, s2, 0x2f800000
	s_wait_alu 0xfffe
	s_delay_alu instid0(SALU_CYCLE_2)
	s_trunc_f32 s3, s1
	s_mov_b32 s1, s8
	s_wait_alu 0xfffe
	s_lshl_b64 s[0:1], s[0:1], 2
	s_fmamk_f32 s2, s3, 0xcf800000, s2
	s_cvt_u32_f32 s29, s3
	s_wait_alu 0xfffe
	s_add_nc_u64 s[24:25], s[10:11], s[0:1]
	s_cvt_u32_f32 s28, s2
	s_wait_kmcnt 0x0
	v_mov_b32_e32 v5, s27
	v_cvt_u32_f32_e32 v4, v4
.LBB26_9:                               ; =>This Inner Loop Header: Depth=1
	s_wait_alu 0xfffe
	s_ashr_i32 s35, s34, 31
	s_mov_b32 s2, -1
	s_wait_alu 0xfffe
	s_mul_u64 s[0:1], s[34:35], s[18:19]
                                        ; implicit-def: $sgpr38_sgpr39
	s_wait_alu 0xfffe
	s_mov_b32 s9, s1
	s_wait_alu 0xfffe
	s_cmp_lg_u64 s[8:9], 0
	s_cbranch_scc0 .LBB26_11
; %bb.10:                               ;   in Loop: Header=BB26_9 Depth=1
	s_mul_u64 s[2:3], s[30:31], s[28:29]
	s_mov_b32 s37, s8
	s_wait_alu 0xfffe
	s_mul_hi_u32 s5, s28, s3
	s_mul_i32 s4, s28, s3
	s_mul_hi_u32 s36, s28, s2
	s_mul_hi_u32 s9, s29, s2
	s_wait_alu 0xfffe
	s_add_nc_u64 s[4:5], s[36:37], s[4:5]
	s_mul_i32 s2, s29, s2
	s_mul_hi_u32 s17, s29, s3
	s_wait_alu 0xfffe
	s_add_co_u32 s2, s4, s2
	s_add_co_ci_u32 s2, s5, s9
	s_add_co_ci_u32 s5, s17, 0
	s_mul_i32 s4, s29, s3
	s_mov_b32 s3, s8
	s_mov_b32 s39, s8
	s_wait_alu 0xfffe
	s_add_nc_u64 s[2:3], s[2:3], s[4:5]
	s_wait_alu 0xfffe
	s_add_co_u32 s2, s28, s2
	s_cselect_b32 s4, -1, 0
	s_wait_alu 0xfffe
	s_cmp_lg_u32 s4, 0
	s_add_co_ci_u32 s3, s29, s3
	s_wait_alu 0xfffe
	s_mul_u64 s[4:5], s[30:31], s[2:3]
	s_wait_alu 0xfffe
	s_mul_hi_u32 s37, s2, s5
	s_mul_i32 s36, s2, s5
	s_mul_hi_u32 s38, s2, s4
	s_mul_hi_u32 s9, s3, s4
	s_mul_i32 s4, s3, s4
	s_wait_alu 0xfffe
	s_add_nc_u64 s[36:37], s[38:39], s[36:37]
	s_mul_hi_u32 s17, s3, s5
	s_wait_alu 0xfffe
	s_add_co_u32 s4, s36, s4
	s_add_co_ci_u32 s4, s37, s9
	s_add_co_ci_u32 s37, s17, 0
	s_mul_i32 s36, s3, s5
	s_mov_b32 s5, s8
	s_wait_alu 0xfffe
	s_add_nc_u64 s[4:5], s[4:5], s[36:37]
	s_mov_b32 s37, s8
	s_wait_alu 0xfffe
	s_add_co_u32 s9, s2, s4
	s_cselect_b32 s2, -1, 0
	s_wait_alu 0xfffe
	s_cmp_lg_u32 s2, 0
	s_add_co_ci_u32 s17, s3, s5
	s_ashr_i32 s2, s1, 31
	s_wait_alu 0xfffe
	s_mov_b32 s3, s2
	s_wait_alu 0xfffe
	s_add_nc_u64 s[4:5], s[0:1], s[2:3]
	s_wait_alu 0xfffe
	s_xor_b64 s[4:5], s[4:5], s[2:3]
	s_wait_alu 0xfffe
	s_mul_hi_u32 s39, s4, s17
	s_mul_i32 s38, s4, s17
	s_mul_hi_u32 s36, s4, s9
	s_mul_i32 s21, s5, s9
	s_wait_alu 0xfffe
	s_add_nc_u64 s[36:37], s[36:37], s[38:39]
	s_mul_hi_u32 s9, s5, s9
	s_mul_hi_u32 s1, s5, s17
	s_wait_alu 0xfffe
	s_add_co_u32 s21, s36, s21
	s_add_co_ci_u32 s36, s37, s9
	s_add_co_ci_u32 s39, s1, 0
	s_mul_i32 s38, s5, s17
	s_mov_b32 s37, s8
	s_wait_alu 0xfffe
	s_add_nc_u64 s[36:37], s[36:37], s[38:39]
	s_wait_alu 0xfffe
	s_mul_u64 s[38:39], s[6:7], s[36:37]
	s_add_nc_u64 s[40:41], s[36:37], 1
	s_sub_co_u32 s1, s4, s38
	s_cselect_b32 s4, -1, 0
	s_sub_co_i32 s9, s5, s39
	s_wait_alu 0xfffe
	s_cmp_lg_u32 s4, 0
	s_add_nc_u64 s[42:43], s[36:37], 2
	s_sub_co_ci_u32 s9, s9, s7
	s_sub_co_u32 s17, s1, s6
	s_cselect_b32 s21, -1, 0
	s_delay_alu instid0(SALU_CYCLE_1)
	s_cmp_lg_u32 s21, 0
	s_wait_alu 0xfffe
	s_sub_co_ci_u32 s9, s9, 0
	s_wait_alu 0xfffe
	s_cmp_ge_u32 s9, s7
	s_cselect_b32 s21, -1, 0
	s_cmp_ge_u32 s17, s6
	s_cselect_b32 s17, -1, 0
	s_cmp_eq_u32 s9, s7
	s_wait_alu 0xfffe
	s_cselect_b32 s9, s17, s21
	s_wait_alu 0xfffe
	s_cmp_lg_u32 s9, 0
	s_cselect_b32 s9, s42, s40
	s_cselect_b32 s17, s43, s41
	s_cmp_lg_u32 s4, 0
	s_sub_co_ci_u32 s4, s5, s39
	s_wait_alu 0xfffe
	s_cmp_ge_u32 s4, s7
	s_cselect_b32 s5, -1, 0
	s_cmp_ge_u32 s1, s6
	s_cselect_b32 s1, -1, 0
	s_cmp_eq_u32 s4, s7
	s_wait_alu 0xfffe
	s_cselect_b32 s1, s1, s5
	s_wait_alu 0xfffe
	s_cmp_lg_u32 s1, 0
	s_cselect_b32 s5, s17, s37
	s_cselect_b32 s4, s9, s36
	s_xor_b64 s[2:3], s[2:3], 0
	s_wait_alu 0xfffe
	s_xor_b64 s[4:5], s[4:5], s[2:3]
	s_wait_alu 0xfffe
	s_sub_nc_u64 s[38:39], s[4:5], s[2:3]
	s_mov_b32 s2, 0
.LBB26_11:                              ;   in Loop: Header=BB26_9 Depth=1
	s_wait_alu 0xfffe
	s_and_not1_b32 vcc_lo, exec_lo, s2
	s_wait_alu 0xfffe
	s_cbranch_vccnz .LBB26_13
; %bb.12:                               ;   in Loop: Header=BB26_9 Depth=1
	v_readfirstlane_b32 s1, v4
	s_sub_co_i32 s2, 0, s16
	s_wait_alu 0xfffe
	s_mul_i32 s2, s2, s1
	s_wait_alu 0xfffe
	s_mul_hi_u32 s2, s1, s2
	s_wait_alu 0xfffe
	s_add_co_i32 s1, s1, s2
	s_wait_alu 0xfffe
	s_mul_hi_u32 s1, s0, s1
	s_wait_alu 0xfffe
	s_mul_i32 s2, s1, s16
	s_wait_alu 0xfffe
	s_sub_co_i32 s0, s0, s2
	s_add_co_i32 s2, s1, 1
	s_wait_alu 0xfffe
	s_sub_co_i32 s3, s0, s16
	s_cmp_ge_u32 s0, s16
	s_cselect_b32 s1, s2, s1
	s_wait_alu 0xfffe
	s_cselect_b32 s0, s3, s0
	s_add_co_i32 s2, s1, 1
	s_wait_alu 0xfffe
	s_cmp_ge_u32 s0, s16
	s_cselect_b32 s38, s2, s1
.LBB26_13:                              ;   in Loop: Header=BB26_9 Depth=1
	v_readfirstlane_b32 s9, v0
	s_cmp_lg_u32 s20, s38
	s_mov_b32 s0, -1
                                        ; implicit-def: $sgpr21
                                        ; implicit-def: $vgpr6
                                        ; implicit-def: $vgpr7
                                        ; implicit-def: $sgpr17
                                        ; implicit-def: $sgpr27
	s_cbranch_scc1 .LBB26_16
; %bb.14:                               ;   in Loop: Header=BB26_9 Depth=1
	s_wait_alu 0xfffe
	s_and_not1_b32 vcc_lo, exec_lo, s0
	s_wait_alu 0xfffe
	s_cbranch_vccz .LBB26_19
.LBB26_15:                              ;   in Loop: Header=BB26_9 Depth=1
	s_and_not1_b32 vcc_lo, exec_lo, s21
	s_wait_alu 0xfffe
	s_cbranch_vccnz .LBB26_20
	s_branch .LBB26_23
.LBB26_16:                              ;   in Loop: Header=BB26_9 Depth=1
	s_add_co_i32 s0, s34, s16
	s_mov_b32 s1, s8
	s_wait_alu 0xfffe
	s_lshl_b32 s0, s0, 4
	v_max_num_f32_e64 v6, s26, s26
	s_wait_alu 0xfffe
	s_add_co_i32 s0, s0, s15
	s_mov_b32 s39, s8
	s_wait_alu 0xfffe
	s_lshl_b64 s[0:1], s[0:1], 3
	s_mul_u64 s[40:41], s[38:39], s[22:23]
	s_wait_alu 0xfffe
	s_add_nc_u64 s[0:1], s[10:11], s[0:1]
	s_mov_b32 s27, s20
	s_load_b64 s[36:37], s[0:1], 0x0
	v_readfirstlane_b32 s0, v6
	s_wait_kmcnt 0x0
	v_max_num_f32_e64 v7, s36, s36
	s_delay_alu instid0(VALU_DEP_1) | instskip(SKIP_2) | instid1(SALU_CYCLE_2)
	v_readfirstlane_b32 s1, v7
	s_max_num_f32 s9, s0, s1
	s_wait_alu 0xfffe
	s_sub_f32 s33, s26, s9
	s_sub_f32 s35, s36, s9
	s_wait_alu 0xfffe
	s_delay_alu instid0(SALU_CYCLE_1)
	s_cmp_nlt_f32 s33, 0xc2ce8ed0
	s_cselect_b32 s0, -1, 0
	s_cmp_ngt_f32 s33, 0x42b17218
	s_cselect_b32 s1, -1, 0
	s_cmp_ge_f32 s33, 0xc1a00000
	s_cselect_b32 s2, -1, 0
	s_cmp_nlt_f32 s35, 0xc2ce8ed0
	s_cselect_b32 s3, -1, 0
	s_cmp_ngt_f32 s35, 0x42b17218
	s_cselect_b32 s4, -1, 0
	s_cmp_ge_f32 s35, 0xc1a00000
	s_cselect_b32 s5, -1, 0
	s_add_co_i32 s17, s41, s38
	s_wait_alu 0xfffe
	s_lshr_b32 s17, s17, s13
	s_wait_alu 0xfffe
	s_mul_i32 s21, s17, s14
	s_delay_alu instid0(SALU_CYCLE_1)
	s_cmp_eq_u32 s21, s38
	s_cselect_b32 s21, -1, 0
	s_cmp_lt_u32 s17, s12
	s_cselect_b32 s17, -1, 0
	s_wait_alu 0xfffe
	s_or_b32 s17, s17, s21
	s_mov_b32 s21, -1
	s_wait_alu 0xfffe
	s_and_b32 vcc_lo, exec_lo, s17
	s_mov_b32 s17, s34
	s_wait_alu 0xfffe
	s_cbranch_vccnz .LBB26_18
; %bb.17:                               ;   in Loop: Header=BB26_9 Depth=1
	s_add_co_i32 s17, s34, -1
	s_mov_b32 s21, 0
	s_mov_b32 s27, s38
.LBB26_18:                              ;   in Loop: Header=BB26_9 Depth=1
	v_lshl_add_u32 v6, s34, 11, v0
	s_mul_f32 s36, s35, 0x3fb8aa3b
	s_mul_f32 s38, s33, 0x3fb8aa3b
	s_wait_alu 0xfffe
	s_delay_alu instid0(SALU_CYCLE_1)
	s_xor_b32 s39, s36, 0x80000000
	v_ashrrev_i32_e32 v7, 31, v6
	s_rndne_f32 s40, s36
	s_fmamk_f32 s39, s35, 0x3fb8aa3b, s39
	s_xor_b32 s41, s38, 0x80000000
	s_rndne_f32 s42, s38
	v_lshlrev_b64_e32 v[6:7], 2, v[6:7]
	s_sub_f32 s36, s36, s40
	s_fmamk_f32 s35, s35, 0x32a5705f, s39
	s_fmamk_f32 s39, s33, 0x3fb8aa3b, s41
	s_sub_f32 s38, s38, s42
	s_delay_alu instid0(VALU_DEP_1)
	v_add_co_u32 v6, vcc_lo, s24, v6
	s_wait_alu 0xfffd
	v_add_co_ci_u32_e64 v7, null, s25, v7, vcc_lo
	s_wait_alu 0xfffe
	s_add_f32 s35, s36, s35
	s_fmamk_f32 s33, s33, 0x32a5705f, s39
	s_cvt_i32_f32 s36, s40
	global_load_b32 v6, v[6:7], off
	s_wait_alu 0xfffe
	v_s_exp_f32 s35, s35
	s_add_f32 s33, s38, s33
	s_wait_alu 0xfffe
	s_delay_alu instid0(SALU_CYCLE_2) | instskip(NEXT) | instid1(TRANS32_DEP_2)
	v_s_exp_f32 s33, s33
	v_ldexp_f32 v7, s35, s36
	s_cvt_i32_f32 s35, s42
	s_wait_alu 0xf1fe
	s_delay_alu instid0(TRANS32_DEP_1) | instid1(SALU_CYCLE_2)
	v_ldexp_f32 v8, s33, s35
	s_delay_alu instid0(VALU_DEP_2) | instskip(NEXT) | instid1(VALU_DEP_2)
	v_cndmask_b32_e64 v7, 0, v7, s3
	v_cndmask_b32_e64 v8, 0, v8, s0
	s_delay_alu instid0(VALU_DEP_2) | instskip(NEXT) | instid1(VALU_DEP_2)
	v_cndmask_b32_e64 v7, 0x7f800000, v7, s4
	v_cndmask_b32_e64 v8, 0x7f800000, v8, s1
	;; [unrolled: 3-line block ×3, first 2 shown]
	s_wait_loadcnt 0x0
	s_delay_alu instid0(VALU_DEP_2) | instskip(SKIP_1) | instid1(VALU_DEP_1)
	v_mul_f32_e32 v6, v6, v7
	v_mul_f32_e32 v7, s37, v7
	v_fmac_f32_e32 v7, v5, v8
	s_delay_alu instid0(VALU_DEP_3)
	v_fmac_f32_e32 v6, v3, v8
	s_cbranch_execnz .LBB26_15
.LBB26_19:                              ;   in Loop: Header=BB26_9 Depth=1
	s_wait_loadcnt 0x0
	v_dual_mov_b32 v7, v5 :: v_dual_mov_b32 v6, v3
	s_add_co_i32 s17, s34, -1
	s_mov_b32 s27, s20
	s_mov_b32 s9, s26
	s_cbranch_execz .LBB26_23
.LBB26_20:                              ;   in Loop: Header=BB26_9 Depth=1
	v_mov_b32_e32 v5, v7
	s_wait_loadcnt 0x0
	v_mov_b32_e32 v3, v6
	s_wait_alu 0xfffe
	s_mov_b32 s20, s27
	s_mov_b32 s34, s17
	;; [unrolled: 1-line block ×3, first 2 shown]
	s_branch .LBB26_9
.LBB26_21:
                                        ; implicit-def: $sgpr20_sgpr21
	s_branch .LBB26_2
.LBB26_22:
                                        ; implicit-def: $sgpr10_sgpr11
	s_load_b96 s[12:14], s[0:1], 0x44
	s_branch .LBB26_5
.LBB26_23:
	v_div_scale_f32 v0, null, v7, v7, v6
	s_wait_loadcnt 0x0
	s_delay_alu instid0(VALU_DEP_1) | instskip(NEXT) | instid1(TRANS32_DEP_1)
	v_rcp_f32_e32 v3, v0
	v_fma_f32 v4, -v0, v3, 1.0
	s_delay_alu instid0(VALU_DEP_1) | instskip(SKIP_1) | instid1(VALU_DEP_1)
	v_fmac_f32_e32 v3, v4, v3
	v_div_scale_f32 v4, vcc_lo, v6, v7, v6
	v_mul_f32_e32 v5, v4, v3
	s_delay_alu instid0(VALU_DEP_1) | instskip(NEXT) | instid1(VALU_DEP_1)
	v_fma_f32 v8, -v0, v5, v4
	v_fmac_f32_e32 v5, v8, v3
	s_delay_alu instid0(VALU_DEP_1) | instskip(SKIP_1) | instid1(VALU_DEP_1)
	v_fma_f32 v0, -v0, v5, v4
	s_wait_alu 0xfffd
	v_div_fmas_f32 v0, v0, v3, v5
	s_delay_alu instid0(VALU_DEP_1)
	v_div_fixup_f32 v0, v0, v7, v6
	global_store_b32 v[1:2], v0, off
.LBB26_24:
	s_endpgm
	.section	.rodata,"a",@progbits
	.p2align	6, 0x0
	.amdhsa_kernel _ZL33flash_attn_stream_k_fixup_generalILi128ELi4ELi4EEvPfPK15HIP_vector_typeIfLj2EEiiiiS1_IjLj3EES5_S5_S5_
		.amdhsa_group_segment_fixed_size 0
		.amdhsa_private_segment_fixed_size 0
		.amdhsa_kernarg_size 336
		.amdhsa_user_sgpr_count 2
		.amdhsa_user_sgpr_dispatch_ptr 0
		.amdhsa_user_sgpr_queue_ptr 0
		.amdhsa_user_sgpr_kernarg_segment_ptr 1
		.amdhsa_user_sgpr_dispatch_id 0
		.amdhsa_user_sgpr_private_segment_size 0
		.amdhsa_wavefront_size32 1
		.amdhsa_uses_dynamic_stack 0
		.amdhsa_enable_private_segment 0
		.amdhsa_system_sgpr_workgroup_id_x 1
		.amdhsa_system_sgpr_workgroup_id_y 1
		.amdhsa_system_sgpr_workgroup_id_z 1
		.amdhsa_system_sgpr_workgroup_info 0
		.amdhsa_system_vgpr_workitem_id 0
		.amdhsa_next_free_vgpr 9
		.amdhsa_next_free_sgpr 44
		.amdhsa_reserve_vcc 1
		.amdhsa_float_round_mode_32 0
		.amdhsa_float_round_mode_16_64 0
		.amdhsa_float_denorm_mode_32 3
		.amdhsa_float_denorm_mode_16_64 3
		.amdhsa_fp16_overflow 0
		.amdhsa_workgroup_processor_mode 1
		.amdhsa_memory_ordered 1
		.amdhsa_forward_progress 1
		.amdhsa_inst_pref_size 28
		.amdhsa_round_robin_scheduling 0
		.amdhsa_exception_fp_ieee_invalid_op 0
		.amdhsa_exception_fp_denorm_src 0
		.amdhsa_exception_fp_ieee_div_zero 0
		.amdhsa_exception_fp_ieee_overflow 0
		.amdhsa_exception_fp_ieee_underflow 0
		.amdhsa_exception_fp_ieee_inexact 0
		.amdhsa_exception_int_div_zero 0
	.end_amdhsa_kernel
	.section	.text._ZL33flash_attn_stream_k_fixup_generalILi128ELi4ELi4EEvPfPK15HIP_vector_typeIfLj2EEiiiiS1_IjLj3EES5_S5_S5_,"axG",@progbits,_ZL33flash_attn_stream_k_fixup_generalILi128ELi4ELi4EEvPfPK15HIP_vector_typeIfLj2EEiiiiS1_IjLj3EES5_S5_S5_,comdat
.Lfunc_end26:
	.size	_ZL33flash_attn_stream_k_fixup_generalILi128ELi4ELi4EEvPfPK15HIP_vector_typeIfLj2EEiiiiS1_IjLj3EES5_S5_S5_, .Lfunc_end26-_ZL33flash_attn_stream_k_fixup_generalILi128ELi4ELi4EEvPfPK15HIP_vector_typeIfLj2EEiiiiS1_IjLj3EES5_S5_S5_
                                        ; -- End function
	.set _ZL33flash_attn_stream_k_fixup_generalILi128ELi4ELi4EEvPfPK15HIP_vector_typeIfLj2EEiiiiS1_IjLj3EES5_S5_S5_.num_vgpr, 9
	.set _ZL33flash_attn_stream_k_fixup_generalILi128ELi4ELi4EEvPfPK15HIP_vector_typeIfLj2EEiiiiS1_IjLj3EES5_S5_S5_.num_agpr, 0
	.set _ZL33flash_attn_stream_k_fixup_generalILi128ELi4ELi4EEvPfPK15HIP_vector_typeIfLj2EEiiiiS1_IjLj3EES5_S5_S5_.numbered_sgpr, 44
	.set _ZL33flash_attn_stream_k_fixup_generalILi128ELi4ELi4EEvPfPK15HIP_vector_typeIfLj2EEiiiiS1_IjLj3EES5_S5_S5_.num_named_barrier, 0
	.set _ZL33flash_attn_stream_k_fixup_generalILi128ELi4ELi4EEvPfPK15HIP_vector_typeIfLj2EEiiiiS1_IjLj3EES5_S5_S5_.private_seg_size, 0
	.set _ZL33flash_attn_stream_k_fixup_generalILi128ELi4ELi4EEvPfPK15HIP_vector_typeIfLj2EEiiiiS1_IjLj3EES5_S5_S5_.uses_vcc, 1
	.set _ZL33flash_attn_stream_k_fixup_generalILi128ELi4ELi4EEvPfPK15HIP_vector_typeIfLj2EEiiiiS1_IjLj3EES5_S5_S5_.uses_flat_scratch, 0
	.set _ZL33flash_attn_stream_k_fixup_generalILi128ELi4ELi4EEvPfPK15HIP_vector_typeIfLj2EEiiiiS1_IjLj3EES5_S5_S5_.has_dyn_sized_stack, 0
	.set _ZL33flash_attn_stream_k_fixup_generalILi128ELi4ELi4EEvPfPK15HIP_vector_typeIfLj2EEiiiiS1_IjLj3EES5_S5_S5_.has_recursion, 0
	.set _ZL33flash_attn_stream_k_fixup_generalILi128ELi4ELi4EEvPfPK15HIP_vector_typeIfLj2EEiiiiS1_IjLj3EES5_S5_S5_.has_indirect_call, 0
	.section	.AMDGPU.csdata,"",@progbits
; Kernel info:
; codeLenInByte = 3548
; TotalNumSgprs: 46
; NumVgprs: 9
; ScratchSize: 0
; MemoryBound: 0
; FloatMode: 240
; IeeeMode: 1
; LDSByteSize: 0 bytes/workgroup (compile time only)
; SGPRBlocks: 0
; VGPRBlocks: 1
; NumSGPRsForWavesPerEU: 46
; NumVGPRsForWavesPerEU: 9
; Occupancy: 16
; WaveLimiterHint : 0
; COMPUTE_PGM_RSRC2:SCRATCH_EN: 0
; COMPUTE_PGM_RSRC2:USER_SGPR: 2
; COMPUTE_PGM_RSRC2:TRAP_HANDLER: 0
; COMPUTE_PGM_RSRC2:TGID_X_EN: 1
; COMPUTE_PGM_RSRC2:TGID_Y_EN: 1
; COMPUTE_PGM_RSRC2:TGID_Z_EN: 1
; COMPUTE_PGM_RSRC2:TIDIG_COMP_CNT: 0
	.section	.text._ZL15flash_attn_tileILi128ELi128ELi2ELi4ELb0EEvPKcS1_S1_S1_S1_PKiPfP15HIP_vector_typeIfLj2EEffffjfiS5_IjLj3EEiiiiiiiiiiiliiliiiiil,"axG",@progbits,_ZL15flash_attn_tileILi128ELi128ELi2ELi4ELb0EEvPKcS1_S1_S1_S1_PKiPfP15HIP_vector_typeIfLj2EEffffjfiS5_IjLj3EEiiiiiiiiiiiliiliiiiil,comdat
	.globl	_ZL15flash_attn_tileILi128ELi128ELi2ELi4ELb0EEvPKcS1_S1_S1_S1_PKiPfP15HIP_vector_typeIfLj2EEffffjfiS5_IjLj3EEiiiiiiiiiiiliiliiiiil ; -- Begin function _ZL15flash_attn_tileILi128ELi128ELi2ELi4ELb0EEvPKcS1_S1_S1_S1_PKiPfP15HIP_vector_typeIfLj2EEffffjfiS5_IjLj3EEiiiiiiiiiiiliiliiiiil
	.p2align	8
	.type	_ZL15flash_attn_tileILi128ELi128ELi2ELi4ELb0EEvPKcS1_S1_S1_S1_PKiPfP15HIP_vector_typeIfLj2EEffffjfiS5_IjLj3EEiiiiiiiiiiiliiliiiiil,@function
_ZL15flash_attn_tileILi128ELi128ELi2ELi4ELb0EEvPKcS1_S1_S1_S1_PKiPfP15HIP_vector_typeIfLj2EEffffjfiS5_IjLj3EEiiiiiiiiiiiliiliiiiil: ; @_ZL15flash_attn_tileILi128ELi128ELi2ELi4ELb0EEvPKcS1_S1_S1_S1_PKiPfP15HIP_vector_typeIfLj2EEffffjfiS5_IjLj3EEiiiiiiiiiiiliiliiiiil
; %bb.0:
	s_clause 0x1
	s_load_b128 s[24:27], s[0:1], 0x5c
	s_load_b64 s[30:31], s[0:1], 0x80
	s_lshr_b32 s5, ttmp7, 16
	s_clause 0x1
	s_load_b512 s[8:23], s[0:1], 0x0
	s_load_b64 s[36:37], s[0:1], 0xb8
	s_mov_b64 s[34:35], 0
	s_wait_kmcnt 0x0
	s_ashr_i32 s2, s27, 31
	s_delay_alu instid0(SALU_CYCLE_1) | instskip(NEXT) | instid1(SALU_CYCLE_1)
	s_lshr_b32 s2, s2, 30
	s_add_co_i32 s2, s27, s2
	s_delay_alu instid0(SALU_CYCLE_1) | instskip(NEXT) | instid1(SALU_CYCLE_1)
	s_ashr_i32 s2, s2, 2
	s_cvt_f32_u32 s3, s2
	s_sub_co_i32 s4, 0, s2
	s_delay_alu instid0(SALU_CYCLE_2) | instskip(NEXT) | instid1(TRANS32_DEP_1)
	v_rcp_iflag_f32_e32 v1, s3
	v_readfirstlane_b32 s3, v1
	s_mul_f32 s3, s3, 0x4f7ffffe
	s_wait_alu 0xfffe
	s_delay_alu instid0(SALU_CYCLE_2) | instskip(SKIP_1) | instid1(SALU_CYCLE_2)
	s_cvt_u32_f32 s3, s3
	s_wait_alu 0xfffe
	s_mul_i32 s4, s4, s3
	s_delay_alu instid0(SALU_CYCLE_1) | instskip(NEXT) | instid1(SALU_CYCLE_1)
	s_mul_hi_u32 s4, s3, s4
	s_add_co_i32 s3, s3, s4
	s_wait_alu 0xfffe
	s_mul_hi_u32 s3, s5, s3
	s_wait_alu 0xfffe
	s_mul_i32 s4, s3, s2
	s_add_co_i32 s6, s3, 1
	s_sub_co_i32 s4, s5, s4
	s_delay_alu instid0(SALU_CYCLE_1)
	s_sub_co_i32 s7, s4, s2
	s_cmp_ge_u32 s4, s2
	s_cselect_b32 s3, s6, s3
	s_cselect_b32 s4, s7, s4
	s_wait_alu 0xfffe
	s_add_co_i32 s6, s3, 1
	s_cmp_ge_u32 s4, s2
	s_cselect_b32 s28, s6, s3
	s_abs_i32 s2, s31
	s_abs_i32 s7, s27
	s_wait_alu 0xfffe
	s_cvt_f32_u32 s3, s2
	s_sub_co_i32 s4, 0, s2
	s_lshl_b32 s5, s5, 2
	s_mul_i32 s6, s28, s27
	s_wait_alu 0xfffe
	v_rcp_iflag_f32_e32 v1, s3
	s_sub_co_i32 s33, s5, s6
	s_delay_alu instid0(TRANS32_DEP_1) | instskip(SKIP_2) | instid1(SALU_CYCLE_2)
	v_readfirstlane_b32 s3, v1
	s_mul_f32 s3, s3, 0x4f7ffffe
	s_wait_alu 0xfffe
	s_cvt_u32_f32 s3, s3
	s_wait_alu 0xfffe
	s_delay_alu instid0(SALU_CYCLE_2) | instskip(NEXT) | instid1(SALU_CYCLE_1)
	s_mul_i32 s4, s4, s3
	s_mul_hi_u32 s4, s3, s4
	s_delay_alu instid0(SALU_CYCLE_1)
	s_add_co_i32 s3, s3, s4
	s_xor_b32 s4, s27, s31
	s_wait_alu 0xfffe
	s_mul_hi_u32 s3, s7, s3
	s_ashr_i32 s4, s4, 31
	s_wait_alu 0xfffe
	s_mul_i32 s5, s3, s2
	s_add_co_i32 s6, s3, 1
	s_sub_co_i32 s5, s7, s5
	s_delay_alu instid0(SALU_CYCLE_1)
	s_sub_co_i32 s7, s5, s2
	s_cmp_ge_u32 s5, s2
	s_cselect_b32 s3, s6, s3
	s_cselect_b32 s5, s7, s5
	s_wait_alu 0xfffe
	s_add_co_i32 s6, s3, 1
	s_cmp_ge_u32 s5, s2
	s_cselect_b32 s2, s6, s3
	s_mov_b32 s3, 0
	s_wait_alu 0xfffe
	s_xor_b32 s2, s2, s4
	s_wait_alu 0xfffe
	s_sub_co_i32 s38, s2, s4
	s_delay_alu instid0(SALU_CYCLE_1) | instskip(SKIP_3) | instid1(SALU_CYCLE_2)
	s_abs_i32 s31, s38
	s_cmp_eq_u64 s[14:15], 0
	s_cvt_f32_u32 s2, s31
	s_wait_alu 0xfffe
	v_rcp_iflag_f32_e32 v1, s2
	s_delay_alu instid0(TRANS32_DEP_1)
	v_readfirstlane_b32 s2, v1
	s_cbranch_scc1 .LBB27_2
; %bb.1:
	s_abs_i32 s6, s36
	s_delay_alu instid0(SALU_CYCLE_1) | instskip(NEXT) | instid1(SALU_CYCLE_3)
	s_cvt_f32_u32 s4, s6
	v_rcp_iflag_f32_e32 v1, s4
	s_delay_alu instid0(TRANS32_DEP_1) | instskip(SKIP_2) | instid1(SALU_CYCLE_2)
	v_readfirstlane_b32 s4, v1
	s_mul_f32 s4, s4, 0x4f7ffffe
	s_wait_alu 0xfffe
	s_cvt_u32_f32 s7, s4
	s_sub_co_i32 s4, 0, s6
	s_wait_alu 0xfffe
	s_delay_alu instid0(SALU_CYCLE_1) | instskip(SKIP_4) | instid1(SALU_CYCLE_1)
	s_mul_i32 s4, s4, s7
	s_wait_alu 0xfffe
	s_mul_hi_u32 s29, s7, s4
	s_load_b64 s[4:5], s[0:1], 0xc8
	s_add_co_i32 s7, s7, s29
	s_mul_hi_u32 s7, s28, s7
	s_delay_alu instid0(SALU_CYCLE_1) | instskip(NEXT) | instid1(SALU_CYCLE_1)
	s_mul_i32 s7, s7, s6
	s_sub_co_i32 s7, s28, s7
	s_delay_alu instid0(SALU_CYCLE_1) | instskip(SKIP_2) | instid1(SALU_CYCLE_1)
	s_sub_co_i32 s29, s7, s6
	s_cmp_ge_u32 s7, s6
	s_cselect_b32 s7, s29, s7
	s_sub_co_i32 s29, s7, s6
	s_cmp_ge_u32 s7, s6
	s_cselect_b32 s6, s29, s7
	s_delay_alu instid0(SALU_CYCLE_1)
	s_ashr_i32 s7, s6, 31
	s_wait_kmcnt 0x0
	s_mul_u64 s[4:5], s[4:5], s[6:7]
	s_wait_alu 0xfffe
	s_add_nc_u64 s[34:35], s[14:15], s[4:5]
.LBB27_2:
	v_lshrrev_b32_e32 v1, 10, v0
	s_load_b96 s[4:6], s[0:1], 0x70
	v_and_b32_e32 v37, 0x3ff, v0
	s_delay_alu instid0(VALU_DEP_2) | instskip(NEXT) | instid1(VALU_DEP_2)
	v_bfe_u32 v1, v1, 1, 9
	v_lshlrev_b32_e32 v59, 3, v37
	s_delay_alu instid0(VALU_DEP_2) | instskip(NEXT) | instid1(VALU_DEP_2)
	v_lshl_add_u32 v36, ttmp9, 1, v1
	v_add_nc_u32_e32 v13, 0x2400, v59
	s_delay_alu instid0(VALU_DEP_2) | instskip(SKIP_3) | instid1(VALU_DEP_1)
	v_mul_hi_u32 v1, s24, v36
	s_wait_kmcnt 0x0
	s_mul_i32 s14, s33, s5
	s_mov_b32 s24, s5
	v_add_nc_u32_e32 v1, v36, v1
	s_ashr_i32 s15, s14, 31
	s_delay_alu instid0(VALU_DEP_1)
	v_lshrrev_b32_e32 v2, s25, v1
	v_bfe_u32 v1, v0, 10, 10
	s_ashr_i32 s25, s5, 31
	s_ashr_i32 s5, s4, 31
	s_wait_alu 0xfffe
	s_lshr_b32 s7, s25, 2
	v_mul_lo_u32 v2, v2, s26
	v_lshlrev_b32_e32 v3, 1, v1
	s_lshr_b64 s[40:41], s[4:5], 2
	s_lshr_b32 s4, s5, 2
	s_delay_alu instid0(VALU_DEP_1) | instskip(SKIP_1) | instid1(VALU_DEP_4)
	v_or_b32_e32 v12, 1, v3
	v_and_b32_e32 v57, 2, v3
	v_sub_nc_u32_e32 v2, v36, v2
	s_delay_alu instid0(VALU_DEP_3) | instskip(NEXT) | instid1(VALU_DEP_3)
	v_and_b32_e32 v10, 3, v12
	v_mul_lo_u32 v11, s7, v57
	s_delay_alu instid0(VALU_DEP_3)
	v_mad_co_u64_u32 v[4:5], null, s40, v2, 0
	s_lshr_b64 s[40:41], s[24:25], 2
	s_wait_alu 0xfffe
	v_mad_co_u64_u32 v[8:9], null, s40, v57, 0
	v_mad_co_u64_u32 v[5:6], null, s4, v2, v[5:6]
	;; [unrolled: 1-line block ×3, first 2 shown]
	s_mul_i32 s4, s28, s6
	v_or_b32_e32 v9, v9, v11
	s_wait_alu 0xfffe
	s_ashr_i32 s5, s4, 31
	s_cmp_eq_u64 s[18:19], 0
	v_lshlrev_b64_e32 v[4:5], 2, v[4:5]
	s_wait_alu 0xfffe
	s_add_nc_u64 s[4:5], s[8:9], s[4:5]
	v_mov_b32_e32 v0, v7
	s_wait_alu 0xfffe
	s_add_nc_u64 s[4:5], s[4:5], s[14:15]
	v_lshlrev_b64_e32 v[8:9], 2, v[8:9]
	s_wait_alu 0xfffe
	v_add_co_u32 v4, vcc_lo, s4, v4
	v_mad_co_u64_u32 v[10:11], null, s7, v10, v[0:1]
	v_lshlrev_b32_e32 v0, 4, v37
	v_add_co_ci_u32_e64 v5, null, s5, v5, vcc_lo
	s_load_b32 s4, s[0:1], 0x40
	v_mov_b32_e32 v7, v10
	v_add_co_u32 v0, vcc_lo, v4, v0
	s_wait_alu 0xfffd
	v_add_co_ci_u32_e64 v10, null, 0, v5, vcc_lo
	s_delay_alu instid0(VALU_DEP_3) | instskip(NEXT) | instid1(VALU_DEP_3)
	v_lshlrev_b64_e32 v[4:5], 2, v[6:7]
	v_add_co_u32 v6, vcc_lo, v0, v8
	s_wait_alu 0xfffd
	s_delay_alu instid0(VALU_DEP_3) | instskip(NEXT) | instid1(VALU_DEP_3)
	v_add_co_ci_u32_e64 v7, null, v10, v9, vcc_lo
	v_add_co_u32 v8, vcc_lo, v0, v4
	s_wait_alu 0xfffd
	v_add_co_ci_u32_e64 v9, null, v10, v5, vcc_lo
	s_clause 0x1
	global_load_b128 v[4:7], v[6:7], off
	global_load_b128 v[8:11], v[8:9], off
	v_lshlrev_b32_e32 v0, 9, v1
	s_delay_alu instid0(VALU_DEP_1)
	v_add_nc_u32_e32 v14, v13, v0
	s_wait_loadcnt 0x1
	s_wait_kmcnt 0x0
	v_fma_mixlo_f16 v4, s4, v4, 0
	v_fma_mixlo_f16 v5, s4, v5, 0
	s_wait_loadcnt 0x0
	v_fma_mixlo_f16 v8, s4, v8, 0
	v_fma_mixlo_f16 v9, s4, v9, 0
	;; [unrolled: 1-line block ×4, first 2 shown]
	v_lshlrev_b32_e32 v5, 16, v5
	v_and_b32_e32 v4, 0xffff, v4
	v_fma_mixlo_f16 v10, s4, v10, 0
	v_fma_mixlo_f16 v11, s4, v11, 0
	v_lshlrev_b32_e32 v9, 16, v9
	v_and_b32_e32 v8, 0xffff, v8
	v_lshlrev_b32_e32 v7, 16, v7
	v_and_b32_e32 v6, 0xffff, v6
	v_or_b32_e32 v4, v5, v4
	v_lshlrev_b32_e32 v11, 16, v11
	v_and_b32_e32 v10, 0xffff, v10
	v_or_b32_e32 v8, v9, v8
	v_or3_b32 v5, v7, v6, 0
	v_or3_b32 v4, 0, 0, v4
	v_lshl_add_u32 v9, v12, 8, v13
	v_or3_b32 v7, v11, v10, 0
	v_or3_b32 v6, 0, 0, v8
	ds_store_b64 v14, v[4:5]
	ds_store_b64 v9, v[6:7]
	s_wait_dscnt 0x0
	s_barrier_signal -1
	s_barrier_wait -1
	global_inv scope:SCOPE_SE
	s_cbranch_scc1 .LBB27_4
; %bb.3:
	s_load_b32 s4, s[0:1], 0xd0
	s_mov_b32 s5, 0
	s_wait_kmcnt 0x0
	s_mul_i32 s4, s4, s28
	s_wait_alu 0xfffe
	s_add_co_i32 s4, s4, ttmp9
	s_wait_alu 0xfffe
	s_lshl_b64 s[4:5], s[4:5], 2
	s_wait_alu 0xfffe
	s_add_nc_u64 s[4:5], s[18:19], s[4:5]
	s_load_b32 s30, s[4:5], 0x0
.LBB27_4:
	s_and_b32 s14, ttmp7, 0xffff
	v_mbcnt_lo_u32_b32 v60, -1, 0
	s_lshl_b32 s18, s14, 6
	s_wait_kmcnt 0x0
	s_cmp_lt_i32 s18, s30
	s_cbranch_scc1 .LBB27_7
; %bb.5:
	v_mbcnt_lo_u32_b32 v5, -1, 0
	v_mov_b32_e32 v4, 32
	s_delay_alu instid0(VALU_DEP_2)
	v_xor_b32_e32 v65, 16, v5
	v_xor_b32_e32 v64, 8, v5
	;; [unrolled: 1-line block ×5, first 2 shown]
	v_lshlrev_b32_e32 v58, 2, v37
	s_mov_b32 s29, 0
	s_cbranch_execz .LBB27_8
; %bb.6:
	v_dual_mov_b32 v10, 0 :: v_dual_mov_b32 v83, 0
	v_dual_mov_b32 v56, 0xfeffffff :: v_dual_mov_b32 v55, 0xfeffffff
	;; [unrolled: 1-line block ×4, first 2 shown]
	s_branch .LBB27_11
.LBB27_7:
                                        ; implicit-def: $vgpr5
                                        ; implicit-def: $vgpr4
                                        ; implicit-def: $vgpr65
                                        ; implicit-def: $vgpr64
                                        ; implicit-def: $vgpr63
                                        ; implicit-def: $vgpr62
                                        ; implicit-def: $vgpr61
	v_lshlrev_b32_e32 v58, 2, v37
	s_mov_b32 s29, 0
.LBB27_8:
	s_mul_f32 s2, s2, 0x4f7ffffe
	s_clause 0x1
	s_load_b128 s[4:7], s[0:1], 0x98
	s_load_b64 s[8:9], s[0:1], 0x8c
	s_sub_co_i32 s19, 0, s31
	s_mov_b32 s25, s3
	s_cvt_u32_f32 s15, s2
	s_abs_i32 s2, s33
	s_ashr_i32 s36, s33, 31
	s_ashr_i32 s40, s38, 31
	s_mul_i32 s19, s19, s15
	s_load_b64 s[38:39], s[0:1], 0xa8
	s_mul_hi_u32 s19, s15, s19
	v_lshrrev_b32_e32 v4, 3, v37
	s_add_co_i32 s24, s15, s19
	s_ashr_i32 s15, s37, 1
	s_wait_alu 0xfffe
	s_mul_u64 s[24:25], s[2:3], s[24:25]
	s_xor_b32 s19, s36, s40
	s_wait_alu 0xfffe
	s_mul_i32 s3, s25, s31
	s_add_co_i32 s37, s25, 1
	s_wait_alu 0xfffe
	s_sub_co_i32 s2, s2, s3
	v_lshl_add_u32 v5, v1, 2, v4
	s_wait_kmcnt 0x0
	s_ashr_i32 s24, s6, 2
	s_ashr_i32 s36, s8, 2
	s_wait_alu 0xfffe
	s_sub_co_i32 s3, s2, s31
	s_cmp_ge_u32 s2, s31
	v_dual_mov_b32 v8, 0 :: v_dual_and_b32 v17, 28, v58
	s_cselect_b32 s6, s37, s25
	s_wait_alu 0xfffe
	s_cselect_b32 s2, s3, s2
	s_add_co_i32 s8, s6, 1
	s_wait_alu 0xfffe
	s_cmp_ge_u32 s2, s31
	v_mul_lo_u32 v4, s36, v5
	s_cselect_b32 s6, s8, s6
	s_mul_u64 s[2:3], s[4:5], s[28:29]
	s_wait_alu 0xfffe
	s_xor_b32 s6, s6, s19
	v_dual_mov_b32 v55, 0xfeffffff :: v_dual_lshlrev_b32 v6, 2, v17
	s_wait_alu 0xfffe
	s_sub_co_i32 s8, s6, s19
	s_add_nc_u64 s[2:3], s[10:11], s[2:3]
	s_mul_i32 s6, s8, s9
	s_mul_i32 s8, s8, s7
	s_wait_alu 0xfffe
	s_ashr_i32 s7, s6, 31
	s_mul_u64 s[4:5], s[38:39], s[28:29]
	s_wait_alu 0xfffe
	s_add_nc_u64 s[38:39], s[2:3], s[6:7]
	s_lshl_b32 s2, s36, 4
	v_mad_u32_u24 v66, 0x90, v5, v6
	s_wait_alu 0xfffe
	v_add_nc_u32_e32 v6, s2, v4
	v_lshrrev_b32_e32 v7, 4, v37
	v_mov_b32_e32 v56, 0xfeffffff
	v_dual_mov_b32 v83, 0 :: v_dual_and_b32 v18, 60, v58
	s_delay_alu instid0(VALU_DEP_4) | instskip(NEXT) | instid1(VALU_DEP_4)
	v_add_nc_u32_e32 v9, s2, v6
	v_add_nc_u32_e32 v3, v7, v3
	;; [unrolled: 1-line block ×3, first 2 shown]
	s_delay_alu instid0(VALU_DEP_4)
	v_lshlrev_b32_e32 v12, 2, v18
	v_mad_co_u64_u32 v[38:39], null, v2, s15, v[37:38]
	v_ashrrev_i32_e32 v10, 31, v9
	v_add_nc_u32_e32 v13, s2, v9
	s_lshl_b32 s2, s24, 3
	v_ashrrev_i32_e32 v5, 31, v4
	v_lshl_add_u32 v73, v1, 8, 0x2c00
	v_lshlrev_b64_e32 v[43:44], 2, v[9:10]
	v_mov_b32_e32 v10, 0
	v_mul_lo_u32 v11, s24, v3
	v_ashrrev_i32_e32 v14, 31, v13
	v_lshl_or_b32 v72, v3, 8, v12
	v_mov_b32_e32 v9, 0
	v_ashrrev_i32_e32 v7, 31, v6
	v_lshlrev_b64_e32 v[39:40], 2, v[4:5]
	v_lshlrev_b64_e32 v[45:46], 2, v[13:14]
	v_dual_mov_b32 v84, 0 :: v_dual_add_nc_u32 v67, 0x900, v66
	s_wait_alu 0xfffe
	v_add_nc_u32_e32 v15, s2, v11
	v_ashrrev_i32_e32 v12, 31, v11
	v_lshlrev_b64_e32 v[41:42], 2, v[6:7]
	v_add_nc_u32_e32 v68, 0x1200, v66
	v_add_nc_u32_e32 v69, 0x1b00, v66
	;; [unrolled: 1-line block ×3, first 2 shown]
	v_ashrrev_i32_e32 v16, 31, v15
	v_lshlrev_b64_e32 v[47:48], 2, v[11:12]
	v_mul_u32_u24_e32 v71, 0x90, v37
	v_add_nc_u32_e32 v74, 0x800, v72
	v_add_nc_u32_e32 v2, s2, v0
	v_ashrrev_i32_e32 v1, 31, v0
	v_lshlrev_b64_e32 v[49:50], 2, v[15:16]
	v_add_nc_u32_e32 v75, 0x1000, v72
	v_add_nc_u32_e32 v76, 0x1800, v72
	v_ashrrev_i32_e32 v3, 31, v2
	v_lshlrev_b64_e32 v[51:52], 2, v[0:1]
	v_lshlrev_b32_e32 v77, 2, v17
	v_xor_b32_e32 v65, 16, v60
	v_xor_b32_e32 v64, 8, v60
	v_lshlrev_b64_e32 v[53:54], 2, v[2:3]
	v_xor_b32_e32 v63, 4, v60
	v_xor_b32_e32 v62, 2, v60
	;; [unrolled: 1-line block ×3, first 2 shown]
	v_add_nc_u32_e32 v78, v73, v58
	v_lshlrev_b32_e32 v79, 2, v18
	v_add_nc_u32_e32 v80, 0x800, v59
	v_add_nc_u32_e32 v81, 0x1000, v59
	v_dual_mov_b32 v11, 0 :: v_dual_add_nc_u32 v82, 0x1800, v59
	s_add_nc_u64 s[4:5], s[12:13], s[4:5]
	s_ashr_i32 s9, s8, 31
	s_ashr_i32 s37, s36, 31
	s_wait_alu 0xfffe
	s_add_nc_u64 s[40:41], s[4:5], s[8:9]
	s_ashr_i32 s25, s24, 31
	s_add_nc_u64 s[42:43], s[0:1], 0xd0
.LBB27_9:                               ; =>This Inner Loop Header: Depth=1
	v_cmp_gt_i32_e32 vcc_lo, 32, v65
	v_cmp_gt_i32_e64 s2, 32, v64
	v_cmp_gt_i32_e64 s3, 32, v63
	s_ashr_i32 s19, s18, 31
	v_cmp_gt_i32_e64 s4, 32, v62
	s_or_b32 s6, s18, 32
	s_wait_alu 0xfffe
	s_mul_u64 s[8:9], s[18:19], s[36:37]
	v_cmp_gt_i32_e64 s5, 32, v61
	s_ashr_i32 s7, s6, 31
	v_cndmask_b32_e64 v3, v60, v64, s2
	s_wait_alu 0xfffd
	v_cndmask_b32_e32 v2, v60, v65, vcc_lo
	v_add_nc_u32_e32 v0, s18, v38
	v_cndmask_b32_e64 v4, v60, v63, s3
	s_wait_alu 0xfffe
	s_lshl_b64 s[2:3], s[8:9], 2
	s_mul_u64 s[6:7], s[6:7], s[24:25]
	v_cndmask_b32_e64 v5, v60, v62, s4
	s_wait_alu 0xfffe
	s_add_nc_u64 s[8:9], s[38:39], s[2:3]
	s_mul_u64 s[10:11], s[18:19], s[24:25]
	s_lshl_b64 s[12:13], s[6:7], 2
	v_cndmask_b32_e64 v6, v60, v61, s5
	v_lshlrev_b32_e32 v23, 2, v3
	v_lshlrev_b32_e32 v24, 2, v2
	s_wait_alu 0xfffe
	v_add_co_u32 v2, vcc_lo, s8, v39
	v_ashrrev_i32_e32 v1, 31, v0
	s_lshl_b64 s[4:5], s[10:11], 2
	v_add_co_u32 v3, s2, s8, v41
	s_add_nc_u64 s[12:13], s[40:41], s[12:13]
	v_lshlrev_b32_e32 v22, 2, v4
	v_add_co_u32 v4, s3, s8, v43
	s_wait_alu 0xfffd
	v_add_co_ci_u32_e64 v27, null, s9, v40, vcc_lo
	v_dual_mov_b32 v12, v84 :: v_dual_mov_b32 v13, v56
	s_wait_alu 0xfffe
	s_add_nc_u64 s[10:11], s[40:41], s[4:5]
	v_lshlrev_b32_e32 v21, 2, v5
	v_add_co_u32 v5, s4, s8, v45
	v_add_co_ci_u32_e64 v28, null, s9, v42, s2
	v_add_co_u32 v84, vcc_lo, s12, v47
	v_add_co_ci_u32_e64 v29, null, s9, v44, s3
	v_add_co_u32 v85, s2, s12, v49
	v_lshlrev_b32_e32 v20, 2, v6
	s_wait_alu 0xfffe
	v_add_co_u32 v6, s5, s10, v47
	v_add_co_u32 v7, s6, s10, v49
	;; [unrolled: 1-line block ×3, first 2 shown]
	s_wait_alu 0xf1ff
	v_add_co_ci_u32_e64 v30, null, s9, v46, s4
	v_add_co_u32 v86, s3, s12, v51
	s_wait_alu 0xfffd
	v_add_co_ci_u32_e64 v88, null, s13, v48, vcc_lo
	v_add_co_u32 v33, vcc_lo, v2, v77
	v_dual_mov_b32 v14, v55 :: v_dual_mov_b32 v15, 0
	v_lshlrev_b64_e32 v[0:1], 1, v[0:1]
	v_add_co_u32 v87, s4, s12, v53
	v_add_co_ci_u32_e64 v89, null, s13, v50, s2
	v_add_co_u32 v55, s2, v3, v77
	v_dual_mov_b32 v18, 0 :: v_dual_mov_b32 v19, v83
	v_add_co_u32 v25, s7, s10, v51
	v_add_co_ci_u32_e64 v31, null, s11, v48, s5
	v_add_co_ci_u32_e64 v32, null, s11, v50, s6
	;; [unrolled: 1-line block ×3, first 2 shown]
	s_wait_alu 0xf1ff
	v_add_co_ci_u32_e64 v90, null, s13, v52, s3
	v_add_co_u32 v91, s3, v4, v77
	s_wait_alu 0xfffd
	v_add_co_ci_u32_e64 v34, null, 0, v27, vcc_lo
	v_add_co_ci_u32_e64 v105, null, s13, v54, s4
	v_add_co_u32 v93, s4, v5, v77
	v_add_co_ci_u32_e64 v56, null, 0, v28, s2
	s_wait_alu 0xf1ff
	v_add_co_ci_u32_e64 v92, null, 0, v29, s3
	v_add_co_ci_u32_e64 v35, null, s11, v52, s7
	v_add_co_u32 v97, s6, v6, v79
	v_add_co_u32 v99, s7, v7, v79
	v_add_co_u32 v103, s9, v26, v79
	v_add_co_ci_u32_e64 v94, null, 0, v30, s4
	v_add_co_u32 v6, vcc_lo, v84, v79
	v_add_co_u32 v4, s2, v85, v79
	v_add_co_u32 v2, s3, v86, v79
	v_add_co_u32 v95, s5, s34, v0
	v_add_co_u32 v101, s8, v25, v79
	s_wait_alu 0xf1ff
	v_add_co_ci_u32_e64 v98, null, 0, v31, s6
	v_add_co_ci_u32_e64 v100, null, 0, v32, s7
	;; [unrolled: 1-line block ×3, first 2 shown]
	v_add_co_u32 v0, s4, v87, v79
	s_wait_alu 0xfffd
	v_add_co_ci_u32_e64 v7, null, 0, v88, vcc_lo
	v_add_co_ci_u32_e64 v5, null, 0, v89, s2
	v_add_co_ci_u32_e64 v3, null, 0, v90, s3
	s_clause 0x3
	global_load_b128 v[25:28], v[33:34], off
	global_load_b128 v[29:32], v[55:56], off
	;; [unrolled: 1-line block ×4, first 2 shown]
	v_dual_mov_b32 v16, 0 :: v_dual_mov_b32 v17, 0
	v_add_co_ci_u32_e64 v96, null, s35, v1, s5
	v_add_co_ci_u32_e64 v102, null, 0, v35, s8
	s_wait_alu 0xf1ff
	v_add_co_ci_u32_e64 v1, null, 0, v105, s4
	s_wait_loadcnt 0x3
	ds_store_b128 v66, v[25:28]
	s_wait_loadcnt 0x2
	ds_store_b128 v67, v[29:32]
	;; [unrolled: 2-line block ×4, first 2 shown]
	s_wait_dscnt 0x0
	s_barrier_signal -1
	s_barrier_wait -1
	global_inv scope:SCOPE_SE
	ds_load_b128 v[25:28], v71
	ds_load_b128 v[29:32], v70
	ds_load_b128 v[83:86], v70 offset:256
	ds_load_b128 v[87:90], v71 offset:4608
	s_wait_dscnt 0x2
	;;#ASMSTART
	v_dot2_f32_f16 v15, v25, v29, v15
	;;#ASMEND
	;;#ASMSTART
	v_dot2_f32_f16 v15, v26, v30, v15
	;;#ASMEND
	;;#ASMSTART
	v_dot2_f32_f16 v15, v27, v31, v15
	;;#ASMEND
	;;#ASMSTART
	v_dot2_f32_f16 v15, v28, v32, v15
	;;#ASMEND
	s_wait_dscnt 0x1
	;;#ASMSTART
	v_dot2_f32_f16 v16, v25, v83, v16
	;;#ASMEND
	;;#ASMSTART
	v_dot2_f32_f16 v16, v26, v84, v16
	;;#ASMEND
	;;#ASMSTART
	v_dot2_f32_f16 v16, v27, v85, v16
	;;#ASMEND
	;;#ASMSTART
	v_dot2_f32_f16 v16, v28, v86, v16
	;;#ASMEND
	s_wait_dscnt 0x0
	;;#ASMSTART
	v_dot2_f32_f16 v17, v87, v29, v17
	;;#ASMEND
	;;#ASMSTART
	v_dot2_f32_f16 v17, v88, v30, v17
	;;#ASMEND
	;;#ASMSTART
	v_dot2_f32_f16 v17, v89, v31, v17
	;;#ASMEND
	;;#ASMSTART
	v_dot2_f32_f16 v17, v90, v32, v17
	;;#ASMEND
	;;#ASMSTART
	v_dot2_f32_f16 v18, v87, v83, v18
	;;#ASMEND
	;;#ASMSTART
	v_dot2_f32_f16 v18, v88, v84, v18
	;;#ASMEND
	;;#ASMSTART
	v_dot2_f32_f16 v18, v89, v85, v18
	;;#ASMEND
	;;#ASMSTART
	v_dot2_f32_f16 v18, v90, v86, v18
	;;#ASMEND
	ds_load_b128 v[25:28], v71 offset:16
	ds_load_b128 v[29:32], v70 offset:16
	ds_load_b128 v[83:86], v70 offset:272
	ds_load_b128 v[87:90], v71 offset:4624
	s_wait_dscnt 0x2
	;;#ASMSTART
	v_dot2_f32_f16 v15, v25, v29, v15
	;;#ASMEND
	;;#ASMSTART
	v_dot2_f32_f16 v15, v26, v30, v15
	;;#ASMEND
	;;#ASMSTART
	v_dot2_f32_f16 v15, v27, v31, v15
	;;#ASMEND
	;;#ASMSTART
	v_dot2_f32_f16 v15, v28, v32, v15
	;;#ASMEND
	s_wait_dscnt 0x1
	;;#ASMSTART
	v_dot2_f32_f16 v16, v25, v83, v16
	;;#ASMEND
	;;#ASMSTART
	v_dot2_f32_f16 v16, v26, v84, v16
	;;#ASMEND
	;;#ASMSTART
	v_dot2_f32_f16 v16, v27, v85, v16
	;;#ASMEND
	;;#ASMSTART
	v_dot2_f32_f16 v16, v28, v86, v16
	;;#ASMEND
	s_wait_dscnt 0x0
	;;#ASMSTART
	v_dot2_f32_f16 v17, v87, v29, v17
	;;#ASMEND
	;;#ASMSTART
	v_dot2_f32_f16 v17, v88, v30, v17
	;;#ASMEND
	;;#ASMSTART
	v_dot2_f32_f16 v17, v89, v31, v17
	;;#ASMEND
	;;#ASMSTART
	v_dot2_f32_f16 v17, v90, v32, v17
	;;#ASMEND
	;;#ASMSTART
	v_dot2_f32_f16 v18, v87, v83, v18
	;;#ASMEND
	;;#ASMSTART
	v_dot2_f32_f16 v18, v88, v84, v18
	;;#ASMEND
	;;#ASMSTART
	v_dot2_f32_f16 v18, v89, v85, v18
	;;#ASMEND
	;;#ASMSTART
	v_dot2_f32_f16 v18, v90, v86, v18
	;;#ASMEND
	ds_load_b128 v[25:28], v71 offset:32
	ds_load_b128 v[29:32], v70 offset:32
	;; [unrolled: 55-line block ×7, first 2 shown]
	ds_load_b128 v[83:86], v70 offset:368
	ds_load_b128 v[87:90], v71 offset:4720
	s_wait_dscnt 0x2
	;;#ASMSTART
	v_dot2_f32_f16 v15, v25, v29, v15
	;;#ASMEND
	;;#ASMSTART
	v_dot2_f32_f16 v15, v26, v30, v15
	;;#ASMEND
	;;#ASMSTART
	v_dot2_f32_f16 v15, v27, v31, v15
	;;#ASMEND
	;;#ASMSTART
	v_dot2_f32_f16 v15, v28, v32, v15
	;;#ASMEND
	s_wait_dscnt 0x1
	;;#ASMSTART
	v_dot2_f32_f16 v16, v25, v83, v16
	;;#ASMEND
	;;#ASMSTART
	v_dot2_f32_f16 v16, v26, v84, v16
	;;#ASMEND
	;;#ASMSTART
	v_dot2_f32_f16 v16, v27, v85, v16
	;;#ASMEND
	;;#ASMSTART
	v_dot2_f32_f16 v16, v28, v86, v16
	;;#ASMEND
	s_wait_dscnt 0x0
	;;#ASMSTART
	v_dot2_f32_f16 v17, v87, v29, v17
	;;#ASMEND
	;;#ASMSTART
	v_dot2_f32_f16 v17, v88, v30, v17
	;;#ASMEND
	;;#ASMSTART
	v_dot2_f32_f16 v17, v89, v31, v17
	;;#ASMEND
	;;#ASMSTART
	v_dot2_f32_f16 v17, v90, v32, v17
	;;#ASMEND
	;;#ASMSTART
	v_dot2_f32_f16 v18, v87, v83, v18
	;;#ASMEND
	;;#ASMSTART
	v_dot2_f32_f16 v18, v88, v84, v18
	;;#ASMEND
	;; [unrolled: 3-line block ×4, first 2 shown]
	s_wait_loadcnt 0x0
	s_barrier_signal -1
	s_barrier_wait -1
	global_inv scope:SCOPE_SE
	s_clause 0x3
	global_load_b128 v[25:28], v[33:34], off offset:128
	global_load_b128 v[29:32], v[55:56], off offset:128
	;; [unrolled: 1-line block ×4, first 2 shown]
	s_wait_loadcnt 0x3
	ds_store_b128 v66, v[25:28]
	s_wait_loadcnt 0x2
	ds_store_b128 v67, v[29:32]
	;; [unrolled: 2-line block ×4, first 2 shown]
	s_wait_dscnt 0x0
	s_barrier_signal -1
	s_barrier_wait -1
	global_inv scope:SCOPE_SE
	ds_load_b128 v[25:28], v71
	ds_load_b128 v[29:32], v70 offset:128
	ds_load_b128 v[83:86], v70 offset:384
	ds_load_b128 v[87:90], v71 offset:4608
	s_wait_dscnt 0x2
	;;#ASMSTART
	v_dot2_f32_f16 v15, v25, v29, v15
	;;#ASMEND
	;;#ASMSTART
	v_dot2_f32_f16 v15, v26, v30, v15
	;;#ASMEND
	;;#ASMSTART
	v_dot2_f32_f16 v15, v27, v31, v15
	;;#ASMEND
	;;#ASMSTART
	v_dot2_f32_f16 v15, v28, v32, v15
	;;#ASMEND
	s_wait_dscnt 0x1
	;;#ASMSTART
	v_dot2_f32_f16 v16, v25, v83, v16
	;;#ASMEND
	;;#ASMSTART
	v_dot2_f32_f16 v16, v26, v84, v16
	;;#ASMEND
	;;#ASMSTART
	v_dot2_f32_f16 v16, v27, v85, v16
	;;#ASMEND
	;;#ASMSTART
	v_dot2_f32_f16 v16, v28, v86, v16
	;;#ASMEND
	s_wait_dscnt 0x0
	;;#ASMSTART
	v_dot2_f32_f16 v17, v87, v29, v17
	;;#ASMEND
	;;#ASMSTART
	v_dot2_f32_f16 v17, v88, v30, v17
	;;#ASMEND
	;;#ASMSTART
	v_dot2_f32_f16 v17, v89, v31, v17
	;;#ASMEND
	;;#ASMSTART
	v_dot2_f32_f16 v17, v90, v32, v17
	;;#ASMEND
	;;#ASMSTART
	v_dot2_f32_f16 v18, v87, v83, v18
	;;#ASMEND
	;;#ASMSTART
	v_dot2_f32_f16 v18, v88, v84, v18
	;;#ASMEND
	;;#ASMSTART
	v_dot2_f32_f16 v18, v89, v85, v18
	;;#ASMEND
	;;#ASMSTART
	v_dot2_f32_f16 v18, v90, v86, v18
	;;#ASMEND
	ds_load_b128 v[25:28], v71 offset:16
	ds_load_b128 v[29:32], v70 offset:144
	ds_load_b128 v[83:86], v70 offset:400
	ds_load_b128 v[87:90], v71 offset:4624
	s_wait_dscnt 0x2
	;;#ASMSTART
	v_dot2_f32_f16 v15, v25, v29, v15
	;;#ASMEND
	;;#ASMSTART
	v_dot2_f32_f16 v15, v26, v30, v15
	;;#ASMEND
	;;#ASMSTART
	v_dot2_f32_f16 v15, v27, v31, v15
	;;#ASMEND
	;;#ASMSTART
	v_dot2_f32_f16 v15, v28, v32, v15
	;;#ASMEND
	s_wait_dscnt 0x1
	;;#ASMSTART
	v_dot2_f32_f16 v16, v25, v83, v16
	;;#ASMEND
	;;#ASMSTART
	v_dot2_f32_f16 v16, v26, v84, v16
	;;#ASMEND
	;;#ASMSTART
	v_dot2_f32_f16 v16, v27, v85, v16
	;;#ASMEND
	;;#ASMSTART
	v_dot2_f32_f16 v16, v28, v86, v16
	;;#ASMEND
	s_wait_dscnt 0x0
	;;#ASMSTART
	v_dot2_f32_f16 v17, v87, v29, v17
	;;#ASMEND
	;;#ASMSTART
	v_dot2_f32_f16 v17, v88, v30, v17
	;;#ASMEND
	;;#ASMSTART
	v_dot2_f32_f16 v17, v89, v31, v17
	;;#ASMEND
	;;#ASMSTART
	v_dot2_f32_f16 v17, v90, v32, v17
	;;#ASMEND
	;;#ASMSTART
	v_dot2_f32_f16 v18, v87, v83, v18
	;;#ASMEND
	;;#ASMSTART
	v_dot2_f32_f16 v18, v88, v84, v18
	;;#ASMEND
	;;#ASMSTART
	v_dot2_f32_f16 v18, v89, v85, v18
	;;#ASMEND
	;;#ASMSTART
	v_dot2_f32_f16 v18, v90, v86, v18
	;;#ASMEND
	ds_load_b128 v[25:28], v71 offset:32
	;; [unrolled: 55-line block ×7, first 2 shown]
	ds_load_b128 v[29:32], v70 offset:240
	ds_load_b128 v[83:86], v70 offset:496
	;; [unrolled: 1-line block ×3, first 2 shown]
	s_wait_dscnt 0x2
	;;#ASMSTART
	v_dot2_f32_f16 v15, v25, v29, v15
	;;#ASMEND
	;;#ASMSTART
	v_dot2_f32_f16 v15, v26, v30, v15
	;;#ASMEND
	;;#ASMSTART
	v_dot2_f32_f16 v15, v27, v31, v15
	;;#ASMEND
	;;#ASMSTART
	v_dot2_f32_f16 v15, v28, v32, v15
	;;#ASMEND
	s_wait_dscnt 0x1
	;;#ASMSTART
	v_dot2_f32_f16 v16, v25, v83, v16
	;;#ASMEND
	;;#ASMSTART
	v_dot2_f32_f16 v16, v26, v84, v16
	;;#ASMEND
	;;#ASMSTART
	v_dot2_f32_f16 v16, v27, v85, v16
	;;#ASMEND
	;;#ASMSTART
	v_dot2_f32_f16 v16, v28, v86, v16
	;;#ASMEND
	;; [unrolled: 13-line block ×3, first 2 shown]
	;;#ASMSTART
	v_dot2_f32_f16 v18, v87, v83, v18
	;;#ASMEND
	;;#ASMSTART
	v_dot2_f32_f16 v18, v88, v84, v18
	;;#ASMEND
	;; [unrolled: 3-line block ×4, first 2 shown]
	s_clause 0x1
	global_load_u16 v33, v[95:96], off
	global_load_u16 v34, v[95:96], off offset:64
	s_wait_loadcnt 0x0
	s_barrier_signal -1
	s_barrier_wait -1
	global_inv scope:SCOPE_SE
	s_clause 0x3
	global_load_b128 v[25:28], v[97:98], off
	global_load_b128 v[29:32], v[99:100], off
	;; [unrolled: 1-line block ×4, first 2 shown]
	v_cvt_f32_f16_e32 v33, v33
	v_cvt_f32_f16_e32 v34, v34
	s_delay_alu instid0(VALU_DEP_2) | instskip(NEXT) | instid1(VALU_DEP_2)
	v_add_f32_e32 v15, v15, v33
	v_add_f32_e32 v17, v17, v34
	;; [unrolled: 1-line block ×3, first 2 shown]
	s_delay_alu instid0(VALU_DEP_3) | instskip(NEXT) | instid1(VALU_DEP_2)
	v_dual_add_f32 v16, v16, v33 :: v_dual_add_f32 v33, 0x40051340, v15
	v_dual_add_f32 v34, 0x40051340, v17 :: v_dual_add_f32 v55, 0x40051340, v18
	s_delay_alu instid0(VALU_DEP_2) | instskip(NEXT) | instid1(VALU_DEP_2)
	v_add_f32_e32 v35, 0x40051340, v16
	v_max3_num_f32 v33, v14, v33, v34
	s_delay_alu instid0(VALU_DEP_2) | instskip(SKIP_4) | instid1(VALU_DEP_1)
	v_max3_num_f32 v34, v13, v35, v55
	ds_bpermute_b32 v35, v24, v33
	ds_bpermute_b32 v24, v24, v34
	s_wait_dscnt 0x0
	v_dual_max_num_f32 v35, v35, v35 :: v_dual_max_num_f32 v24, v24, v24
	v_dual_max_num_f32 v33, v33, v35 :: v_dual_max_num_f32 v24, v34, v24
	ds_bpermute_b32 v34, v23, v33
	ds_bpermute_b32 v23, v23, v24
	s_wait_dscnt 0x0
	v_dual_max_num_f32 v23, v23, v23 :: v_dual_max_num_f32 v34, v34, v34
	s_delay_alu instid0(VALU_DEP_1) | instskip(NEXT) | instid1(VALU_DEP_2)
	v_max_num_f32_e32 v23, v24, v23
	v_max_num_f32_e32 v33, v33, v34
	ds_bpermute_b32 v24, v22, v33
	ds_bpermute_b32 v22, v22, v23
	s_wait_dscnt 0x1
	v_max_num_f32_e32 v24, v24, v24
	s_wait_dscnt 0x0
	v_max_num_f32_e32 v22, v22, v22
	s_delay_alu instid0(VALU_DEP_1) | instskip(NEXT) | instid1(VALU_DEP_3)
	v_max_num_f32_e32 v22, v23, v22
	v_max_num_f32_e32 v24, v33, v24
	ds_bpermute_b32 v23, v21, v24
	ds_bpermute_b32 v21, v21, v22
	s_wait_dscnt 0x1
	v_max_num_f32_e32 v23, v23, v23
	s_wait_dscnt 0x0
	v_max_num_f32_e32 v21, v21, v21
	s_delay_alu instid0(VALU_DEP_1) | instskip(NEXT) | instid1(VALU_DEP_3)
	v_max_num_f32_e32 v21, v22, v21
	v_max_num_f32_e32 v23, v24, v23
	ds_bpermute_b32 v22, v20, v23
	ds_bpermute_b32 v20, v20, v21
	s_wait_dscnt 0x1
	v_max_num_f32_e32 v22, v22, v22
	s_wait_dscnt 0x0
	s_delay_alu instid0(VALU_DEP_1) | instskip(NEXT) | instid1(VALU_DEP_1)
	v_dual_max_num_f32 v20, v20, v20 :: v_dual_max_num_f32 v55, v23, v22
	v_dual_max_num_f32 v56, v21, v20 :: v_dual_sub_f32 v15, v15, v55
	s_delay_alu instid0(VALU_DEP_1) | instskip(SKIP_2) | instid1(VALU_DEP_4)
	v_dual_sub_f32 v14, v14, v55 :: v_dual_sub_f32 v13, v13, v56
	v_dual_sub_f32 v17, v17, v55 :: v_dual_sub_f32 v16, v16, v56
	v_sub_f32_e32 v18, v18, v56
	v_mul_f32_e32 v20, 0x3fb8aa3b, v15
	s_delay_alu instid0(VALU_DEP_4) | instskip(NEXT) | instid1(VALU_DEP_4)
	v_dual_mul_f32 v22, 0x3fb8aa3b, v14 :: v_dual_mul_f32 v33, 0x3fb8aa3b, v13
	v_mul_f32_e32 v21, 0x3fb8aa3b, v17
	v_mul_f32_e32 v23, 0x3fb8aa3b, v16
	s_delay_alu instid0(VALU_DEP_4)
	v_fma_f32 v34, 0x3fb8aa3b, v15, -v20
	v_rndne_f32_e32 v35, v20
	v_mul_f32_e32 v24, 0x3fb8aa3b, v18
	v_fma_f32 v83, 0x3fb8aa3b, v17, -v21
	v_rndne_f32_e32 v84, v21
	v_fma_f32 v93, 0x3fb8aa3b, v14, -v22
	v_rndne_f32_e32 v94, v22
	v_cmp_ngt_f32_e32 vcc_lo, 0xc2ce8ed0, v17
	v_cmp_ngt_f32_e64 s2, 0xc2ce8ed0, v14
	v_cmp_ngt_f32_e64 s6, 0xc2ce8ed0, v15
	v_cmp_nlt_f32_e64 s7, 0x42b17218, v17
	v_cmp_nlt_f32_e64 s8, 0x42b17218, v14
	;; [unrolled: 1-line block ×3, first 2 shown]
	v_fma_f32 v95, 0x3fb8aa3b, v16, -v23
	v_rndne_f32_e32 v96, v23
	v_dual_fmac_f32 v34, 0x32a5705f, v15 :: v_dual_fmac_f32 v83, 0x32a5705f, v17
	v_sub_f32_e32 v15, v20, v35
	v_fma_f32 v97, 0x3fb8aa3b, v18, -v24
	v_sub_f32_e32 v17, v21, v84
	v_fmac_f32_e32 v93, 0x32a5705f, v14
	v_sub_f32_e32 v14, v22, v94
	v_cmp_ngt_f32_e64 s3, 0xc2ce8ed0, v16
	v_cmp_nlt_f32_e64 s9, 0x42b17218, v16
	v_rndne_f32_e32 v98, v24
	v_fmac_f32_e32 v95, 0x32a5705f, v16
	v_dual_sub_f32 v16, v23, v96 :: v_dual_fmac_f32 v97, 0x32a5705f, v18
	v_add_f32_e32 v14, v14, v93
	v_cvt_i32_f32_e32 v22, v94
	v_add_f32_e32 v15, v15, v34
	v_cvt_i32_f32_e32 v20, v35
	v_cvt_i32_f32_e32 v21, v84
	v_exp_f32_e32 v14, v14
	v_cmp_ngt_f32_e64 s4, 0xc2ce8ed0, v18
	v_exp_f32_e32 v15, v15
	v_cmp_nlt_f32_e64 s10, 0x42b17218, v18
	v_fma_f32 v99, 0x3fb8aa3b, v13, -v33
	v_rndne_f32_e32 v100, v33
	v_sub_f32_e32 v18, v24, v98
	v_cmp_ngt_f32_e64 s5, 0xc2ce8ed0, v13
	v_cmp_nlt_f32_e64 s11, 0x42b17218, v13
	v_dual_fmac_f32 v99, 0x32a5705f, v13 :: v_dual_add_f32 v16, v16, v95
	v_ldexp_f32 v14, v14, v22
	s_delay_alu instid0(TRANS32_DEP_1) | instskip(SKIP_1) | instid1(VALU_DEP_4)
	v_ldexp_f32 v15, v15, v20
	v_dual_sub_f32 v13, v33, v100 :: v_dual_add_f32 v18, v18, v97
	v_exp_f32_e32 v16, v16
	s_wait_alu 0xf1ff
	v_cndmask_b32_e64 v14, 0, v14, s2
	v_cndmask_b32_e64 v15, 0, v15, s6
	v_cvt_i32_f32_e32 v23, v96
	v_exp_f32_e32 v18, v18
	v_cvt_i32_f32_e32 v24, v98
	v_cndmask_b32_e64 v14, 0x7f800000, v14, s8
	v_add_f32_e32 v17, v17, v83
	v_cndmask_b32_e64 v15, 0x7f800000, v15, s12
	v_cvt_i32_f32_e32 v33, v100
	v_ldexp_f32 v16, v16, v23
	s_delay_alu instid0(VALU_DEP_4) | instskip(NEXT) | instid1(TRANS32_DEP_2)
	v_exp_f32_e32 v17, v17
	v_ldexp_f32 v18, v18, v24
	s_delay_alu instid0(VALU_DEP_2) | instskip(NEXT) | instid1(VALU_DEP_2)
	v_cndmask_b32_e64 v16, 0, v16, s3
	v_cndmask_b32_e64 v18, 0, v18, s4
	s_delay_alu instid0(VALU_DEP_2) | instskip(NEXT) | instid1(TRANS32_DEP_1)
	v_cndmask_b32_e64 v16, 0x7f800000, v16, s9
	v_ldexp_f32 v17, v17, v21
	v_cvt_f16_f32_e32 v21, v14
	s_delay_alu instid0(VALU_DEP_4) | instskip(SKIP_1) | instid1(VALU_DEP_3)
	v_cndmask_b32_e64 v18, 0x7f800000, v18, s10
	s_wait_alu 0xfffd
	v_cndmask_b32_e32 v17, 0, v17, vcc_lo
	s_delay_alu instid0(VALU_DEP_2) | instskip(NEXT) | instid1(VALU_DEP_2)
	v_cvt_f16_f32_e32 v20, v18
	v_cndmask_b32_e64 v17, 0x7f800000, v17, s7
	s_delay_alu instid0(VALU_DEP_1) | instskip(NEXT) | instid1(VALU_DEP_1)
	v_dual_add_f32 v13, v13, v99 :: v_dual_add_f32 v84, v15, v17
	v_exp_f32_e32 v13, v13
	s_delay_alu instid0(VALU_DEP_1) | instskip(NEXT) | instid1(TRANS32_DEP_1)
	v_fmac_f32_e32 v84, v12, v14
	v_ldexp_f32 v13, v13, v33
	s_delay_alu instid0(VALU_DEP_1) | instskip(NEXT) | instid1(VALU_DEP_1)
	v_cndmask_b32_e64 v13, 0, v13, s5
	v_cndmask_b32_e64 v133, 0x7f800000, v13, s11
	v_cvt_f16_f32_e32 v13, v15
	v_cvt_f16_f32_e32 v15, v17
	;; [unrolled: 1-line block ×3, first 2 shown]
	s_delay_alu instid0(VALU_DEP_2) | instskip(NEXT) | instid1(VALU_DEP_2)
	v_pack_b32_f16 v15, v15, v20
	v_pack_b32_f16 v13, v13, v17
	ds_store_2addr_b32 v78, v13, v15 offset1:32
	s_wait_loadcnt 0x3
	ds_store_b128 v72, v[25:28]
	s_wait_loadcnt 0x2
	ds_store_b128 v74, v[29:32]
	;; [unrolled: 2-line block ×4, first 2 shown]
	s_wait_dscnt 0x0
	s_barrier_signal -1
	s_barrier_wait -1
	global_inv scope:SCOPE_SE
	ds_load_b128 v[12:15], v73
	v_add_f32_e32 v83, v16, v18
	v_cvt_f16_f32_e64 v16, v133
	v_and_b32_e32 v17, 0xffff, v21
	ds_load_2addr_b64 v[20:23], v59 offset1:32
	ds_load_b128 v[24:27], v73 offset:16
	ds_load_b128 v[28:31], v73 offset:32
	;; [unrolled: 1-line block ×3, first 2 shown]
	ds_load_2addr_b64 v[85:88], v59 offset0:64 offset1:96
	ds_load_2addr_b64 v[89:92], v59 offset0:128 offset1:160
	;; [unrolled: 1-line block ×3, first 2 shown]
	ds_load_2addr_b64 v[97:100], v80 offset1:32
	ds_load_2addr_b64 v[101:104], v80 offset0:64 offset1:96
	ds_load_2addr_b64 v[105:108], v80 offset0:128 offset1:160
	;; [unrolled: 1-line block ×3, first 2 shown]
	ds_load_2addr_b64 v[113:116], v81 offset1:32
	ds_load_2addr_b64 v[117:120], v81 offset0:64 offset1:96
	ds_load_2addr_b64 v[121:124], v81 offset0:128 offset1:160
	ds_load_b128 v[125:128], v73 offset:64
	ds_load_b128 v[129:132], v73 offset:80
	v_and_b32_e32 v16, 0xffff, v16
	v_mul_u32_u24_e32 v17, 0x10001, v17
	s_wait_dscnt 0xd
	v_and_b32_e32 v136, 0xffff, v31
	s_delay_alu instid0(VALU_DEP_3) | instskip(NEXT) | instid1(VALU_DEP_3)
	v_mul_u32_u24_e32 v16, 0x10001, v16
	v_pk_mul_f16 v11, v11, v17
	s_delay_alu instid0(VALU_DEP_2) | instskip(SKIP_2) | instid1(VALU_DEP_2)
	v_pk_mul_f16 v18, v8, v16
	v_and_b32_e32 v8, 0xffff, v12
	v_lshrrev_b32_e32 v12, 16, v12
	v_mul_u32_u24_e32 v8, 0x10001, v8
	s_delay_alu instid0(VALU_DEP_2) | instskip(NEXT) | instid1(VALU_DEP_2)
	v_mul_u32_u24_e32 v12, 0x10001, v12
	v_pk_mul_f16 v134, v20, v8
	v_pk_fma_f16 v135, v21, v8, v11
	s_delay_alu instid0(VALU_DEP_3)
	v_pk_mul_f16 v8, v20, v12
	v_pk_fma_f16 v12, v21, v12, v18
	v_and_b32_e32 v18, 0xffff, v13
	v_lshrrev_b32_e32 v13, 16, v13
	v_pk_fma_f16 v17, v10, v17, v134
	v_pk_fma_f16 v16, v9, v16, v8
	v_fmac_f32_e32 v83, v19, v133
	v_mul_u32_u24_e32 v18, 0x10001, v18
	v_mul_u32_u24_e32 v13, 0x10001, v13
	v_lshrrev_b32_e32 v19, 16, v14
	v_lshrrev_b32_e32 v133, 16, v15
	ds_load_2addr_b64 v[8:11], v81 offset0:192 offset1:224
	v_pk_fma_f16 v134, v23, v18, v135
	v_pk_fma_f16 v17, v22, v18, v17
	;; [unrolled: 1-line block ×3, first 2 shown]
	v_and_b32_e32 v12, 0xffff, v14
	v_pk_fma_f16 v16, v22, v13, v16
	v_and_b32_e32 v135, 0xffff, v15
	v_mul_u32_u24_e32 v19, 0x10001, v19
	ds_load_2addr_b64 v[20:23], v82 offset1:32
	v_mul_u32_u24_e32 v12, 0x10001, v12
	s_wait_dscnt 0xd
	v_pk_fma_f16 v18, v86, v19, v18
	v_pk_fma_f16 v16, v85, v19, v16
	s_delay_alu instid0(VALU_DEP_3)
	v_pk_fma_f16 v134, v86, v12, v134
	v_pk_fma_f16 v17, v85, v12, v17
	v_mul_u32_u24_e32 v19, 0x10001, v135
	v_lshrrev_b32_e32 v85, 16, v24
	v_and_b32_e32 v135, 0xffff, v27
	ds_load_b128 v[12:15], v73 offset:96
	v_pk_fma_f16 v86, v88, v19, v134
	v_pk_fma_f16 v17, v87, v19, v17
	v_and_b32_e32 v19, 0xffff, v24
	v_mul_u32_u24_e32 v24, 0x10001, v133
	v_lshrrev_b32_e32 v134, 16, v27
	v_mul_u32_u24_e32 v85, 0x10001, v85
	v_lshrrev_b32_e32 v133, 16, v26
	v_and_b32_e32 v26, 0xffff, v26
	v_pk_fma_f16 v88, v88, v24, v18
	v_pk_fma_f16 v24, v87, v24, v16
	v_lshrrev_b32_e32 v87, 16, v25
	v_and_b32_e32 v25, 0xffff, v25
	v_mul_u32_u24_e32 v16, 0x10001, v19
	s_wait_dscnt 0xd
	v_pk_fma_f16 v88, v90, v85, v88
	v_pk_fma_f16 v24, v89, v85, v24
	v_lshrrev_b32_e32 v85, 16, v28
	v_mul_u32_u24_e32 v25, 0x10001, v25
	v_pk_fma_f16 v27, v90, v16, v86
	v_pk_fma_f16 v86, v89, v16, v17
	v_and_b32_e32 v89, 0xffff, v29
	v_lshrrev_b32_e32 v90, 16, v30
	v_and_b32_e32 v28, 0xffff, v28
	v_pk_fma_f16 v27, v92, v25, v27
	v_pk_fma_f16 v25, v91, v25, v86
	v_mul_u32_u24_e32 v86, 0x10001, v87
	v_mul_u32_u24_e32 v90, 0x10001, v90
	;; [unrolled: 1-line block ×3, first 2 shown]
	ds_load_2addr_b64 v[16:19], v82 offset0:64 offset1:96
	v_pk_fma_f16 v87, v92, v86, v88
	v_pk_fma_f16 v86, v91, v86, v24
	v_lshrrev_b32_e32 v92, 16, v31
	v_mul_u32_u24_e32 v24, 0x10001, v26
	v_mul_u32_u24_e32 v31, 0x10001, v133
	v_lshrrev_b32_e32 v88, 16, v29
	v_and_b32_e32 v91, 0xffff, v30
	v_and_b32_e32 v133, 0xffff, v34
	s_wait_dscnt 0xd
	v_pk_fma_f16 v29, v94, v24, v27
	v_pk_fma_f16 v30, v93, v24, v25
	;; [unrolled: 1-line block ×4, first 2 shown]
	v_mul_u32_u24_e32 v93, 0x10001, v135
	v_lshrrev_b32_e32 v86, 16, v32
	v_and_b32_e32 v135, 0xffff, v35
	v_lshrrev_b32_e32 v94, 16, v33
	ds_load_2addr_b64 v[24:27], v82 offset0:128 offset1:160
	v_pk_fma_f16 v29, v96, v93, v29
	v_pk_fma_f16 v30, v95, v93, v30
	v_and_b32_e32 v93, 0xffff, v32
	v_mul_u32_u24_e32 v32, 0x10001, v134
	v_lshrrev_b32_e32 v134, 16, v35
	v_mul_u32_u24_e32 v35, 0x10001, v85
	v_mul_u32_u24_e32 v86, 0x10001, v86
	s_delay_alu instid0(VALU_DEP_4)
	v_pk_fma_f16 v87, v96, v32, v87
	v_pk_fma_f16 v32, v95, v32, v31
	v_and_b32_e32 v95, 0xffff, v33
	v_lshrrev_b32_e32 v96, 16, v34
	s_wait_dscnt 0xd
	v_pk_fma_f16 v33, v98, v28, v29
	v_pk_fma_f16 v34, v97, v28, v30
	;; [unrolled: 1-line block ×4, first 2 shown]
	v_mul_u32_u24_e32 v35, 0x10001, v89
	ds_load_b128 v[28:31], v73 offset:112
	s_wait_dscnt 0x7
	v_lshrrev_b32_e32 v87, 16, v125
	v_and_b32_e32 v97, 0xffff, v125
	v_lshrrev_b32_e32 v98, 16, v126
	v_pk_fma_f16 v33, v100, v35, v33
	v_pk_fma_f16 v34, v99, v35, v34
	v_mul_u32_u24_e32 v35, 0x10001, v88
	v_and_b32_e32 v125, 0xffff, v127
	v_mul_u32_u24_e32 v95, 0x10001, v95
	v_mul_u32_u24_e32 v96, 0x10001, v96
	;; [unrolled: 1-line block ×3, first 2 shown]
	v_pk_fma_f16 v85, v100, v35, v85
	v_pk_fma_f16 v88, v99, v35, v32
	v_mul_u32_u24_e32 v32, 0x10001, v91
	v_and_b32_e32 v99, 0xffff, v126
	v_lshrrev_b32_e32 v100, 16, v127
	v_pk_fma_f16 v85, v102, v90, v85
	v_pk_fma_f16 v88, v101, v90, v88
	;; [unrolled: 1-line block ×3, first 2 shown]
	v_mul_u32_u24_e32 v90, 0x10001, v136
	v_pk_fma_f16 v91, v101, v32, v34
	v_lshrrev_b32_e32 v126, 16, v128
	v_and_b32_e32 v127, 0xffff, v128
	ds_load_2addr_b64 v[32:35], v82 offset0:192 offset1:224
	v_pk_fma_f16 v102, v104, v90, v89
	v_mul_u32_u24_e32 v89, 0x10001, v92
	s_wait_loadcnt_dscnt 0x0
	s_barrier_signal -1
	s_barrier_wait -1
	global_inv scope:SCOPE_SE
	v_pk_fma_f16 v128, v103, v90, v91
	v_pk_fma_f16 v85, v104, v89, v85
	;; [unrolled: 1-line block ×3, first 2 shown]
	global_load_b128 v[89:92], v[6:7], off
	v_mul_u32_u24_e32 v6, 0x10001, v93
	v_mul_u32_u24_e32 v87, 0x10001, v87
	v_pk_fma_f16 v85, v106, v86, v85
	v_pk_fma_f16 v86, v105, v86, v88
	v_lshrrev_b32_e32 v88, 16, v12
	v_pk_fma_f16 v93, v106, v6, v102
	v_pk_fma_f16 v102, v105, v6, v128
	v_and_b32_e32 v105, 0xffff, v13
	v_lshrrev_b32_e32 v106, 16, v14
	v_and_b32_e32 v128, 0xffff, v15
	v_pk_fma_f16 v93, v108, v95, v93
	v_pk_fma_f16 v95, v107, v95, v102
	v_and_b32_e32 v102, 0xffff, v12
	v_mul_u32_u24_e32 v12, 0x10001, v94
	v_lshrrev_b32_e32 v94, 16, v13
	global_load_b128 v[4:7], v[4:5], off
	v_mul_u32_u24_e32 v99, 0x10001, v99
	v_mul_u32_u24_e32 v98, 0x10001, v98
	v_pk_fma_f16 v85, v108, v12, v85
	v_pk_fma_f16 v86, v107, v12, v86
	v_and_b32_e32 v107, 0xffff, v14
	v_lshrrev_b32_e32 v108, 16, v15
	global_load_b128 v[12:15], v[2:3], off
	v_mul_u32_u24_e32 v2, 0x10001, v133
	v_pk_fma_f16 v86, v109, v96, v86
	v_pk_fma_f16 v85, v110, v96, v85
	v_mul_u32_u24_e32 v100, 0x10001, v100
	v_lshrrev_b32_e32 v101, 16, v129
	v_pk_fma_f16 v93, v110, v2, v93
	v_pk_fma_f16 v95, v109, v2, v95
	global_load_b128 v[0:3], v[0:1], off
	v_mul_u32_u24_e32 v109, 0x10001, v135
	v_and_b32_e32 v129, 0xffff, v129
	v_mul_u32_u24_e32 v126, 0x10001, v126
	v_lshrrev_b32_e32 v103, 16, v130
	v_and_b32_e32 v104, 0xffff, v130
	v_pk_fma_f16 v93, v112, v109, v93
	v_pk_fma_f16 v95, v111, v109, v95
	v_mul_u32_u24_e32 v109, 0x10001, v134
	v_mul_u32_u24_e32 v101, 0x10001, v101
	v_lshrrev_b32_e32 v130, 16, v131
	v_pk_fma_f16 v93, v114, v97, v93
	v_pk_fma_f16 v95, v113, v97, v95
	;; [unrolled: 1-line block ×4, first 2 shown]
	v_mul_u32_u24_e32 v112, 0x10001, v125
	v_mul_u32_u24_e32 v125, 0x10001, v127
	;; [unrolled: 1-line block ×3, first 2 shown]
	v_pk_fma_f16 v85, v114, v87, v85
	v_pk_fma_f16 v86, v113, v87, v86
	;; [unrolled: 1-line block ×4, first 2 shown]
	v_and_b32_e32 v131, 0xffff, v131
	v_pk_fma_f16 v85, v116, v98, v85
	v_pk_fma_f16 v86, v115, v98, v86
	;; [unrolled: 1-line block ×4, first 2 shown]
	v_mul_u32_u24_e32 v104, 0x10001, v104
	v_pk_fma_f16 v85, v118, v100, v85
	v_pk_fma_f16 v86, v117, v100, v86
	;; [unrolled: 1-line block ×4, first 2 shown]
	v_mul_u32_u24_e32 v103, 0x10001, v103
	v_pk_fma_f16 v85, v120, v126, v85
	v_pk_fma_f16 v86, v119, v126, v86
	;; [unrolled: 1-line block ×4, first 2 shown]
	v_lshrrev_b32_e32 v136, 16, v132
	v_pk_fma_f16 v85, v122, v101, v85
	v_pk_fma_f16 v86, v121, v101, v86
	v_and_b32_e32 v132, 0xffff, v132
	v_mul_u32_u24_e32 v129, 0x10001, v131
	v_mul_u32_u24_e32 v130, 0x10001, v130
	v_pk_fma_f16 v87, v124, v104, v87
	v_pk_fma_f16 v85, v124, v103, v85
	v_pk_fma_f16 v93, v123, v104, v93
	v_pk_fma_f16 v86, v123, v103, v86
	v_mul_u32_u24_e32 v131, 0x10001, v132
	v_mul_u32_u24_e32 v132, 0x10001, v136
	v_pk_fma_f16 v87, v9, v129, v87
	v_pk_fma_f16 v9, v9, v130, v85
	v_pk_fma_f16 v85, v8, v129, v93
	v_pk_fma_f16 v8, v8, v130, v86
	;; [unrolled: 6-line block ×5, first 2 shown]
	v_lshrrev_b32_e32 v96, 16, v28
	v_and_b32_e32 v28, 0xffff, v28
	v_mul_u32_u24_e32 v128, 0x10001, v128
	v_mul_u32_u24_e32 v108, 0x10001, v108
	v_pk_fma_f16 v10, v17, v107, v10
	v_pk_fma_f16 v9, v17, v106, v9
	v_pk_fma_f16 v11, v16, v107, v11
	v_pk_fma_f16 v8, v16, v106, v8
	v_lshrrev_b32_e32 v109, 16, v29
	v_and_b32_e32 v29, 0xffff, v29
	v_mul_u32_u24_e32 v28, 0x10001, v28
	v_mul_u32_u24_e32 v96, 0x10001, v96
	v_pk_fma_f16 v10, v19, v128, v10
	v_pk_fma_f16 v9, v19, v108, v9
	v_pk_fma_f16 v11, v18, v128, v11
	v_pk_fma_f16 v8, v18, v108, v8
	;; [unrolled: 8-line block ×4, first 2 shown]
	v_mul_u32_u24_e32 v31, 0x10001, v31
	v_mul_u32_u24_e32 v111, 0x10001, v111
	v_pk_fma_f16 v10, v33, v30, v10
	v_pk_fma_f16 v9, v33, v110, v9
	;; [unrolled: 1-line block ×4, first 2 shown]
	s_wait_loadcnt 0x3
	ds_store_b128 v72, v[89:92]
	s_wait_loadcnt 0x2
	ds_store_b128 v74, v[4:7]
	s_wait_loadcnt 0x1
	ds_store_b128 v75, v[12:15]
	s_wait_loadcnt 0x0
	ds_store_b128 v76, v[0:3]
	v_pk_fma_f16 v87, v35, v31, v10
	v_pk_fma_f16 v85, v35, v111, v9
	;; [unrolled: 1-line block ×4, first 2 shown]
	s_wait_dscnt 0x0
	s_barrier_signal -1
	s_barrier_wait -1
	global_inv scope:SCOPE_SE
	ds_load_b128 v[32:35], v73 offset:128
	ds_load_b128 v[28:31], v73 offset:144
	ds_load_2addr_b64 v[24:27], v59 offset1:32
	ds_load_b128 v[20:23], v73 offset:160
	ds_load_b128 v[0:3], v73 offset:176
	ds_load_2addr_b64 v[16:19], v59 offset0:64 offset1:96
	ds_load_2addr_b64 v[12:15], v59 offset0:128 offset1:160
	;; [unrolled: 1-line block ×3, first 2 shown]
	ds_load_2addr_b64 v[4:7], v80 offset1:32
	ds_load_b128 v[89:92], v73 offset:192
	ds_load_b128 v[93:96], v73 offset:208
	;; [unrolled: 1-line block ×4, first 2 shown]
	ds_load_2addr_b64 v[105:108], v80 offset0:64 offset1:96
	ds_load_2addr_b64 v[109:112], v80 offset0:128 offset1:160
	;; [unrolled: 1-line block ×3, first 2 shown]
	ds_load_2addr_b64 v[117:120], v81 offset1:32
	ds_load_2addr_b64 v[121:124], v81 offset0:64 offset1:96
	s_wait_dscnt 0x11
	v_lshrrev_b32_e32 v125, 16, v32
	v_and_b32_e32 v32, 0xffff, v32
	s_wait_dscnt 0x10
	v_lshrrev_b32_e32 v129, 16, v28
	v_and_b32_e32 v130, 0xffff, v28
	v_lshrrev_b32_e32 v126, 16, v33
	v_and_b32_e32 v33, 0xffff, v33
	v_mul_u32_u24_e32 v28, 0x10001, v32
	v_lshrrev_b32_e32 v127, 16, v34
	v_and_b32_e32 v34, 0xffff, v34
	v_lshrrev_b32_e32 v128, 16, v35
	v_mul_u32_u24_e32 v33, 0x10001, v33
	s_wait_dscnt 0xf
	v_pk_fma_f16 v32, v24, v28, v88
	v_mul_u32_u24_e32 v88, 0x10001, v125
	v_pk_fma_f16 v87, v25, v28, v87
	v_and_b32_e32 v35, 0xffff, v35
	v_and_b32_e32 v132, 0xffff, v29
	v_pk_fma_f16 v32, v26, v33, v32
	v_pk_fma_f16 v24, v24, v88, v86
	;; [unrolled: 1-line block ×3, first 2 shown]
	s_wait_dscnt 0xe
	v_lshrrev_b32_e32 v85, 16, v20
	v_and_b32_e32 v86, 0xffff, v20
	v_mul_u32_u24_e32 v20, 0x10001, v126
	v_pk_fma_f16 v33, v27, v33, v87
	v_mul_u32_u24_e32 v129, 0x10001, v129
	v_lshrrev_b32_e32 v131, 16, v29
	v_lshrrev_b32_e32 v133, 16, v30
	v_pk_fma_f16 v24, v26, v20, v24
	v_pk_fma_f16 v25, v27, v20, v25
	v_mul_u32_u24_e32 v20, 0x10001, v34
	v_mul_u32_u24_e32 v34, 0x10001, v127
	v_and_b32_e32 v134, 0xffff, v30
	v_and_b32_e32 v136, 0xffff, v31
	v_mul_u32_u24_e32 v133, 0x10001, v133
	s_wait_dscnt 0xc
	v_pk_fma_f16 v32, v16, v20, v32
	v_pk_fma_f16 v33, v17, v20, v33
	;; [unrolled: 1-line block ×3, first 2 shown]
	v_mul_u32_u24_e32 v25, 0x10001, v35
	v_pk_fma_f16 v16, v16, v34, v24
	v_lshrrev_b32_e32 v24, 16, v0
	v_lshrrev_b32_e32 v135, 16, v31
	;; [unrolled: 1-line block ×3, first 2 shown]
	v_pk_fma_f16 v32, v18, v25, v32
	v_pk_fma_f16 v25, v19, v25, v33
	v_and_b32_e32 v33, 0xffff, v0
	v_mul_u32_u24_e32 v0, 0x10001, v128
	v_and_b32_e32 v27, 0xffff, v21
	v_mul_u32_u24_e32 v85, 0x10001, v85
	;; [unrolled: 2-line block ×3, first 2 shown]
	v_pk_fma_f16 v16, v18, v0, v16
	v_pk_fma_f16 v17, v19, v0, v17
	v_mul_u32_u24_e32 v0, 0x10001, v130
	v_mul_u32_u24_e32 v27, 0x10001, v27
	v_lshrrev_b32_e32 v87, 16, v22
	v_and_b32_e32 v126, 0xffff, v23
	v_lshrrev_b32_e32 v125, 16, v23
	s_wait_dscnt 0xb
	v_pk_fma_f16 v32, v12, v0, v32
	v_pk_fma_f16 v25, v13, v0, v25
	;; [unrolled: 1-line block ×3, first 2 shown]
	v_mul_u32_u24_e32 v17, 0x10001, v132
	v_pk_fma_f16 v12, v12, v129, v16
	s_wait_dscnt 0x8
	v_lshrrev_b32_e32 v16, 16, v89
	v_mul_u32_u24_e32 v87, 0x10001, v87
	v_lshrrev_b32_e32 v18, 16, v1
	v_pk_fma_f16 v32, v14, v17, v32
	v_pk_fma_f16 v17, v15, v17, v25
	v_and_b32_e32 v25, 0xffff, v89
	v_mul_u32_u24_e32 v89, 0x10001, v131
	v_and_b32_e32 v19, 0xffff, v1
	v_mul_u32_u24_e32 v33, 0x10001, v33
	v_mul_u32_u24_e32 v24, 0x10001, v24
	v_lshrrev_b32_e32 v34, 16, v2
	v_pk_fma_f16 v129, v14, v89, v12
	v_mul_u32_u24_e32 v12, 0x10001, v134
	v_pk_fma_f16 v89, v15, v89, v13
	v_and_b32_e32 v35, 0xffff, v2
	v_mul_u32_u24_e32 v19, 0x10001, v19
	v_mul_u32_u24_e32 v18, 0x10001, v18
	v_pk_fma_f16 v32, v8, v12, v32
	v_pk_fma_f16 v17, v9, v12, v17
	;; [unrolled: 1-line block ×3, first 2 shown]
	v_mul_u32_u24_e32 v129, 0x10001, v136
	v_pk_fma_f16 v9, v9, v133, v89
	v_lshrrev_b32_e32 v127, 16, v3
	v_and_b32_e32 v128, 0xffff, v3
	v_mul_u32_u24_e32 v35, 0x10001, v35
	v_pk_fma_f16 v32, v10, v129, v32
	v_pk_fma_f16 v17, v11, v129, v17
	v_mul_u32_u24_e32 v129, 0x10001, v135
	v_mul_u32_u24_e32 v34, 0x10001, v34
	v_lshrrev_b32_e32 v130, 16, v90
	v_and_b32_e32 v90, 0xffff, v90
	v_mul_u32_u24_e32 v25, 0x10001, v25
	v_pk_fma_f16 v133, v10, v129, v8
	v_mul_u32_u24_e32 v8, 0x10001, v86
	v_pk_fma_f16 v129, v11, v129, v9
	v_mul_u32_u24_e32 v16, 0x10001, v16
	ds_load_2addr_b64 v[28:31], v81 offset0:128 offset1:160
	v_lshrrev_b32_e32 v131, 16, v91
	v_pk_fma_f16 v32, v4, v8, v32
	v_pk_fma_f16 v17, v5, v8, v17
	;; [unrolled: 1-line block ×4, first 2 shown]
	v_and_b32_e32 v91, 0xffff, v91
	v_pk_fma_f16 v32, v6, v27, v32
	v_pk_fma_f16 v17, v7, v27, v17
	;; [unrolled: 1-line block ×3, first 2 shown]
	v_mul_u32_u24_e32 v4, 0x10001, v88
	v_pk_fma_f16 v26, v7, v26, v5
	v_mul_u32_u24_e32 v88, 0x10001, v126
	v_mul_u32_u24_e32 v90, 0x10001, v90
	s_wait_dscnt 0x5
	v_pk_fma_f16 v86, v105, v87, v86
	v_pk_fma_f16 v32, v105, v4, v32
	;; [unrolled: 1-line block ×4, first 2 shown]
	v_lshrrev_b32_e32 v87, 16, v101
	v_lshrrev_b32_e32 v132, 16, v92
	v_pk_fma_f16 v32, v107, v88, v32
	v_pk_fma_f16 v17, v108, v88, v17
	v_and_b32_e32 v88, 0xffff, v101
	v_mul_u32_u24_e32 v101, 0x10001, v125
	v_mul_u32_u24_e32 v125, 0x10001, v130
	s_wait_dscnt 0x4
	v_pk_fma_f16 v32, v109, v33, v32
	v_pk_fma_f16 v17, v110, v33, v17
	v_and_b32_e32 v92, 0xffff, v92
	v_pk_fma_f16 v86, v107, v101, v86
	v_pk_fma_f16 v26, v108, v101, v26
	;; [unrolled: 1-line block ×4, first 2 shown]
	v_mul_u32_u24_e32 v107, 0x10001, v128
	v_pk_fma_f16 v86, v109, v24, v86
	v_pk_fma_f16 v24, v110, v24, v26
	v_mul_u32_u24_e32 v108, 0x10001, v127
	s_wait_dscnt 0x3
	v_pk_fma_f16 v17, v114, v35, v17
	v_mul_u32_u24_e32 v91, 0x10001, v91
	v_pk_fma_f16 v33, v111, v18, v86
	v_pk_fma_f16 v18, v112, v18, v24
	v_pk_fma_f16 v24, v113, v35, v32
	v_pk_fma_f16 v17, v116, v107, v17
	v_mul_u32_u24_e32 v126, 0x10001, v131
	v_pk_fma_f16 v32, v113, v34, v33
	v_pk_fma_f16 v18, v114, v34, v18
	;; [unrolled: 1-line block ×3, first 2 shown]
	s_wait_dscnt 0x2
	v_pk_fma_f16 v17, v118, v25, v17
	ds_load_2addr_b64 v[20:23], v81 offset0:192 offset1:224
	v_pk_fma_f16 v32, v115, v108, v32
	v_pk_fma_f16 v18, v116, v108, v18
	v_pk_fma_f16 v24, v117, v25, v24
	v_pk_fma_f16 v17, v120, v90, v17
	v_lshrrev_b32_e32 v89, 16, v93
	v_pk_fma_f16 v32, v117, v16, v32
	v_pk_fma_f16 v16, v118, v16, v18
	;; [unrolled: 1-line block ×3, first 2 shown]
	v_and_b32_e32 v93, 0xffff, v93
	v_mul_u32_u24_e32 v92, 0x10001, v92
	v_pk_fma_f16 v25, v119, v125, v32
	v_pk_fma_f16 v16, v120, v125, v16
	v_mul_u32_u24_e32 v127, 0x10001, v132
	s_wait_dscnt 0x2
	v_pk_fma_f16 v24, v121, v91, v24
	v_pk_fma_f16 v17, v122, v91, v17
	;; [unrolled: 1-line block ×4, first 2 shown]
	v_lshrrev_b32_e32 v134, 16, v94
	v_and_b32_e32 v94, 0xffff, v94
	v_mul_u32_u24_e32 v93, 0x10001, v93
	v_mul_u32_u24_e32 v89, 0x10001, v89
	v_pk_fma_f16 v24, v123, v92, v24
	v_pk_fma_f16 v25, v123, v127, v25
	v_pk_fma_f16 v17, v124, v92, v17
	v_pk_fma_f16 v16, v124, v127, v16
	ds_load_2addr_b64 v[0:3], v82 offset1:32
	v_lshrrev_b32_e32 v135, 16, v95
	v_and_b32_e32 v95, 0xffff, v95
	v_mul_u32_u24_e32 v94, 0x10001, v94
	v_mul_u32_u24_e32 v128, 0x10001, v134
	s_wait_dscnt 0x2
	v_pk_fma_f16 v24, v28, v93, v24
	v_pk_fma_f16 v25, v28, v89, v25
	v_pk_fma_f16 v17, v29, v93, v17
	v_pk_fma_f16 v16, v29, v89, v16
	v_lshrrev_b32_e32 v136, 16, v96
	v_and_b32_e32 v96, 0xffff, v96
	v_mul_u32_u24_e32 v95, 0x10001, v95
	v_mul_u32_u24_e32 v130, 0x10001, v135
	v_pk_fma_f16 v24, v30, v94, v24
	v_pk_fma_f16 v25, v30, v128, v25
	v_pk_fma_f16 v17, v31, v94, v17
	v_pk_fma_f16 v16, v31, v128, v16
	ds_load_2addr_b64 v[12:15], v82 offset0:64 offset1:96
	v_lshrrev_b32_e32 v85, 16, v97
	v_and_b32_e32 v27, 0xffff, v97
	v_mul_u32_u24_e32 v26, 0x10001, v96
	v_mul_u32_u24_e32 v19, 0x10001, v136
	s_wait_dscnt 0x2
	v_pk_fma_f16 v24, v20, v95, v24
	v_pk_fma_f16 v20, v20, v130, v25
	v_pk_fma_f16 v17, v21, v95, v17
	v_pk_fma_f16 v16, v21, v130, v16
	v_lshrrev_b32_e32 v97, 16, v98
	v_and_b32_e32 v98, 0xffff, v98
	v_mul_u32_u24_e32 v27, 0x10001, v27
	v_mul_u32_u24_e32 v33, 0x10001, v85
	v_pk_fma_f16 v24, v22, v26, v24
	v_pk_fma_f16 v20, v22, v19, v20
	v_pk_fma_f16 v17, v23, v26, v17
	v_pk_fma_f16 v16, v23, v19, v16
	ds_load_2addr_b64 v[8:11], v82 offset0:128 offset1:160
	;; [unrolled: 18-line block ×3, first 2 shown]
	v_mul_u32_u24_e32 v28, 0x10001, v100
	v_mul_u32_u24_e32 v29, 0x10001, v133
	s_wait_dscnt 0x2
	v_pk_fma_f16 v17, v12, v34, v20
	v_pk_fma_f16 v0, v12, v35, v0
	;; [unrolled: 1-line block ×4, first 2 shown]
	s_wait_loadcnt_dscnt 0x0
	s_barrier_signal -1
	s_barrier_wait -1
	global_inv scope:SCOPE_SE
	s_load_b32 s2, s[42:43], 0x4
	v_lshrrev_b32_e32 v101, 16, v102
	v_and_b32_e32 v102, 0xffff, v102
	v_mul_u32_u24_e32 v21, 0x10001, v88
	v_mul_u32_u24_e32 v19, 0x10001, v87
	v_pk_fma_f16 v13, v14, v28, v17
	v_pk_fma_f16 v0, v14, v29, v0
	v_pk_fma_f16 v2, v15, v28, v2
	v_pk_fma_f16 v1, v15, v29, v1
	v_lshrrev_b32_e32 v105, 16, v103
	v_and_b32_e32 v103, 0xffff, v103
	v_mul_u32_u24_e32 v16, 0x10001, v102
	v_mul_u32_u24_e32 v3, 0x10001, v101
	v_pk_fma_f16 v13, v8, v21, v13
	v_pk_fma_f16 v0, v8, v19, v0
	v_pk_fma_f16 v2, v9, v21, v2
	v_pk_fma_f16 v1, v9, v19, v1
	;; [unrolled: 8-line block ×3, first 2 shown]
	v_mul_u32_u24_e32 v8, 0x10001, v104
	v_mul_u32_u24_e32 v3, 0x10001, v106
	v_pk_fma_f16 v9, v4, v12, v9
	v_pk_fma_f16 v0, v4, v14, v0
	;; [unrolled: 1-line block ×4, first 2 shown]
	s_wait_kmcnt 0x0
	s_lshl_b32 s2, s2, 6
	v_pk_fma_f16 v10, v6, v8, v9
	v_pk_fma_f16 v9, v6, v3, v0
	;; [unrolled: 1-line block ×4, first 2 shown]
	s_wait_alu 0xfffe
	s_add_co_i32 s18, s2, s18
	s_wait_alu 0xfffe
	s_cmp_ge_i32 s18, s30
	s_cbranch_scc0 .LBB27_9
; %bb.10:
	v_dual_mov_b32 v4, 32 :: v_dual_mov_b32 v5, v60
.LBB27_11:
	s_delay_alu instid0(VALU_DEP_1)
	v_cmp_lt_i32_e32 vcc_lo, v65, v4
	s_cmp_lg_u64 s[16:17], 0
	s_cselect_b32 s2, -1, 0
	s_cmp_eq_u32 s14, 0
	s_wait_alu 0xfffd
	v_cndmask_b32_e32 v0, v5, v65, vcc_lo
	v_cmp_lt_i32_e32 vcc_lo, v64, v4
	s_cselect_b32 s3, -1, 0
	s_wait_alu 0xfffe
	s_and_b32 s2, s3, s2
	v_lshlrev_b32_e32 v0, 2, v0
	s_wait_alu 0xfffd
	v_cndmask_b32_e32 v2, v5, v64, vcc_lo
	v_cmp_lt_i32_e32 vcc_lo, v63, v4
	ds_bpermute_b32 v1, v0, v84
	s_wait_alu 0xfffd
	v_cndmask_b32_e32 v6, v5, v63, vcc_lo
	v_cmp_lt_i32_e32 vcc_lo, v62, v4
	s_wait_dscnt 0x0
	s_delay_alu instid0(VALU_DEP_2)
	v_dual_add_f32 v1, v84, v1 :: v_dual_lshlrev_b32 v6, 2, v6
	v_lshlrev_b32_e32 v2, 2, v2
	ds_bpermute_b32 v0, v0, v83
	ds_bpermute_b32 v3, v2, v1
	s_wait_dscnt 0x0
	v_dual_add_f32 v1, v1, v3 :: v_dual_add_f32 v0, v83, v0
	ds_bpermute_b32 v2, v2, v0
	s_wait_dscnt 0x0
	v_add_f32_e32 v0, v0, v2
	ds_bpermute_b32 v2, v6, v1
	ds_bpermute_b32 v3, v6, v0
	s_wait_alu 0xfffd
	v_cndmask_b32_e32 v6, v5, v62, vcc_lo
	v_cmp_lt_i32_e32 vcc_lo, v61, v4
	s_delay_alu instid0(VALU_DEP_2)
	v_lshlrev_b32_e32 v6, 2, v6
	s_wait_alu 0xfffd
	v_cndmask_b32_e32 v4, v5, v61, vcc_lo
	s_wait_alu 0xfffe
	s_and_b32 vcc_lo, exec_lo, s2
	s_wait_dscnt 0x1
	s_delay_alu instid0(VALU_DEP_1)
	v_dual_add_f32 v1, v1, v2 :: v_dual_lshlrev_b32 v4, 2, v4
	ds_bpermute_b32 v2, v6, v1
	s_wait_dscnt 0x0
	v_dual_add_f32 v0, v0, v3 :: v_dual_add_f32 v1, v1, v2
	ds_bpermute_b32 v3, v6, v0
	s_wait_dscnt 0x0
	v_add_f32_e32 v2, v0, v3
	ds_bpermute_b32 v0, v4, v1
	ds_bpermute_b32 v3, v4, v2
	s_wait_dscnt 0x0
	v_dual_add_f32 v0, v1, v0 :: v_dual_add_f32 v1, v2, v3
	s_wait_alu 0xfffe
	s_cbranch_vccz .LBB27_14
; %bb.12:
	v_add_nc_u32_e32 v2, s33, v57
	s_delay_alu instid0(VALU_DEP_1) | instskip(NEXT) | instid1(VALU_DEP_1)
	v_ashrrev_i32_e32 v3, 31, v2
	v_lshlrev_b64_e32 v[2:3], 2, v[2:3]
	s_delay_alu instid0(VALU_DEP_1) | instskip(SKIP_1) | instid1(VALU_DEP_2)
	v_add_co_u32 v2, vcc_lo, s16, v2
	s_wait_alu 0xfffd
	v_add_co_ci_u32_e64 v3, null, s17, v3, vcc_lo
	global_load_b64 v[2:3], v[2:3], off
	v_max_num_f32_e32 v4, v55, v55
	s_wait_loadcnt 0x0
	v_dual_max_num_f32 v6, v56, v56 :: v_dual_max_num_f32 v5, v2, v2
	s_delay_alu instid0(VALU_DEP_1) | instskip(NEXT) | instid1(VALU_DEP_1)
	v_dual_max_num_f32 v7, v3, v3 :: v_dual_max_num_f32 v4, v4, v5
	v_dual_max_num_f32 v5, v6, v7 :: v_dual_sub_f32 v6, v55, v4
	s_delay_alu instid0(VALU_DEP_1) | instskip(SKIP_2) | instid1(VALU_DEP_4)
	v_sub_f32_e32 v7, v56, v5
	v_dual_sub_f32 v3, v3, v5 :: v_dual_sub_f32 v2, v2, v4
	v_mov_b32_e32 v56, v5
	v_cmp_ngt_f32_e32 vcc_lo, 0xc2ce8ed0, v6
	s_delay_alu instid0(VALU_DEP_4) | instskip(NEXT) | instid1(VALU_DEP_4)
	v_mul_f32_e32 v14, 0x3fb8aa3b, v7
	v_mul_f32_e32 v15, 0x3fb8aa3b, v3
	;; [unrolled: 1-line block ×3, first 2 shown]
	v_mov_b32_e32 v55, v4
	s_delay_alu instid0(VALU_DEP_4) | instskip(SKIP_1) | instid1(VALU_DEP_4)
	v_fma_f32 v19, 0x3fb8aa3b, v7, -v14
	v_rndne_f32_e32 v20, v14
	v_rndne_f32_e32 v21, v13
	v_mul_f32_e32 v12, 0x3fb8aa3b, v6
	v_fma_f32 v18, 0x3fb8aa3b, v2, -v13
	v_fma_f32 v22, 0x3fb8aa3b, v3, -v15
	v_rndne_f32_e32 v23, v15
	v_sub_f32_e32 v13, v13, v21
	v_fma_f32 v16, 0x3fb8aa3b, v6, -v12
	v_rndne_f32_e32 v17, v12
	v_dual_fmac_f32 v19, 0x32a5705f, v7 :: v_dual_fmac_f32 v18, 0x32a5705f, v2
	v_sub_f32_e32 v14, v14, v20
	s_delay_alu instid0(VALU_DEP_4) | instskip(NEXT) | instid1(VALU_DEP_4)
	v_fmac_f32_e32 v16, 0x32a5705f, v6
	v_dual_sub_f32 v12, v12, v17 :: v_dual_sub_f32 v15, v15, v23
	s_delay_alu instid0(VALU_DEP_4) | instskip(NEXT) | instid1(VALU_DEP_4)
	v_dual_fmac_f32 v22, 0x32a5705f, v3 :: v_dual_add_f32 v13, v13, v18
	v_add_f32_e32 v14, v14, v19
	s_delay_alu instid0(VALU_DEP_3) | instskip(SKIP_1) | instid1(VALU_DEP_4)
	v_add_f32_e32 v12, v12, v16
	v_cvt_i32_f32_e32 v16, v17
	v_add_f32_e32 v15, v15, v22
	v_cvt_i32_f32_e32 v17, v20
	v_exp_f32_e32 v14, v14
	v_exp_f32_e32 v12, v12
	;; [unrolled: 1-line block ×3, first 2 shown]
	v_cvt_i32_f32_e32 v18, v21
	v_exp_f32_e32 v15, v15
	v_ldexp_f32 v14, v14, v17
	s_delay_alu instid0(TRANS32_DEP_3) | instskip(SKIP_1) | instid1(TRANS32_DEP_2)
	v_ldexp_f32 v12, v12, v16
	v_cvt_i32_f32_e32 v16, v23
	v_ldexp_f32 v13, v13, v18
	s_wait_alu 0xfffd
	s_delay_alu instid0(VALU_DEP_3)
	v_cndmask_b32_e32 v12, 0, v12, vcc_lo
	v_cmp_ngt_f32_e32 vcc_lo, 0xc2ce8ed0, v7
	s_wait_alu 0xfffd
	v_cndmask_b32_e32 v14, 0, v14, vcc_lo
	v_cmp_nlt_f32_e32 vcc_lo, 0x42b17218, v6
	s_wait_alu 0xfffd
	v_cndmask_b32_e32 v6, 0x7f800000, v12, vcc_lo
	v_cmp_nlt_f32_e32 vcc_lo, 0x42b17218, v7
	v_ldexp_f32 v12, v15, v16
	s_wait_alu 0xfffd
	v_cndmask_b32_e32 v7, 0x7f800000, v14, vcc_lo
	v_cmp_ngt_f32_e32 vcc_lo, 0xc2ce8ed0, v2
	s_wait_alu 0xfffd
	v_cndmask_b32_e32 v13, 0, v13, vcc_lo
	v_cmp_ngt_f32_e32 vcc_lo, 0xc2ce8ed0, v3
	s_wait_alu 0xfffd
	v_cndmask_b32_e32 v12, 0, v12, vcc_lo
	v_cmp_nlt_f32_e32 vcc_lo, 0x42b17218, v2
	s_wait_alu 0xfffd
	v_cndmask_b32_e32 v2, 0x7f800000, v13, vcc_lo
	v_cmp_nlt_f32_e32 vcc_lo, 0x42b17218, v3
	s_wait_alu 0xfffd
	v_cndmask_b32_e32 v3, 0x7f800000, v12, vcc_lo
	s_delay_alu instid0(VALU_DEP_1) | instskip(NEXT) | instid1(VALU_DEP_1)
	v_fmac_f32_e32 v3, v1, v7
	v_dual_mov_b32 v1, v3 :: v_dual_fmac_f32 v2, v0, v6
	v_cvt_f16_f32_e32 v14, v6
	s_delay_alu instid0(VALU_DEP_2) | instskip(SKIP_1) | instid1(VALU_DEP_3)
	v_mov_b32_e32 v0, v2
	v_cvt_f16_f32_e32 v15, v7
	v_and_b32_e32 v13, 0xffff, v14
	s_delay_alu instid0(VALU_DEP_2) | instskip(NEXT) | instid1(VALU_DEP_2)
	v_and_b32_e32 v14, 0xffff, v15
	v_mul_u32_u24_e32 v6, 0x10001, v13
	s_delay_alu instid0(VALU_DEP_2) | instskip(NEXT) | instid1(VALU_DEP_2)
	v_mul_u32_u24_e32 v4, 0x10001, v14
	v_pk_mul_f16 v10, v10, v6
	v_pk_mul_f16 v11, v11, v6
	s_delay_alu instid0(VALU_DEP_3)
	v_pk_mul_f16 v9, v9, v4
	v_pk_mul_f16 v8, v8, v4
	s_mov_b32 s2, exec_lo
	v_cmpx_gt_i32_e64 s26, v36
	s_cbranch_execnz .LBB27_15
.LBB27_13:
	s_nop 0
	s_sendmsg sendmsg(MSG_DEALLOC_VGPRS)
	s_endpgm
.LBB27_14:
	s_delay_alu instid0(VALU_DEP_1)
	v_dual_mov_b32 v3, v1 :: v_dual_mov_b32 v2, v0
	s_mov_b32 s2, exec_lo
	v_cmpx_gt_i32_e64 s26, v36
	s_cbranch_execz .LBB27_13
.LBB27_15:
	s_load_b32 s1, s[0:1], 0xd4
	v_mov_b32_e32 v6, 1.0
	s_wait_kmcnt 0x0
	s_cmp_lg_u32 s1, 1
	s_cselect_b32 s3, -1, 0
	s_cmp_eq_u32 s1, 1
	s_cselect_b32 s2, -1, 0
	s_wait_alu 0xfffe
	s_and_b32 vcc_lo, exec_lo, s3
	s_wait_alu 0xfffe
	s_cbranch_vccnz .LBB27_17
; %bb.16:
	v_div_scale_f32 v4, null, v0, v0, 1.0
	s_delay_alu instid0(VALU_DEP_1) | instskip(NEXT) | instid1(TRANS32_DEP_1)
	v_rcp_f32_e32 v5, v4
	v_fma_f32 v6, -v4, v5, 1.0
	s_delay_alu instid0(VALU_DEP_1) | instskip(SKIP_1) | instid1(VALU_DEP_1)
	v_fmac_f32_e32 v5, v6, v5
	v_div_scale_f32 v6, vcc_lo, 1.0, v0, 1.0
	v_mul_f32_e32 v7, v6, v5
	s_delay_alu instid0(VALU_DEP_1) | instskip(NEXT) | instid1(VALU_DEP_1)
	v_fma_f32 v12, -v4, v7, v6
	v_fmac_f32_e32 v7, v12, v5
	s_delay_alu instid0(VALU_DEP_1) | instskip(SKIP_1) | instid1(VALU_DEP_1)
	v_fma_f32 v4, -v4, v7, v6
	s_wait_alu 0xfffd
	v_div_fmas_f32 v4, v4, v5, v7
	s_delay_alu instid0(VALU_DEP_1)
	v_div_fixup_f32 v6, v4, v0, 1.0
.LBB27_17:
	v_mad_co_u64_u32 v[4:5], null, s28, s26, v[36:37]
	v_cvt_f32_f16_e32 v7, v10
	v_mov_b32_e32 v13, 0
	v_cmp_eq_u32_e32 vcc_lo, 0, v37
	s_delay_alu instid0(VALU_DEP_4) | instskip(NEXT) | instid1(VALU_DEP_1)
	v_mul_lo_u32 v0, v4, s27
	v_add3_u32 v0, s33, v57, v0
	s_delay_alu instid0(VALU_DEP_1) | instskip(SKIP_4) | instid1(VALU_DEP_4)
	v_mad_co_u64_u32 v[4:5], null, s1, v0, s[14:15]
	v_lshrrev_b32_e32 v5, 16, v11
	v_lshrrev_b32_e32 v0, 16, v10
	v_mul_f32_e32 v10, v6, v7
	v_cvt_f32_f16_e32 v11, v11
	v_cvt_f32_f16_e32 v5, v5
	v_lshl_add_u32 v12, v4, 7, v58
	v_cvt_f32_f16_e32 v0, v0
	s_delay_alu instid0(VALU_DEP_2) | instskip(NEXT) | instid1(VALU_DEP_4)
	v_lshlrev_b64_e32 v[14:15], 2, v[12:13]
	v_mul_f32_e32 v13, v6, v5
	v_mul_f32_e32 v12, v6, v11
	s_delay_alu instid0(VALU_DEP_4) | instskip(NEXT) | instid1(VALU_DEP_4)
	v_mul_f32_e32 v11, v6, v0
	v_add_co_u32 v5, s0, s20, v14
	s_wait_alu 0xf1ff
	v_add_co_ci_u32_e64 v6, null, s21, v15, s0
	s_and_b32 s0, vcc_lo, s3
	global_store_b128 v[5:6], v[10:13], off
	s_wait_alu 0xfffe
	s_and_saveexec_b32 s3, s0
	s_cbranch_execz .LBB27_19
; %bb.18:
	v_ashrrev_i32_e32 v5, 31, v4
	v_dual_mov_b32 v10, v55 :: v_dual_mov_b32 v11, v2
	s_delay_alu instid0(VALU_DEP_2) | instskip(NEXT) | instid1(VALU_DEP_1)
	v_lshlrev_b64_e32 v[5:6], 3, v[4:5]
	v_add_co_u32 v5, vcc_lo, s22, v5
	s_wait_alu 0xfffd
	s_delay_alu instid0(VALU_DEP_2)
	v_add_co_ci_u32_e64 v6, null, s23, v6, vcc_lo
	global_store_b64 v[5:6], v[10:11], off
.LBB27_19:
	s_wait_alu 0xfffe
	s_or_b32 exec_lo, exec_lo, s3
	v_mov_b32_e32 v2, 1.0
	s_and_not1_b32 vcc_lo, exec_lo, s2
	s_wait_alu 0xfffe
	s_cbranch_vccnz .LBB27_21
; %bb.20:
	v_div_scale_f32 v0, null, v1, v1, 1.0
	s_delay_alu instid0(VALU_DEP_1) | instskip(NEXT) | instid1(TRANS32_DEP_1)
	v_rcp_f32_e32 v2, v0
	v_fma_f32 v5, -v0, v2, 1.0
	s_delay_alu instid0(VALU_DEP_1) | instskip(SKIP_1) | instid1(VALU_DEP_1)
	v_fmac_f32_e32 v2, v5, v2
	v_div_scale_f32 v5, vcc_lo, 1.0, v1, 1.0
	v_mul_f32_e32 v6, v5, v2
	s_delay_alu instid0(VALU_DEP_1) | instskip(NEXT) | instid1(VALU_DEP_1)
	v_fma_f32 v7, -v0, v6, v5
	v_fmac_f32_e32 v6, v7, v2
	s_delay_alu instid0(VALU_DEP_1) | instskip(SKIP_1) | instid1(VALU_DEP_1)
	v_fma_f32 v0, -v0, v6, v5
	s_wait_alu 0xfffd
	v_div_fmas_f32 v0, v0, v2, v6
	s_delay_alu instid0(VALU_DEP_1)
	v_div_fixup_f32 v2, v0, v1, 1.0
.LBB27_21:
	v_dual_mov_b32 v5, 0 :: v_dual_add_nc_u32 v0, s1, v4
	v_lshrrev_b32_e32 v1, 16, v9
	v_lshrrev_b32_e32 v6, 16, v8
	v_cvt_f32_f16_e32 v7, v9
	s_delay_alu instid0(VALU_DEP_4) | instskip(SKIP_3) | instid1(VALU_DEP_4)
	v_lshl_add_u32 v4, v0, 7, v58
	v_cvt_f32_f16_e32 v10, v8
	v_cvt_f32_f16_e32 v1, v1
	;; [unrolled: 1-line block ×3, first 2 shown]
	v_lshlrev_b64_e32 v[8:9], 2, v[4:5]
	v_mul_f32_e32 v4, v2, v7
	s_delay_alu instid0(VALU_DEP_4)
	v_mul_f32_e32 v5, v2, v1
	v_mul_f32_e32 v6, v2, v10
	;; [unrolled: 1-line block ×3, first 2 shown]
	v_add_co_u32 v1, vcc_lo, s20, v8
	s_wait_alu 0xfffd
	v_add_co_ci_u32_e64 v2, null, s21, v9, vcc_lo
	global_store_b128 v[1:2], v[4:7], off
	s_and_b32 exec_lo, exec_lo, s0
	s_cbranch_execz .LBB27_13
; %bb.22:
	v_ashrrev_i32_e32 v1, 31, v0
	v_mov_b32_e32 v2, v56
	s_delay_alu instid0(VALU_DEP_2) | instskip(NEXT) | instid1(VALU_DEP_1)
	v_lshlrev_b64_e32 v[0:1], 3, v[0:1]
	v_add_co_u32 v0, vcc_lo, s22, v0
	s_wait_alu 0xfffd
	s_delay_alu instid0(VALU_DEP_2)
	v_add_co_ci_u32_e64 v1, null, s23, v1, vcc_lo
	global_store_b64 v[0:1], v[2:3], off
	s_nop 0
	s_sendmsg sendmsg(MSG_DEALLOC_VGPRS)
	s_endpgm
	.section	.rodata,"a",@progbits
	.p2align	6, 0x0
	.amdhsa_kernel _ZL15flash_attn_tileILi128ELi128ELi2ELi4ELb0EEvPKcS1_S1_S1_S1_PKiPfP15HIP_vector_typeIfLj2EEffffjfiS5_IjLj3EEiiiiiiiiiiiliiliiiiil
		.amdhsa_group_segment_fixed_size 12288
		.amdhsa_private_segment_fixed_size 0
		.amdhsa_kernarg_size 464
		.amdhsa_user_sgpr_count 2
		.amdhsa_user_sgpr_dispatch_ptr 0
		.amdhsa_user_sgpr_queue_ptr 0
		.amdhsa_user_sgpr_kernarg_segment_ptr 1
		.amdhsa_user_sgpr_dispatch_id 0
		.amdhsa_user_sgpr_private_segment_size 0
		.amdhsa_wavefront_size32 1
		.amdhsa_uses_dynamic_stack 0
		.amdhsa_enable_private_segment 0
		.amdhsa_system_sgpr_workgroup_id_x 1
		.amdhsa_system_sgpr_workgroup_id_y 1
		.amdhsa_system_sgpr_workgroup_id_z 1
		.amdhsa_system_sgpr_workgroup_info 0
		.amdhsa_system_vgpr_workitem_id 1
		.amdhsa_next_free_vgpr 137
		.amdhsa_next_free_sgpr 44
		.amdhsa_reserve_vcc 1
		.amdhsa_float_round_mode_32 0
		.amdhsa_float_round_mode_16_64 0
		.amdhsa_float_denorm_mode_32 3
		.amdhsa_float_denorm_mode_16_64 3
		.amdhsa_fp16_overflow 0
		.amdhsa_workgroup_processor_mode 1
		.amdhsa_memory_ordered 1
		.amdhsa_forward_progress 1
		.amdhsa_inst_pref_size 87
		.amdhsa_round_robin_scheduling 0
		.amdhsa_exception_fp_ieee_invalid_op 0
		.amdhsa_exception_fp_denorm_src 0
		.amdhsa_exception_fp_ieee_div_zero 0
		.amdhsa_exception_fp_ieee_overflow 0
		.amdhsa_exception_fp_ieee_underflow 0
		.amdhsa_exception_fp_ieee_inexact 0
		.amdhsa_exception_int_div_zero 0
	.end_amdhsa_kernel
	.section	.text._ZL15flash_attn_tileILi128ELi128ELi2ELi4ELb0EEvPKcS1_S1_S1_S1_PKiPfP15HIP_vector_typeIfLj2EEffffjfiS5_IjLj3EEiiiiiiiiiiiliiliiiiil,"axG",@progbits,_ZL15flash_attn_tileILi128ELi128ELi2ELi4ELb0EEvPKcS1_S1_S1_S1_PKiPfP15HIP_vector_typeIfLj2EEffffjfiS5_IjLj3EEiiiiiiiiiiiliiliiiiil,comdat
.Lfunc_end27:
	.size	_ZL15flash_attn_tileILi128ELi128ELi2ELi4ELb0EEvPKcS1_S1_S1_S1_PKiPfP15HIP_vector_typeIfLj2EEffffjfiS5_IjLj3EEiiiiiiiiiiiliiliiiiil, .Lfunc_end27-_ZL15flash_attn_tileILi128ELi128ELi2ELi4ELb0EEvPKcS1_S1_S1_S1_PKiPfP15HIP_vector_typeIfLj2EEffffjfiS5_IjLj3EEiiiiiiiiiiiliiliiiiil
                                        ; -- End function
	.set _ZL15flash_attn_tileILi128ELi128ELi2ELi4ELb0EEvPKcS1_S1_S1_S1_PKiPfP15HIP_vector_typeIfLj2EEffffjfiS5_IjLj3EEiiiiiiiiiiiliiliiiiil.num_vgpr, 137
	.set _ZL15flash_attn_tileILi128ELi128ELi2ELi4ELb0EEvPKcS1_S1_S1_S1_PKiPfP15HIP_vector_typeIfLj2EEffffjfiS5_IjLj3EEiiiiiiiiiiiliiliiiiil.num_agpr, 0
	.set _ZL15flash_attn_tileILi128ELi128ELi2ELi4ELb0EEvPKcS1_S1_S1_S1_PKiPfP15HIP_vector_typeIfLj2EEffffjfiS5_IjLj3EEiiiiiiiiiiiliiliiiiil.numbered_sgpr, 44
	.set _ZL15flash_attn_tileILi128ELi128ELi2ELi4ELb0EEvPKcS1_S1_S1_S1_PKiPfP15HIP_vector_typeIfLj2EEffffjfiS5_IjLj3EEiiiiiiiiiiiliiliiiiil.num_named_barrier, 0
	.set _ZL15flash_attn_tileILi128ELi128ELi2ELi4ELb0EEvPKcS1_S1_S1_S1_PKiPfP15HIP_vector_typeIfLj2EEffffjfiS5_IjLj3EEiiiiiiiiiiiliiliiiiil.private_seg_size, 0
	.set _ZL15flash_attn_tileILi128ELi128ELi2ELi4ELb0EEvPKcS1_S1_S1_S1_PKiPfP15HIP_vector_typeIfLj2EEffffjfiS5_IjLj3EEiiiiiiiiiiiliiliiiiil.uses_vcc, 1
	.set _ZL15flash_attn_tileILi128ELi128ELi2ELi4ELb0EEvPKcS1_S1_S1_S1_PKiPfP15HIP_vector_typeIfLj2EEffffjfiS5_IjLj3EEiiiiiiiiiiiliiliiiiil.uses_flat_scratch, 0
	.set _ZL15flash_attn_tileILi128ELi128ELi2ELi4ELb0EEvPKcS1_S1_S1_S1_PKiPfP15HIP_vector_typeIfLj2EEffffjfiS5_IjLj3EEiiiiiiiiiiiliiliiiiil.has_dyn_sized_stack, 0
	.set _ZL15flash_attn_tileILi128ELi128ELi2ELi4ELb0EEvPKcS1_S1_S1_S1_PKiPfP15HIP_vector_typeIfLj2EEffffjfiS5_IjLj3EEiiiiiiiiiiiliiliiiiil.has_recursion, 0
	.set _ZL15flash_attn_tileILi128ELi128ELi2ELi4ELb0EEvPKcS1_S1_S1_S1_PKiPfP15HIP_vector_typeIfLj2EEffffjfiS5_IjLj3EEiiiiiiiiiiiliiliiiiil.has_indirect_call, 0
	.section	.AMDGPU.csdata,"",@progbits
; Kernel info:
; codeLenInByte = 11016
; TotalNumSgprs: 46
; NumVgprs: 137
; ScratchSize: 0
; MemoryBound: 0
; FloatMode: 240
; IeeeMode: 1
; LDSByteSize: 12288 bytes/workgroup (compile time only)
; SGPRBlocks: 0
; VGPRBlocks: 17
; NumSGPRsForWavesPerEU: 46
; NumVGPRsForWavesPerEU: 137
; Occupancy: 10
; WaveLimiterHint : 1
; COMPUTE_PGM_RSRC2:SCRATCH_EN: 0
; COMPUTE_PGM_RSRC2:USER_SGPR: 2
; COMPUTE_PGM_RSRC2:TRAP_HANDLER: 0
; COMPUTE_PGM_RSRC2:TGID_X_EN: 1
; COMPUTE_PGM_RSRC2:TGID_Y_EN: 1
; COMPUTE_PGM_RSRC2:TGID_Z_EN: 1
; COMPUTE_PGM_RSRC2:TIDIG_COMP_CNT: 1
	.section	.text._ZL33flash_attn_stream_k_fixup_uniformILi128ELi2ELi4EEvPfPK15HIP_vector_typeIfLj2EEiiiiiiS1_IjLj3EES5_S5_,"axG",@progbits,_ZL33flash_attn_stream_k_fixup_uniformILi128ELi2ELi4EEvPfPK15HIP_vector_typeIfLj2EEiiiiiiS1_IjLj3EES5_S5_,comdat
	.globl	_ZL33flash_attn_stream_k_fixup_uniformILi128ELi2ELi4EEvPfPK15HIP_vector_typeIfLj2EEiiiiiiS1_IjLj3EES5_S5_ ; -- Begin function _ZL33flash_attn_stream_k_fixup_uniformILi128ELi2ELi4EEvPfPK15HIP_vector_typeIfLj2EEiiiiiiS1_IjLj3EES5_S5_
	.p2align	8
	.type	_ZL33flash_attn_stream_k_fixup_uniformILi128ELi2ELi4EEvPfPK15HIP_vector_typeIfLj2EEiiiiiiS1_IjLj3EES5_S5_,@function
_ZL33flash_attn_stream_k_fixup_uniformILi128ELi2ELi4EEvPfPK15HIP_vector_typeIfLj2EEiiiiiiS1_IjLj3EES5_S5_: ; @_ZL33flash_attn_stream_k_fixup_uniformILi128ELi2ELi4EEvPfPK15HIP_vector_typeIfLj2EEiiiiiiS1_IjLj3EES5_S5_
; %bb.0:
	s_clause 0x1
	s_load_b256 s[4:11], s[0:1], 0x1c
	s_load_b128 s[12:15], s[0:1], 0x3c
	s_wait_kmcnt 0x0
	s_mul_hi_u32 s2, s7, ttmp9
	s_delay_alu instid0(SALU_CYCLE_1) | instskip(NEXT) | instid1(SALU_CYCLE_1)
	s_add_co_i32 s2, ttmp9, s2
	s_lshr_b32 s2, s2, s8
	s_delay_alu instid0(SALU_CYCLE_1) | instskip(SKIP_2) | instid1(SALU_CYCLE_1)
	s_mul_i32 s3, s2, s9
	s_load_b64 s[8:9], s[0:1], 0x10
	s_sub_co_i32 s7, ttmp9, s3
	s_mul_hi_u32 s3, s7, s10
	s_delay_alu instid0(SALU_CYCLE_1) | instskip(NEXT) | instid1(SALU_CYCLE_1)
	s_add_co_i32 s3, s7, s3
	s_lshr_b32 s3, s3, s11
	s_delay_alu instid0(SALU_CYCLE_1) | instskip(NEXT) | instid1(SALU_CYCLE_1)
	s_mul_i32 s10, s3, s12
	s_sub_co_i32 s7, s7, s10
	s_delay_alu instid0(SALU_CYCLE_1) | instskip(NEXT) | instid1(SALU_CYCLE_1)
	s_mul_hi_u32 s10, s7, s13
	s_add_co_i32 s10, s7, s10
	s_delay_alu instid0(SALU_CYCLE_1) | instskip(NEXT) | instid1(SALU_CYCLE_1)
	s_lshr_b32 s12, s10, s14
	s_mul_i32 s10, s12, s15
	s_lshl_b32 s12, s12, 2
	s_sub_co_i32 s11, s7, s10
	s_and_b32 s7, ttmp7, 0xffff
	s_lshl_b32 s13, s11, 1
	s_lshr_b32 s10, ttmp7, 16
	s_add_co_i32 s13, s13, s7
	s_wait_kmcnt 0x0
	s_cmp_lt_i32 s13, s8
	s_cselect_b32 s13, -1, 0
	s_add_co_i32 s14, s12, s10
	s_delay_alu instid0(SALU_CYCLE_1) | instskip(SKIP_1) | instid1(SALU_CYCLE_1)
	s_cmp_lt_i32 s14, s5
	s_cselect_b32 s14, -1, 0
	s_and_b32 s13, s13, s14
	s_delay_alu instid0(SALU_CYCLE_1)
	s_and_not1_b32 vcc_lo, exec_lo, s13
	s_cbranch_vccnz .LBB28_6
; %bb.1:
	s_mul_i32 s2, s2, s8
	s_mul_i32 s5, s3, s5
	s_add_co_i32 s2, s2, s7
	s_delay_alu instid0(SALU_CYCLE_1) | instskip(NEXT) | instid1(SALU_CYCLE_1)
	s_mul_i32 s2, s2, s9
	s_add_co_i32 s8, s2, s10
	s_load_b128 s[0:3], s[0:1], 0x0
	s_add_co_i32 s5, s8, s5
	s_mul_i32 s8, s9, s11
	s_add_co_i32 s5, s5, s12
	s_lshl_b32 s8, s8, 8
	s_lshl_b32 s5, s5, 7
	s_delay_alu instid0(SALU_CYCLE_1)
	s_add_co_i32 s8, s8, s5
	s_lshl_b32 s5, s7, 2
	v_or_b32_e32 v1, s8, v0
	s_mul_i32 s8, s6, ttmp9
	s_wait_alu 0xfffe
	s_add_co_i32 s9, s8, s6
	s_wait_alu 0xfffe
	s_add_co_i32 s12, s9, -2
	v_ashrrev_i32_e32 v2, 31, v1
	s_delay_alu instid0(VALU_DEP_1) | instskip(SKIP_1) | instid1(VALU_DEP_1)
	v_lshlrev_b64_e32 v[1:2], 2, v[1:2]
	s_wait_kmcnt 0x0
	v_add_co_u32 v1, vcc_lo, s0, v1
	s_delay_alu instid0(VALU_DEP_1)
	v_add_co_ci_u32_e64 v2, null, s1, v2, vcc_lo
	s_add_co_i32 s0, s5, s10
	s_lshl_b32 s1, s9, 3
	global_load_b32 v5, v[1:2], off
	s_wait_alu 0xfffe
	s_add_co_i32 s0, s0, s1
	s_wait_alu 0xfffe
	s_add_co_i32 s0, s0, -8
	s_wait_alu 0xfffe
	s_ashr_i32 s1, s0, 31
	s_wait_alu 0xfffe
	s_lshl_b64 s[0:1], s[0:1], 3
	s_cmp_lt_i32 s12, s8
	s_wait_alu 0xfffe
	s_add_nc_u64 s[0:1], s[2:3], s[0:1]
	s_load_b32 s11, s[0:1], 0x4
	s_cbranch_scc1 .LBB28_4
; %bb.2:
	s_load_b32 s0, s[0:1], 0x0
	s_add_co_i32 s13, ttmp9, 1
	s_lshl_b32 s12, s4, 5
	s_mul_i32 s1, s6, s13
	s_lshl_b32 s6, s7, 9
	s_lshl_b32 s7, s10, 7
	s_wait_alu 0xfffe
	s_lshl_b32 s14, s1, 10
	s_add_co_i32 s6, s7, s6
	s_lshl_b32 s1, s1, 3
	s_add_co_i32 s14, s6, s14
	s_wait_alu 0xfffe
	s_add_co_i32 s1, s10, s1
	v_or_b32_e32 v0, s14, v0
	s_lshl_b32 s4, s4, 3
	s_ashr_i32 s13, s12, 31
	s_wait_alu 0xfffe
	s_add_co_i32 s1, s1, s4
	s_wait_kmcnt 0x0
	v_dual_mov_b32 v6, s11 :: v_dual_add_nc_u32 v3, 0xfffff800, v0
	s_lshl_b64 s[6:7], s[12:13], 2
	s_wait_alu 0xfffe
	s_add_co_i32 s4, s1, s5
	s_add_nc_u64 s[6:7], s[2:3], s[6:7]
	s_add_co_i32 s1, s9, -1
	s_add_co_i32 s4, s4, -16
.LBB28_3:                               ; =>This Inner Loop Header: Depth=1
	v_ashrrev_i32_e32 v4, 31, v3
	s_ashr_i32 s5, s4, 31
	v_mov_b32_e32 v10, v6
	s_lshl_b64 s[10:11], s[4:5], 3
	s_wait_loadcnt 0x0
	v_mov_b32_e32 v9, v5
	v_lshlrev_b64_e32 v[7:8], 2, v[3:4]
	s_wait_alu 0xfffe
	s_add_nc_u64 s[10:11], s[2:3], s[10:11]
	v_max_num_f32_e64 v4, s0, s0
	s_load_b64 s[10:11], s[10:11], 0x0
	v_add_nc_u32_e32 v3, 0xfffffc00, v3
	v_add_co_u32 v7, vcc_lo, s6, v7
	s_wait_alu 0xfffd
	v_add_co_ci_u32_e64 v8, null, s7, v8, vcc_lo
	v_readfirstlane_b32 s5, v4
	global_load_b32 v0, v[7:8], off
	s_wait_kmcnt 0x0
	v_max_num_f32_e64 v4, s10, s10
	s_delay_alu instid0(VALU_DEP_1) | instskip(SKIP_1) | instid1(SALU_CYCLE_3)
	v_readfirstlane_b32 s9, v4
	s_max_num_f32 s5, s5, s9
	s_sub_f32 s0, s0, s5
	s_sub_f32 s9, s10, s5
	s_wait_alu 0xfffe
	s_delay_alu instid0(SALU_CYCLE_1) | instskip(NEXT) | instid1(SALU_CYCLE_1)
	s_mul_f32 s10, s0, 0x3fb8aa3b
	s_mul_f32 s12, s9, 0x3fb8aa3b
	s_wait_alu 0xfffe
	s_delay_alu instid0(SALU_CYCLE_1)
	s_xor_b32 s13, s10, 0x80000000
	s_rndne_f32 s14, s10
	s_fmamk_f32 s13, s0, 0x3fb8aa3b, s13
	s_cmp_nlt_f32 s0, 0xc2ce8ed0
	s_rndne_f32 s15, s12
	s_wait_alu 0xfffe
	s_sub_f32 s10, s10, s14
	s_fmamk_f32 s13, s0, 0x32a5705f, s13
	s_cvt_i32_f32 s14, s14
	s_cselect_b32 vcc_lo, -1, 0
	s_cmp_ngt_f32 s0, 0x42b17218
	s_wait_alu 0xfffe
	s_add_f32 s10, s10, s13
	s_sub_f32 s13, s12, s15
	s_wait_alu 0xfffe
	s_delay_alu instid0(SALU_CYCLE_1) | instskip(SKIP_1) | instid1(TRANS32_DEP_1)
	v_s_exp_f32 s10, s10
	s_wait_alu 0xf1ff
	v_ldexp_f32 v4, s10, s14
	s_cvt_i32_f32 s10, s15
	s_delay_alu instid0(VALU_DEP_1) | instskip(SKIP_3) | instid1(VALU_DEP_1)
	v_cndmask_b32_e32 v4, 0, v4, vcc_lo
	s_cselect_b32 vcc_lo, -1, 0
	s_cmp_ge_f32 s0, 0xc1a00000
	s_wait_alu 0xfffe
	v_cndmask_b32_e32 v4, 0x7f800000, v4, vcc_lo
	s_cselect_b32 vcc_lo, -1, 0
	s_xor_b32 s0, s12, 0x80000000
	s_cmp_nlt_f32 s9, 0xc2ce8ed0
	s_wait_alu 0xfffe
	s_fmamk_f32 s0, s9, 0x3fb8aa3b, s0
	s_wait_alu 0xfffe
	s_delay_alu instid0(SALU_CYCLE_2) | instskip(SKIP_1) | instid1(SALU_CYCLE_2)
	s_fmamk_f32 s0, s9, 0x32a5705f, s0
	s_wait_alu 0xfffe
	s_add_f32 s0, s13, s0
	s_wait_alu 0xfffe
	s_delay_alu instid0(SALU_CYCLE_2) | instskip(SKIP_1) | instid1(TRANS32_DEP_1)
	v_s_exp_f32 s0, s0
	s_wait_alu 0xf1ff
	v_ldexp_f32 v7, s0, s10
	s_cselect_b32 s0, -1, 0
	s_cmp_ngt_f32 s9, 0x42b17218
	s_wait_alu 0xfffe
	s_delay_alu instid0(VALU_DEP_1) | instskip(SKIP_3) | instid1(VALU_DEP_1)
	v_cndmask_b32_e64 v7, 0, v7, s0
	s_cselect_b32 s0, -1, 0
	s_cmp_ge_f32 s9, 0xc1a00000
	s_wait_alu 0xfffe
	v_cndmask_b32_e64 v7, 0x7f800000, v7, s0
	s_cselect_b32 s0, -1, 0
	s_add_co_i32 s1, s1, -1
	s_add_co_i32 s4, s4, -8
	s_wait_alu 0xfffe
	s_cmp_le_i32 s1, s8
	v_cndmask_b32_e64 v7, 0, v7, s0
	s_mov_b32 s0, s5
	s_wait_loadcnt 0x0
	s_delay_alu instid0(VALU_DEP_1) | instskip(NEXT) | instid1(VALU_DEP_1)
	v_dual_mul_f32 v5, v0, v7 :: v_dual_cndmask_b32 v4, 0, v4
	v_dual_mul_f32 v8, s11, v7 :: v_dual_fmac_f32 v5, v9, v4
	s_delay_alu instid0(VALU_DEP_1) | instskip(NEXT) | instid1(VALU_DEP_1)
	v_mov_b32_e32 v6, v8
	v_fmac_f32_e32 v6, v10, v4
	s_cbranch_scc0 .LBB28_3
	s_branch .LBB28_5
.LBB28_4:
	s_wait_kmcnt 0x0
	v_mov_b32_e32 v6, s11
.LBB28_5:
	s_wait_loadcnt 0x0
	s_delay_alu instid0(VALU_DEP_1) | instskip(NEXT) | instid1(VALU_DEP_1)
	v_div_scale_f32 v0, null, v6, v6, v5
	v_rcp_f32_e32 v3, v0
	s_delay_alu instid0(TRANS32_DEP_1) | instskip(NEXT) | instid1(VALU_DEP_1)
	v_fma_f32 v4, -v0, v3, 1.0
	v_fmac_f32_e32 v3, v4, v3
	v_div_scale_f32 v4, vcc_lo, v5, v6, v5
	s_delay_alu instid0(VALU_DEP_1) | instskip(NEXT) | instid1(VALU_DEP_1)
	v_mul_f32_e32 v7, v4, v3
	v_fma_f32 v8, -v0, v7, v4
	s_delay_alu instid0(VALU_DEP_1) | instskip(NEXT) | instid1(VALU_DEP_1)
	v_fmac_f32_e32 v7, v8, v3
	v_fma_f32 v0, -v0, v7, v4
	s_wait_alu 0xfffd
	s_delay_alu instid0(VALU_DEP_1) | instskip(NEXT) | instid1(VALU_DEP_1)
	v_div_fmas_f32 v0, v0, v3, v7
	v_div_fixup_f32 v0, v0, v6, v5
	global_store_b32 v[1:2], v0, off
.LBB28_6:
	s_endpgm
	.section	.rodata,"a",@progbits
	.p2align	6, 0x0
	.amdhsa_kernel _ZL33flash_attn_stream_k_fixup_uniformILi128ELi2ELi4EEvPfPK15HIP_vector_typeIfLj2EEiiiiiiS1_IjLj3EES5_S5_
		.amdhsa_group_segment_fixed_size 0
		.amdhsa_private_segment_fixed_size 0
		.amdhsa_kernarg_size 76
		.amdhsa_user_sgpr_count 2
		.amdhsa_user_sgpr_dispatch_ptr 0
		.amdhsa_user_sgpr_queue_ptr 0
		.amdhsa_user_sgpr_kernarg_segment_ptr 1
		.amdhsa_user_sgpr_dispatch_id 0
		.amdhsa_user_sgpr_private_segment_size 0
		.amdhsa_wavefront_size32 1
		.amdhsa_uses_dynamic_stack 0
		.amdhsa_enable_private_segment 0
		.amdhsa_system_sgpr_workgroup_id_x 1
		.amdhsa_system_sgpr_workgroup_id_y 1
		.amdhsa_system_sgpr_workgroup_id_z 1
		.amdhsa_system_sgpr_workgroup_info 0
		.amdhsa_system_vgpr_workitem_id 0
		.amdhsa_next_free_vgpr 11
		.amdhsa_next_free_sgpr 16
		.amdhsa_reserve_vcc 1
		.amdhsa_float_round_mode_32 0
		.amdhsa_float_round_mode_16_64 0
		.amdhsa_float_denorm_mode_32 3
		.amdhsa_float_denorm_mode_16_64 3
		.amdhsa_fp16_overflow 0
		.amdhsa_workgroup_processor_mode 1
		.amdhsa_memory_ordered 1
		.amdhsa_forward_progress 1
		.amdhsa_inst_pref_size 9
		.amdhsa_round_robin_scheduling 0
		.amdhsa_exception_fp_ieee_invalid_op 0
		.amdhsa_exception_fp_denorm_src 0
		.amdhsa_exception_fp_ieee_div_zero 0
		.amdhsa_exception_fp_ieee_overflow 0
		.amdhsa_exception_fp_ieee_underflow 0
		.amdhsa_exception_fp_ieee_inexact 0
		.amdhsa_exception_int_div_zero 0
	.end_amdhsa_kernel
	.section	.text._ZL33flash_attn_stream_k_fixup_uniformILi128ELi2ELi4EEvPfPK15HIP_vector_typeIfLj2EEiiiiiiS1_IjLj3EES5_S5_,"axG",@progbits,_ZL33flash_attn_stream_k_fixup_uniformILi128ELi2ELi4EEvPfPK15HIP_vector_typeIfLj2EEiiiiiiS1_IjLj3EES5_S5_,comdat
.Lfunc_end28:
	.size	_ZL33flash_attn_stream_k_fixup_uniformILi128ELi2ELi4EEvPfPK15HIP_vector_typeIfLj2EEiiiiiiS1_IjLj3EES5_S5_, .Lfunc_end28-_ZL33flash_attn_stream_k_fixup_uniformILi128ELi2ELi4EEvPfPK15HIP_vector_typeIfLj2EEiiiiiiS1_IjLj3EES5_S5_
                                        ; -- End function
	.set _ZL33flash_attn_stream_k_fixup_uniformILi128ELi2ELi4EEvPfPK15HIP_vector_typeIfLj2EEiiiiiiS1_IjLj3EES5_S5_.num_vgpr, 11
	.set _ZL33flash_attn_stream_k_fixup_uniformILi128ELi2ELi4EEvPfPK15HIP_vector_typeIfLj2EEiiiiiiS1_IjLj3EES5_S5_.num_agpr, 0
	.set _ZL33flash_attn_stream_k_fixup_uniformILi128ELi2ELi4EEvPfPK15HIP_vector_typeIfLj2EEiiiiiiS1_IjLj3EES5_S5_.numbered_sgpr, 16
	.set _ZL33flash_attn_stream_k_fixup_uniformILi128ELi2ELi4EEvPfPK15HIP_vector_typeIfLj2EEiiiiiiS1_IjLj3EES5_S5_.num_named_barrier, 0
	.set _ZL33flash_attn_stream_k_fixup_uniformILi128ELi2ELi4EEvPfPK15HIP_vector_typeIfLj2EEiiiiiiS1_IjLj3EES5_S5_.private_seg_size, 0
	.set _ZL33flash_attn_stream_k_fixup_uniformILi128ELi2ELi4EEvPfPK15HIP_vector_typeIfLj2EEiiiiiiS1_IjLj3EES5_S5_.uses_vcc, 1
	.set _ZL33flash_attn_stream_k_fixup_uniformILi128ELi2ELi4EEvPfPK15HIP_vector_typeIfLj2EEiiiiiiS1_IjLj3EES5_S5_.uses_flat_scratch, 0
	.set _ZL33flash_attn_stream_k_fixup_uniformILi128ELi2ELi4EEvPfPK15HIP_vector_typeIfLj2EEiiiiiiS1_IjLj3EES5_S5_.has_dyn_sized_stack, 0
	.set _ZL33flash_attn_stream_k_fixup_uniformILi128ELi2ELi4EEvPfPK15HIP_vector_typeIfLj2EEiiiiiiS1_IjLj3EES5_S5_.has_recursion, 0
	.set _ZL33flash_attn_stream_k_fixup_uniformILi128ELi2ELi4EEvPfPK15HIP_vector_typeIfLj2EEiiiiiiS1_IjLj3EES5_S5_.has_indirect_call, 0
	.section	.AMDGPU.csdata,"",@progbits
; Kernel info:
; codeLenInByte = 1140
; TotalNumSgprs: 18
; NumVgprs: 11
; ScratchSize: 0
; MemoryBound: 0
; FloatMode: 240
; IeeeMode: 1
; LDSByteSize: 0 bytes/workgroup (compile time only)
; SGPRBlocks: 0
; VGPRBlocks: 1
; NumSGPRsForWavesPerEU: 18
; NumVGPRsForWavesPerEU: 11
; Occupancy: 16
; WaveLimiterHint : 0
; COMPUTE_PGM_RSRC2:SCRATCH_EN: 0
; COMPUTE_PGM_RSRC2:USER_SGPR: 2
; COMPUTE_PGM_RSRC2:TRAP_HANDLER: 0
; COMPUTE_PGM_RSRC2:TGID_X_EN: 1
; COMPUTE_PGM_RSRC2:TGID_Y_EN: 1
; COMPUTE_PGM_RSRC2:TGID_Z_EN: 1
; COMPUTE_PGM_RSRC2:TIDIG_COMP_CNT: 0
	.section	.text._ZL33flash_attn_stream_k_fixup_generalILi128ELi2ELi4EEvPfPK15HIP_vector_typeIfLj2EEiiiiS1_IjLj3EES5_S5_S5_,"axG",@progbits,_ZL33flash_attn_stream_k_fixup_generalILi128ELi2ELi4EEvPfPK15HIP_vector_typeIfLj2EEiiiiS1_IjLj3EES5_S5_S5_,comdat
	.globl	_ZL33flash_attn_stream_k_fixup_generalILi128ELi2ELi4EEvPfPK15HIP_vector_typeIfLj2EEiiiiS1_IjLj3EES5_S5_S5_ ; -- Begin function _ZL33flash_attn_stream_k_fixup_generalILi128ELi2ELi4EEvPfPK15HIP_vector_typeIfLj2EEiiiiS1_IjLj3EES5_S5_S5_
	.p2align	8
	.type	_ZL33flash_attn_stream_k_fixup_generalILi128ELi2ELi4EEvPfPK15HIP_vector_typeIfLj2EEiiiiS1_IjLj3EES5_S5_S5_,@function
_ZL33flash_attn_stream_k_fixup_generalILi128ELi2ELi4EEvPfPK15HIP_vector_typeIfLj2EEiiiiS1_IjLj3EES5_S5_S5_: ; @_ZL33flash_attn_stream_k_fixup_generalILi128ELi2ELi4EEvPfPK15HIP_vector_typeIfLj2EEiiiiS1_IjLj3EES5_S5_S5_
; %bb.0:
	s_clause 0x1
	s_load_b128 s[4:7], s[0:1], 0x10
	s_load_b32 s16, s[0:1], 0x50
	s_mov_b32 s2, ttmp9
	s_ashr_i32 s3, ttmp9, 31
	s_mov_b32 s17, 0
	s_delay_alu instid0(SALU_CYCLE_1) | instskip(SKIP_3) | instid1(SALU_CYCLE_1)
	s_mov_b32 s8, s17
	s_wait_kmcnt 0x0
	s_ashr_i32 s19, s7, 31
	s_mov_b32 s18, s7
	s_mul_u64 s[2:3], s[18:19], s[2:3]
	s_delay_alu instid0(SALU_CYCLE_1) | instskip(NEXT) | instid1(SALU_CYCLE_1)
	s_mov_b32 s9, s3
	s_cmp_lg_u64 s[8:9], 0
	s_cbranch_scc0 .LBB29_21
; %bb.1:
	s_add_nc_u64 s[8:9], s[16:17], 0
	s_mov_b32 s15, s17
	s_xor_b64 s[8:9], s[8:9], 0
	s_mov_b32 s23, s17
	s_cvt_f32_u32 s7, s8
	s_cvt_f32_u32 s10, s9
	s_sub_nc_u64 s[12:13], 0, s[8:9]
	s_delay_alu instid0(SALU_CYCLE_2) | instskip(NEXT) | instid1(SALU_CYCLE_3)
	s_fmamk_f32 s7, s10, 0x4f800000, s7
	v_s_rcp_f32 s7, s7
	s_delay_alu instid0(TRANS32_DEP_1) | instskip(SKIP_1) | instid1(SALU_CYCLE_2)
	s_mul_f32 s7, s7, 0x5f7ffffc
	s_wait_alu 0xfffe
	s_mul_f32 s10, s7, 0x2f800000
	s_delay_alu instid0(SALU_CYCLE_3) | instskip(NEXT) | instid1(SALU_CYCLE_3)
	s_trunc_f32 s10, s10
	s_fmamk_f32 s7, s10, 0xcf800000, s7
	s_cvt_u32_f32 s11, s10
	s_wait_alu 0xfffe
	s_delay_alu instid0(SALU_CYCLE_1) | instskip(NEXT) | instid1(SALU_CYCLE_3)
	s_cvt_u32_f32 s10, s7
	s_mul_u64 s[20:21], s[12:13], s[10:11]
	s_delay_alu instid0(SALU_CYCLE_1)
	s_mul_hi_u32 s25, s10, s21
	s_mul_i32 s24, s10, s21
	s_mul_hi_u32 s14, s10, s20
	s_mul_i32 s22, s11, s20
	s_add_nc_u64 s[14:15], s[14:15], s[24:25]
	s_mul_hi_u32 s7, s11, s20
	s_mul_hi_u32 s26, s11, s21
	s_add_co_u32 s14, s14, s22
	s_wait_alu 0xfffe
	s_add_co_ci_u32 s22, s15, s7
	s_mul_i32 s20, s11, s21
	s_add_co_ci_u32 s21, s26, 0
	s_delay_alu instid0(SALU_CYCLE_1)
	s_add_nc_u64 s[14:15], s[22:23], s[20:21]
	s_mov_b32 s21, s17
	s_add_co_u32 s10, s10, s14
	s_cselect_b32 s7, -1, 0
	s_wait_alu 0xfffe
	s_cmp_lg_u32 s7, 0
	s_add_co_ci_u32 s11, s11, s15
	s_mov_b32 s15, s17
	s_mul_u64 s[12:13], s[12:13], s[10:11]
	s_delay_alu instid0(SALU_CYCLE_1)
	s_mul_hi_u32 s23, s10, s13
	s_mul_i32 s22, s10, s13
	s_mul_hi_u32 s14, s10, s12
	s_mul_i32 s20, s11, s12
	s_add_nc_u64 s[14:15], s[14:15], s[22:23]
	s_mul_hi_u32 s7, s11, s12
	s_mul_hi_u32 s24, s11, s13
	s_mul_i32 s12, s11, s13
	s_add_co_u32 s13, s14, s20
	s_wait_alu 0xfffe
	s_add_co_ci_u32 s20, s15, s7
	s_add_co_ci_u32 s13, s24, 0
	s_mov_b32 s15, s17
	s_add_nc_u64 s[12:13], s[20:21], s[12:13]
	s_delay_alu instid0(SALU_CYCLE_1) | instskip(SKIP_1) | instid1(SALU_CYCLE_1)
	s_add_co_u32 s7, s10, s12
	s_cselect_b32 s10, -1, 0
	s_cmp_lg_u32 s10, 0
	s_add_co_ci_u32 s20, s11, s13
	s_ashr_i32 s10, s3, 31
	s_delay_alu instid0(SALU_CYCLE_1) | instskip(NEXT) | instid1(SALU_CYCLE_1)
	s_mov_b32 s11, s10
	s_add_nc_u64 s[12:13], s[2:3], s[10:11]
	s_delay_alu instid0(SALU_CYCLE_1) | instskip(NEXT) | instid1(SALU_CYCLE_1)
	s_xor_b64 s[12:13], s[12:13], s[10:11]
	s_mul_hi_u32 s23, s12, s20
	s_mul_i32 s22, s12, s20
	s_wait_alu 0xfffe
	s_mul_hi_u32 s14, s12, s7
	s_mul_hi_u32 s24, s13, s7
	s_mul_i32 s7, s13, s7
	s_add_nc_u64 s[14:15], s[14:15], s[22:23]
	s_mul_hi_u32 s3, s13, s20
	s_wait_alu 0xfffe
	s_add_co_u32 s7, s14, s7
	s_mul_i32 s22, s13, s20
	s_add_co_ci_u32 s20, s15, s24
	s_add_co_ci_u32 s23, s3, 0
	s_delay_alu instid0(SALU_CYCLE_1) | instskip(NEXT) | instid1(SALU_CYCLE_1)
	s_add_nc_u64 s[14:15], s[20:21], s[22:23]
	s_mul_u64 s[20:21], s[8:9], s[14:15]
	s_delay_alu instid0(SALU_CYCLE_1)
	s_sub_co_u32 s3, s12, s20
	s_cselect_b32 s7, -1, 0
	s_sub_co_i32 s12, s13, s21
	s_wait_alu 0xfffe
	s_cmp_lg_u32 s7, 0
	s_sub_co_ci_u32 s12, s12, s9
	s_sub_co_u32 s20, s3, s8
	s_cselect_b32 s22, -1, 0
	s_delay_alu instid0(SALU_CYCLE_1) | instskip(SKIP_2) | instid1(SALU_CYCLE_1)
	s_cmp_lg_u32 s22, 0
	s_add_nc_u64 s[22:23], s[14:15], 1
	s_sub_co_ci_u32 s12, s12, 0
	s_cmp_ge_u32 s12, s9
	s_cselect_b32 s24, -1, 0
	s_cmp_ge_u32 s20, s8
	s_cselect_b32 s20, -1, 0
	s_cmp_eq_u32 s12, s9
	s_cselect_b32 s12, s20, s24
	s_add_nc_u64 s[24:25], s[14:15], 2
	s_cmp_lg_u32 s12, 0
	s_cselect_b32 s12, s24, s22
	s_cselect_b32 s20, s25, s23
	s_cmp_lg_u32 s7, 0
	s_sub_co_ci_u32 s7, s13, s21
	s_wait_alu 0xfffe
	s_cmp_ge_u32 s7, s9
	s_cselect_b32 s13, -1, 0
	s_cmp_ge_u32 s3, s8
	s_cselect_b32 s3, -1, 0
	s_cmp_eq_u32 s7, s9
	s_cselect_b32 s3, s3, s13
	s_delay_alu instid0(SALU_CYCLE_1) | instskip(SKIP_4) | instid1(SALU_CYCLE_1)
	s_cmp_lg_u32 s3, 0
	s_mov_b32 s3, s17
	s_cselect_b32 s9, s20, s15
	s_cselect_b32 s8, s12, s14
	s_xor_b64 s[10:11], s[10:11], 0
	s_xor_b64 s[8:9], s[8:9], s[10:11]
	s_delay_alu instid0(SALU_CYCLE_1)
	s_sub_nc_u64 s[20:21], s[8:9], s[10:11]
	s_and_not1_b32 vcc_lo, exec_lo, s3
	s_cbranch_vccnz .LBB29_3
.LBB29_2:
	v_cvt_f32_u32_e32 v1, s16
	s_sub_co_i32 s7, 0, s16
	s_delay_alu instid0(VALU_DEP_1) | instskip(NEXT) | instid1(TRANS32_DEP_1)
	v_rcp_iflag_f32_e32 v1, v1
	v_mul_f32_e32 v1, 0x4f7ffffe, v1
	s_delay_alu instid0(VALU_DEP_1) | instskip(NEXT) | instid1(VALU_DEP_1)
	v_cvt_u32_f32_e32 v1, v1
	v_readfirstlane_b32 s3, v1
	s_wait_alu 0xfffe
	s_mul_i32 s7, s7, s3
	s_wait_alu 0xfffe
	s_mul_hi_u32 s7, s3, s7
	s_wait_alu 0xfffe
	s_add_co_i32 s3, s3, s7
	s_delay_alu instid0(SALU_CYCLE_1) | instskip(NEXT) | instid1(SALU_CYCLE_1)
	s_mul_hi_u32 s3, s2, s3
	s_mul_i32 s7, s3, s16
	s_wait_alu 0xfffe
	s_sub_co_i32 s2, s2, s7
	s_add_co_i32 s7, s3, 1
	s_sub_co_i32 s8, s2, s16
	s_cmp_ge_u32 s2, s16
	s_wait_alu 0xfffe
	s_cselect_b32 s3, s7, s3
	s_cselect_b32 s2, s8, s2
	s_add_co_i32 s7, s3, 1
	s_cmp_ge_u32 s2, s16
	s_wait_alu 0xfffe
	s_cselect_b32 s20, s7, s3
.LBB29_3:
	s_add_co_i32 s2, ttmp9, 1
	s_mov_b32 s8, 0
	s_ashr_i32 s3, s2, 31
	s_delay_alu instid0(SALU_CYCLE_1) | instskip(NEXT) | instid1(SALU_CYCLE_1)
	s_mul_u64 s[2:3], s[18:19], s[2:3]
	s_mov_b32 s9, s3
	s_delay_alu instid0(SALU_CYCLE_1)
	s_cmp_lg_u64 s[8:9], 0
	s_cbranch_scc0 .LBB29_22
; %bb.4:
	s_add_nc_u64 s[10:11], s[16:17], 0
	s_mov_b32 s23, s8
	s_xor_b64 s[10:11], s[10:11], 0
	s_mov_b32 s27, s8
	s_cvt_f32_u32 s7, s10
	s_cvt_f32_u32 s9, s11
	s_sub_nc_u64 s[14:15], 0, s[10:11]
	s_wait_alu 0xfffe
	s_delay_alu instid0(SALU_CYCLE_1) | instskip(SKIP_1) | instid1(SALU_CYCLE_2)
	s_fmamk_f32 s7, s9, 0x4f800000, s7
	s_wait_alu 0xfffe
	v_s_rcp_f32 s7, s7
	s_delay_alu instid0(TRANS32_DEP_1) | instskip(SKIP_1) | instid1(SALU_CYCLE_2)
	s_mul_f32 s7, s7, 0x5f7ffffc
	s_wait_alu 0xfffe
	s_mul_f32 s9, s7, 0x2f800000
	s_delay_alu instid0(SALU_CYCLE_3) | instskip(NEXT) | instid1(SALU_CYCLE_3)
	s_trunc_f32 s9, s9
	s_fmamk_f32 s7, s9, 0xcf800000, s7
	s_cvt_u32_f32 s13, s9
	s_wait_alu 0xfffe
	s_delay_alu instid0(SALU_CYCLE_1) | instskip(NEXT) | instid1(SALU_CYCLE_3)
	s_cvt_u32_f32 s12, s7
	s_mul_u64 s[24:25], s[14:15], s[12:13]
	s_delay_alu instid0(SALU_CYCLE_1)
	s_mul_hi_u32 s29, s12, s25
	s_mul_i32 s28, s12, s25
	s_mul_hi_u32 s22, s12, s24
	s_mul_i32 s9, s13, s24
	s_add_nc_u64 s[22:23], s[22:23], s[28:29]
	s_mul_hi_u32 s7, s13, s24
	s_mul_hi_u32 s21, s13, s25
	s_add_co_u32 s9, s22, s9
	s_wait_alu 0xfffe
	s_add_co_ci_u32 s26, s23, s7
	s_mul_i32 s24, s13, s25
	s_add_co_ci_u32 s25, s21, 0
	s_delay_alu instid0(SALU_CYCLE_1)
	s_add_nc_u64 s[22:23], s[26:27], s[24:25]
	s_mov_b32 s25, s8
	s_add_co_u32 s12, s12, s22
	s_cselect_b32 s7, -1, 0
	s_wait_alu 0xfffe
	s_cmp_lg_u32 s7, 0
	s_add_co_ci_u32 s13, s13, s23
	s_mov_b32 s23, s8
	s_mul_u64 s[14:15], s[14:15], s[12:13]
	s_delay_alu instid0(SALU_CYCLE_1)
	s_mul_hi_u32 s27, s12, s15
	s_mul_i32 s26, s12, s15
	s_mul_hi_u32 s22, s12, s14
	s_mul_i32 s9, s13, s14
	s_add_nc_u64 s[22:23], s[22:23], s[26:27]
	s_mul_hi_u32 s7, s13, s14
	s_mul_hi_u32 s21, s13, s15
	s_add_co_u32 s9, s22, s9
	s_wait_alu 0xfffe
	s_add_co_ci_u32 s24, s23, s7
	s_mul_i32 s14, s13, s15
	s_add_co_ci_u32 s15, s21, 0
	s_mov_b32 s23, s8
	s_add_nc_u64 s[14:15], s[24:25], s[14:15]
	s_delay_alu instid0(SALU_CYCLE_1) | instskip(SKIP_1) | instid1(SALU_CYCLE_1)
	s_add_co_u32 s7, s12, s14
	s_cselect_b32 s9, -1, 0
	s_cmp_lg_u32 s9, 0
	s_add_co_ci_u32 s9, s13, s15
	s_ashr_i32 s12, s3, 31
	s_delay_alu instid0(SALU_CYCLE_1) | instskip(NEXT) | instid1(SALU_CYCLE_1)
	s_mov_b32 s13, s12
	s_add_nc_u64 s[14:15], s[2:3], s[12:13]
	s_delay_alu instid0(SALU_CYCLE_1) | instskip(NEXT) | instid1(SALU_CYCLE_1)
	s_xor_b64 s[14:15], s[14:15], s[12:13]
	s_mul_hi_u32 s27, s14, s9
	s_mul_i32 s26, s14, s9
	s_wait_alu 0xfffe
	s_mul_hi_u32 s22, s14, s7
	s_mul_hi_u32 s21, s15, s7
	s_mul_i32 s7, s15, s7
	s_add_nc_u64 s[22:23], s[22:23], s[26:27]
	s_mul_hi_u32 s3, s15, s9
	s_wait_alu 0xfffe
	s_add_co_u32 s7, s22, s7
	s_add_co_ci_u32 s24, s23, s21
	s_mul_i32 s26, s15, s9
	s_add_co_ci_u32 s27, s3, 0
	s_delay_alu instid0(SALU_CYCLE_1) | instskip(NEXT) | instid1(SALU_CYCLE_1)
	s_add_nc_u64 s[22:23], s[24:25], s[26:27]
	s_mul_u64 s[24:25], s[10:11], s[22:23]
	s_add_nc_u64 s[26:27], s[22:23], 1
	s_sub_co_u32 s3, s14, s24
	s_cselect_b32 s7, -1, 0
	s_sub_co_i32 s9, s15, s25
	s_wait_alu 0xfffe
	s_cmp_lg_u32 s7, 0
	s_add_nc_u64 s[28:29], s[22:23], 2
	s_sub_co_ci_u32 s9, s9, s11
	s_sub_co_u32 s14, s3, s10
	s_cselect_b32 s21, -1, 0
	s_delay_alu instid0(SALU_CYCLE_1) | instskip(SKIP_1) | instid1(SALU_CYCLE_1)
	s_cmp_lg_u32 s21, 0
	s_sub_co_ci_u32 s9, s9, 0
	s_cmp_ge_u32 s9, s11
	s_cselect_b32 s21, -1, 0
	s_cmp_ge_u32 s14, s10
	s_cselect_b32 s14, -1, 0
	s_cmp_eq_u32 s9, s11
	s_cselect_b32 s9, s14, s21
	s_delay_alu instid0(SALU_CYCLE_1)
	s_cmp_lg_u32 s9, 0
	s_cselect_b32 s9, s28, s26
	s_cselect_b32 s14, s29, s27
	s_cmp_lg_u32 s7, 0
	s_sub_co_ci_u32 s7, s15, s25
	s_wait_alu 0xfffe
	s_cmp_ge_u32 s7, s11
	s_cselect_b32 s15, -1, 0
	s_cmp_ge_u32 s3, s10
	s_cselect_b32 s3, -1, 0
	s_cmp_eq_u32 s7, s11
	s_cselect_b32 s3, s3, s15
	s_delay_alu instid0(SALU_CYCLE_1) | instskip(SKIP_3) | instid1(SALU_CYCLE_1)
	s_cmp_lg_u32 s3, 0
	s_cselect_b32 s11, s14, s23
	s_cselect_b32 s10, s9, s22
	s_xor_b64 s[12:13], s[12:13], 0
	s_xor_b64 s[10:11], s[10:11], s[12:13]
	s_delay_alu instid0(SALU_CYCLE_1)
	s_sub_nc_u64 s[10:11], s[10:11], s[12:13]
	s_load_b96 s[12:14], s[0:1], 0x44
	s_and_not1_b32 vcc_lo, exec_lo, s8
	s_cbranch_vccnz .LBB29_6
.LBB29_5:
	v_cvt_f32_u32_e32 v1, s16
	s_sub_co_i32 s7, 0, s16
	s_delay_alu instid0(VALU_DEP_1) | instskip(NEXT) | instid1(TRANS32_DEP_1)
	v_rcp_iflag_f32_e32 v1, v1
	v_mul_f32_e32 v1, 0x4f7ffffe, v1
	s_delay_alu instid0(VALU_DEP_1) | instskip(NEXT) | instid1(VALU_DEP_1)
	v_cvt_u32_f32_e32 v1, v1
	v_readfirstlane_b32 s3, v1
	s_wait_alu 0xfffe
	s_mul_i32 s7, s7, s3
	s_wait_alu 0xfffe
	s_mul_hi_u32 s7, s3, s7
	s_wait_alu 0xfffe
	s_add_co_i32 s3, s3, s7
	s_delay_alu instid0(SALU_CYCLE_1) | instskip(NEXT) | instid1(SALU_CYCLE_1)
	s_mul_hi_u32 s3, s2, s3
	s_mul_i32 s7, s3, s16
	s_wait_alu 0xfffe
	s_sub_co_i32 s2, s2, s7
	s_add_co_i32 s7, s3, 1
	s_sub_co_i32 s8, s2, s16
	s_cmp_ge_u32 s2, s16
	s_wait_alu 0xfffe
	s_cselect_b32 s3, s7, s3
	s_cselect_b32 s2, s8, s2
	s_add_co_i32 s7, s3, 1
	s_cmp_ge_u32 s2, s16
	s_wait_alu 0xfffe
	s_cselect_b32 s10, s7, s3
.LBB29_6:
	s_mov_b32 s21, 0
	s_wait_kmcnt 0x0
	s_mov_b32 s22, s12
	s_mov_b32 s23, s21
	s_cmp_eq_u32 s20, s10
	s_mul_u64 s[2:3], s[20:21], s[22:23]
	s_cselect_b32 s7, -1, 0
	s_add_co_i32 s2, s3, s20
	s_mov_b32 s11, s21
	s_lshr_b32 s12, s2, s13
	s_mul_u64 s[2:3], s[10:11], s[22:23]
	s_mul_i32 s2, s12, s14
	s_delay_alu instid0(SALU_CYCLE_1) | instskip(SKIP_2) | instid1(SALU_CYCLE_1)
	s_cmp_eq_u32 s2, s20
	s_cselect_b32 s2, -1, 0
	s_add_co_i32 s3, s3, s10
	s_lshr_b32 s3, s3, s13
	s_delay_alu instid0(SALU_CYCLE_1)
	s_cmp_eq_u32 s12, s3
	s_mul_i32 s3, s3, s14
	s_cselect_b32 s8, -1, 0
	s_cmp_lg_u32 s3, s10
	s_cselect_b32 s3, -1, 0
	s_wait_alu 0xfffe
	s_or_b32 s2, s7, s2
	s_and_b32 s3, s8, s3
	s_delay_alu instid0(SALU_CYCLE_1) | instskip(NEXT) | instid1(SALU_CYCLE_1)
	s_or_b32 s2, s2, s3
	s_and_b32 vcc_lo, exec_lo, s2
	s_cbranch_vccnz .LBB29_24
; %bb.7:
	s_load_b256 s[24:31], s[0:1], 0x20
	s_mov_b32 s3, s21
	s_wait_kmcnt 0x0
	s_mov_b32 s2, s24
	s_delay_alu instid0(SALU_CYCLE_1) | instskip(NEXT) | instid1(SALU_CYCLE_1)
	s_mul_u64 s[2:3], s[20:21], s[2:3]
	s_add_co_i32 s2, s3, s20
	s_delay_alu instid0(SALU_CYCLE_1) | instskip(SKIP_2) | instid1(SALU_CYCLE_1)
	s_lshr_b32 s7, s2, s25
	s_load_b32 s2, s[0:1], 0x40
	s_mul_i32 s3, s7, s26
	s_sub_co_i32 s3, s20, s3
	s_delay_alu instid0(SALU_CYCLE_1) | instskip(NEXT) | instid1(SALU_CYCLE_1)
	s_mul_hi_u32 s8, s3, s27
	s_add_co_i32 s8, s3, s8
	s_delay_alu instid0(SALU_CYCLE_1) | instskip(NEXT) | instid1(SALU_CYCLE_1)
	s_lshr_b32 s8, s8, s28
	s_mul_i32 s9, s8, s29
	s_delay_alu instid0(SALU_CYCLE_1) | instskip(NEXT) | instid1(SALU_CYCLE_1)
	s_sub_co_i32 s9, s3, s9
	s_mul_hi_u32 s3, s9, s30
	s_delay_alu instid0(SALU_CYCLE_1) | instskip(NEXT) | instid1(SALU_CYCLE_1)
	s_add_co_i32 s3, s9, s3
	s_lshr_b32 s24, s3, s31
	s_mov_b32 s3, s21
	s_wait_kmcnt 0x0
	s_mul_i32 s2, s24, s2
	s_lshl_b32 s21, s24, 2
	s_sub_co_i32 s2, s9, s2
	s_delay_alu instid0(SALU_CYCLE_1) | instskip(SKIP_2) | instid1(SALU_CYCLE_1)
	s_mul_u64 s[10:11], s[2:3], s[22:23]
	s_lshr_b32 s3, ttmp7, 16
	s_add_co_i32 s2, s2, s11
	s_lshr_b32 s15, s2, s13
	s_and_b32 s2, ttmp7, 0xffff
	s_lshl_b32 s9, s15, 1
	s_delay_alu instid0(SALU_CYCLE_1) | instskip(NEXT) | instid1(SALU_CYCLE_1)
	s_add_co_i32 s9, s9, s2
	s_cmp_lt_i32 s9, s4
	s_cselect_b32 s9, -1, 0
	s_add_co_i32 s10, s21, s3
	s_delay_alu instid0(SALU_CYCLE_1) | instskip(SKIP_1) | instid1(SALU_CYCLE_1)
	s_cmp_lt_i32 s10, s6
	s_cselect_b32 s10, -1, 0
	s_and_b32 s9, s9, s10
	s_delay_alu instid0(SALU_CYCLE_1)
	s_and_not1_b32 vcc_lo, exec_lo, s9
	s_cbranch_vccnz .LBB29_24
; %bb.8:
	s_mul_i32 s4, s7, s4
	s_mul_i32 s6, s8, s6
	s_add_co_i32 s4, s4, s2
	s_load_b128 s[8:11], s[0:1], 0x0
	s_mul_i32 s4, s4, s5
	s_mul_i32 s1, s5, s15
	s_add_co_i32 s4, s4, s3
	s_lshl_b32 s1, s1, 8
	s_add_co_i32 s0, s4, s6
	s_lshl_b32 s15, s2, 2
	s_add_co_i32 s0, s0, s21
	s_add_co_i32 s15, s15, s3
	s_lshl_b32 s0, s0, 7
	v_cvt_f32_u32_e32 v4, s16
	s_add_co_i32 s1, s1, s0
	s_add_co_i32 s34, ttmp9, -1
	v_or_b32_e32 v1, s1, v0
	s_add_nc_u64 s[0:1], s[16:17], 0
	v_rcp_iflag_f32_e32 v4, v4
	s_wait_alu 0xfffe
	s_xor_b64 s[6:7], s[0:1], 0
	s_lshl_b32 s0, ttmp9, 3
	v_ashrrev_i32_e32 v2, 31, v1
	s_wait_alu 0xfffe
	s_cvt_f32_u32 s1, s6
	s_cvt_f32_u32 s2, s7
	s_add_co_i32 s0, s15, s0
	v_lshl_or_b32 v0, s15, 7, v0
	v_lshlrev_b64_e32 v[1:2], 2, v[1:2]
	s_wait_alu 0xfffe
	s_fmamk_f32 s2, s2, 0x4f800000, s1
	s_ashr_i32 s1, s0, 31
	s_sub_nc_u64 s[30:31], 0, s[6:7]
	s_wait_alu 0xfffe
	s_lshl_b64 s[0:1], s[0:1], 3
	v_s_rcp_f32 s2, s2
	s_wait_kmcnt 0x0
	v_add_co_u32 v1, vcc_lo, s8, v1
	s_delay_alu instid0(VALU_DEP_1)
	v_add_co_ci_u32_e64 v2, null, s9, v2, vcc_lo
	s_wait_alu 0xfffe
	s_add_nc_u64 s[0:1], s[10:11], s[0:1]
	s_mov_b32 s8, 0
	s_load_b64 s[26:27], s[0:1], 0x0
	global_load_b32 v3, v[1:2], off
	s_mul_f32 s2, s2, 0x5f7ffffc
	v_mul_f32_e32 v4, 0x4f7ffffe, v4
	s_lshl_b32 s0, s16, 5
	s_wait_alu 0xfffe
	s_mul_f32 s1, s2, 0x2f800000
	s_wait_alu 0xfffe
	s_delay_alu instid0(SALU_CYCLE_2)
	s_trunc_f32 s3, s1
	s_mov_b32 s1, s8
	s_wait_alu 0xfffe
	s_lshl_b64 s[0:1], s[0:1], 2
	s_fmamk_f32 s2, s3, 0xcf800000, s2
	s_cvt_u32_f32 s29, s3
	s_wait_alu 0xfffe
	s_add_nc_u64 s[24:25], s[10:11], s[0:1]
	s_cvt_u32_f32 s28, s2
	s_wait_kmcnt 0x0
	v_mov_b32_e32 v5, s27
	v_cvt_u32_f32_e32 v4, v4
.LBB29_9:                               ; =>This Inner Loop Header: Depth=1
	s_wait_alu 0xfffe
	s_ashr_i32 s35, s34, 31
	s_mov_b32 s2, -1
	s_wait_alu 0xfffe
	s_mul_u64 s[0:1], s[34:35], s[18:19]
                                        ; implicit-def: $sgpr38_sgpr39
	s_wait_alu 0xfffe
	s_mov_b32 s9, s1
	s_wait_alu 0xfffe
	s_cmp_lg_u64 s[8:9], 0
	s_cbranch_scc0 .LBB29_11
; %bb.10:                               ;   in Loop: Header=BB29_9 Depth=1
	s_mul_u64 s[2:3], s[30:31], s[28:29]
	s_mov_b32 s37, s8
	s_wait_alu 0xfffe
	s_mul_hi_u32 s5, s28, s3
	s_mul_i32 s4, s28, s3
	s_mul_hi_u32 s36, s28, s2
	s_mul_hi_u32 s9, s29, s2
	s_wait_alu 0xfffe
	s_add_nc_u64 s[4:5], s[36:37], s[4:5]
	s_mul_i32 s2, s29, s2
	s_mul_hi_u32 s17, s29, s3
	s_wait_alu 0xfffe
	s_add_co_u32 s2, s4, s2
	s_add_co_ci_u32 s2, s5, s9
	s_add_co_ci_u32 s5, s17, 0
	s_mul_i32 s4, s29, s3
	s_mov_b32 s3, s8
	s_mov_b32 s39, s8
	s_wait_alu 0xfffe
	s_add_nc_u64 s[2:3], s[2:3], s[4:5]
	s_wait_alu 0xfffe
	s_add_co_u32 s2, s28, s2
	s_cselect_b32 s4, -1, 0
	s_wait_alu 0xfffe
	s_cmp_lg_u32 s4, 0
	s_add_co_ci_u32 s3, s29, s3
	s_wait_alu 0xfffe
	s_mul_u64 s[4:5], s[30:31], s[2:3]
	s_wait_alu 0xfffe
	s_mul_hi_u32 s37, s2, s5
	s_mul_i32 s36, s2, s5
	s_mul_hi_u32 s38, s2, s4
	s_mul_hi_u32 s9, s3, s4
	s_mul_i32 s4, s3, s4
	s_wait_alu 0xfffe
	s_add_nc_u64 s[36:37], s[38:39], s[36:37]
	s_mul_hi_u32 s17, s3, s5
	s_wait_alu 0xfffe
	s_add_co_u32 s4, s36, s4
	s_add_co_ci_u32 s4, s37, s9
	s_add_co_ci_u32 s37, s17, 0
	s_mul_i32 s36, s3, s5
	s_mov_b32 s5, s8
	s_wait_alu 0xfffe
	s_add_nc_u64 s[4:5], s[4:5], s[36:37]
	s_mov_b32 s37, s8
	s_wait_alu 0xfffe
	s_add_co_u32 s9, s2, s4
	s_cselect_b32 s2, -1, 0
	s_wait_alu 0xfffe
	s_cmp_lg_u32 s2, 0
	s_add_co_ci_u32 s17, s3, s5
	s_ashr_i32 s2, s1, 31
	s_wait_alu 0xfffe
	s_mov_b32 s3, s2
	s_wait_alu 0xfffe
	s_add_nc_u64 s[4:5], s[0:1], s[2:3]
	s_wait_alu 0xfffe
	s_xor_b64 s[4:5], s[4:5], s[2:3]
	s_wait_alu 0xfffe
	s_mul_hi_u32 s39, s4, s17
	s_mul_i32 s38, s4, s17
	s_mul_hi_u32 s36, s4, s9
	s_mul_i32 s21, s5, s9
	s_wait_alu 0xfffe
	s_add_nc_u64 s[36:37], s[36:37], s[38:39]
	s_mul_hi_u32 s9, s5, s9
	s_mul_hi_u32 s1, s5, s17
	s_wait_alu 0xfffe
	s_add_co_u32 s21, s36, s21
	s_add_co_ci_u32 s36, s37, s9
	s_add_co_ci_u32 s39, s1, 0
	s_mul_i32 s38, s5, s17
	s_mov_b32 s37, s8
	s_wait_alu 0xfffe
	s_add_nc_u64 s[36:37], s[36:37], s[38:39]
	s_wait_alu 0xfffe
	s_mul_u64 s[38:39], s[6:7], s[36:37]
	s_add_nc_u64 s[40:41], s[36:37], 1
	s_sub_co_u32 s1, s4, s38
	s_cselect_b32 s4, -1, 0
	s_sub_co_i32 s9, s5, s39
	s_wait_alu 0xfffe
	s_cmp_lg_u32 s4, 0
	s_add_nc_u64 s[42:43], s[36:37], 2
	s_sub_co_ci_u32 s9, s9, s7
	s_sub_co_u32 s17, s1, s6
	s_cselect_b32 s21, -1, 0
	s_delay_alu instid0(SALU_CYCLE_1)
	s_cmp_lg_u32 s21, 0
	s_wait_alu 0xfffe
	s_sub_co_ci_u32 s9, s9, 0
	s_wait_alu 0xfffe
	s_cmp_ge_u32 s9, s7
	s_cselect_b32 s21, -1, 0
	s_cmp_ge_u32 s17, s6
	s_cselect_b32 s17, -1, 0
	s_cmp_eq_u32 s9, s7
	s_wait_alu 0xfffe
	s_cselect_b32 s9, s17, s21
	s_wait_alu 0xfffe
	s_cmp_lg_u32 s9, 0
	s_cselect_b32 s9, s42, s40
	s_cselect_b32 s17, s43, s41
	s_cmp_lg_u32 s4, 0
	s_sub_co_ci_u32 s4, s5, s39
	s_wait_alu 0xfffe
	s_cmp_ge_u32 s4, s7
	s_cselect_b32 s5, -1, 0
	s_cmp_ge_u32 s1, s6
	s_cselect_b32 s1, -1, 0
	s_cmp_eq_u32 s4, s7
	s_wait_alu 0xfffe
	s_cselect_b32 s1, s1, s5
	s_wait_alu 0xfffe
	s_cmp_lg_u32 s1, 0
	s_cselect_b32 s5, s17, s37
	s_cselect_b32 s4, s9, s36
	s_xor_b64 s[2:3], s[2:3], 0
	s_wait_alu 0xfffe
	s_xor_b64 s[4:5], s[4:5], s[2:3]
	s_wait_alu 0xfffe
	s_sub_nc_u64 s[38:39], s[4:5], s[2:3]
	s_mov_b32 s2, 0
.LBB29_11:                              ;   in Loop: Header=BB29_9 Depth=1
	s_wait_alu 0xfffe
	s_and_not1_b32 vcc_lo, exec_lo, s2
	s_wait_alu 0xfffe
	s_cbranch_vccnz .LBB29_13
; %bb.12:                               ;   in Loop: Header=BB29_9 Depth=1
	v_readfirstlane_b32 s1, v4
	s_sub_co_i32 s2, 0, s16
	s_wait_alu 0xfffe
	s_mul_i32 s2, s2, s1
	s_wait_alu 0xfffe
	s_mul_hi_u32 s2, s1, s2
	s_wait_alu 0xfffe
	s_add_co_i32 s1, s1, s2
	s_wait_alu 0xfffe
	s_mul_hi_u32 s1, s0, s1
	s_wait_alu 0xfffe
	s_mul_i32 s2, s1, s16
	s_wait_alu 0xfffe
	s_sub_co_i32 s0, s0, s2
	s_add_co_i32 s2, s1, 1
	s_wait_alu 0xfffe
	s_sub_co_i32 s3, s0, s16
	s_cmp_ge_u32 s0, s16
	s_cselect_b32 s1, s2, s1
	s_wait_alu 0xfffe
	s_cselect_b32 s0, s3, s0
	s_add_co_i32 s2, s1, 1
	s_wait_alu 0xfffe
	s_cmp_ge_u32 s0, s16
	s_cselect_b32 s38, s2, s1
.LBB29_13:                              ;   in Loop: Header=BB29_9 Depth=1
	v_readfirstlane_b32 s9, v0
	s_cmp_lg_u32 s20, s38
	s_mov_b32 s0, -1
                                        ; implicit-def: $sgpr21
                                        ; implicit-def: $vgpr6
                                        ; implicit-def: $vgpr7
                                        ; implicit-def: $sgpr17
                                        ; implicit-def: $sgpr27
	s_cbranch_scc1 .LBB29_16
; %bb.14:                               ;   in Loop: Header=BB29_9 Depth=1
	s_wait_alu 0xfffe
	s_and_not1_b32 vcc_lo, exec_lo, s0
	s_wait_alu 0xfffe
	s_cbranch_vccz .LBB29_19
.LBB29_15:                              ;   in Loop: Header=BB29_9 Depth=1
	s_and_not1_b32 vcc_lo, exec_lo, s21
	s_wait_alu 0xfffe
	s_cbranch_vccnz .LBB29_20
	s_branch .LBB29_23
.LBB29_16:                              ;   in Loop: Header=BB29_9 Depth=1
	s_add_co_i32 s0, s34, s16
	s_mov_b32 s1, s8
	s_wait_alu 0xfffe
	s_lshl_b32 s0, s0, 3
	v_max_num_f32_e64 v6, s26, s26
	s_wait_alu 0xfffe
	s_add_co_i32 s0, s0, s15
	s_mov_b32 s39, s8
	s_wait_alu 0xfffe
	s_lshl_b64 s[0:1], s[0:1], 3
	s_mul_u64 s[40:41], s[38:39], s[22:23]
	s_wait_alu 0xfffe
	s_add_nc_u64 s[0:1], s[10:11], s[0:1]
	s_mov_b32 s27, s20
	s_load_b64 s[36:37], s[0:1], 0x0
	v_readfirstlane_b32 s0, v6
	s_wait_kmcnt 0x0
	v_max_num_f32_e64 v7, s36, s36
	s_delay_alu instid0(VALU_DEP_1) | instskip(SKIP_2) | instid1(SALU_CYCLE_2)
	v_readfirstlane_b32 s1, v7
	s_max_num_f32 s9, s0, s1
	s_wait_alu 0xfffe
	s_sub_f32 s33, s26, s9
	s_sub_f32 s35, s36, s9
	s_wait_alu 0xfffe
	s_delay_alu instid0(SALU_CYCLE_1)
	s_cmp_nlt_f32 s33, 0xc2ce8ed0
	s_cselect_b32 s0, -1, 0
	s_cmp_ngt_f32 s33, 0x42b17218
	s_cselect_b32 s1, -1, 0
	s_cmp_ge_f32 s33, 0xc1a00000
	s_cselect_b32 s2, -1, 0
	s_cmp_nlt_f32 s35, 0xc2ce8ed0
	s_cselect_b32 s3, -1, 0
	s_cmp_ngt_f32 s35, 0x42b17218
	s_cselect_b32 s4, -1, 0
	s_cmp_ge_f32 s35, 0xc1a00000
	s_cselect_b32 s5, -1, 0
	s_add_co_i32 s17, s41, s38
	s_wait_alu 0xfffe
	s_lshr_b32 s17, s17, s13
	s_wait_alu 0xfffe
	s_mul_i32 s21, s17, s14
	s_delay_alu instid0(SALU_CYCLE_1)
	s_cmp_eq_u32 s21, s38
	s_cselect_b32 s21, -1, 0
	s_cmp_lt_u32 s17, s12
	s_cselect_b32 s17, -1, 0
	s_wait_alu 0xfffe
	s_or_b32 s17, s17, s21
	s_mov_b32 s21, -1
	s_wait_alu 0xfffe
	s_and_b32 vcc_lo, exec_lo, s17
	s_mov_b32 s17, s34
	s_wait_alu 0xfffe
	s_cbranch_vccnz .LBB29_18
; %bb.17:                               ;   in Loop: Header=BB29_9 Depth=1
	s_add_co_i32 s17, s34, -1
	s_mov_b32 s21, 0
	s_mov_b32 s27, s38
.LBB29_18:                              ;   in Loop: Header=BB29_9 Depth=1
	v_lshl_add_u32 v6, s34, 10, v0
	s_mul_f32 s36, s35, 0x3fb8aa3b
	s_mul_f32 s38, s33, 0x3fb8aa3b
	s_wait_alu 0xfffe
	s_delay_alu instid0(SALU_CYCLE_1)
	s_xor_b32 s39, s36, 0x80000000
	v_ashrrev_i32_e32 v7, 31, v6
	s_rndne_f32 s40, s36
	s_fmamk_f32 s39, s35, 0x3fb8aa3b, s39
	s_xor_b32 s41, s38, 0x80000000
	s_rndne_f32 s42, s38
	v_lshlrev_b64_e32 v[6:7], 2, v[6:7]
	s_sub_f32 s36, s36, s40
	s_fmamk_f32 s35, s35, 0x32a5705f, s39
	s_fmamk_f32 s39, s33, 0x3fb8aa3b, s41
	s_sub_f32 s38, s38, s42
	s_delay_alu instid0(VALU_DEP_1)
	v_add_co_u32 v6, vcc_lo, s24, v6
	s_wait_alu 0xfffd
	v_add_co_ci_u32_e64 v7, null, s25, v7, vcc_lo
	s_wait_alu 0xfffe
	s_add_f32 s35, s36, s35
	s_fmamk_f32 s33, s33, 0x32a5705f, s39
	s_cvt_i32_f32 s36, s40
	global_load_b32 v6, v[6:7], off
	s_wait_alu 0xfffe
	v_s_exp_f32 s35, s35
	s_add_f32 s33, s38, s33
	s_wait_alu 0xfffe
	s_delay_alu instid0(SALU_CYCLE_2) | instskip(NEXT) | instid1(TRANS32_DEP_2)
	v_s_exp_f32 s33, s33
	v_ldexp_f32 v7, s35, s36
	s_cvt_i32_f32 s35, s42
	s_wait_alu 0xf1fe
	s_delay_alu instid0(TRANS32_DEP_1) | instid1(SALU_CYCLE_2)
	v_ldexp_f32 v8, s33, s35
	s_delay_alu instid0(VALU_DEP_2) | instskip(NEXT) | instid1(VALU_DEP_2)
	v_cndmask_b32_e64 v7, 0, v7, s3
	v_cndmask_b32_e64 v8, 0, v8, s0
	s_delay_alu instid0(VALU_DEP_2) | instskip(NEXT) | instid1(VALU_DEP_2)
	v_cndmask_b32_e64 v7, 0x7f800000, v7, s4
	v_cndmask_b32_e64 v8, 0x7f800000, v8, s1
	;; [unrolled: 3-line block ×3, first 2 shown]
	s_wait_loadcnt 0x0
	s_delay_alu instid0(VALU_DEP_2) | instskip(SKIP_1) | instid1(VALU_DEP_1)
	v_mul_f32_e32 v6, v6, v7
	v_mul_f32_e32 v7, s37, v7
	v_fmac_f32_e32 v7, v5, v8
	s_delay_alu instid0(VALU_DEP_3)
	v_fmac_f32_e32 v6, v3, v8
	s_cbranch_execnz .LBB29_15
.LBB29_19:                              ;   in Loop: Header=BB29_9 Depth=1
	s_wait_loadcnt 0x0
	v_dual_mov_b32 v7, v5 :: v_dual_mov_b32 v6, v3
	s_add_co_i32 s17, s34, -1
	s_mov_b32 s27, s20
	s_mov_b32 s9, s26
	s_cbranch_execz .LBB29_23
.LBB29_20:                              ;   in Loop: Header=BB29_9 Depth=1
	v_mov_b32_e32 v5, v7
	s_wait_loadcnt 0x0
	v_mov_b32_e32 v3, v6
	s_wait_alu 0xfffe
	s_mov_b32 s20, s27
	s_mov_b32 s34, s17
	;; [unrolled: 1-line block ×3, first 2 shown]
	s_branch .LBB29_9
.LBB29_21:
                                        ; implicit-def: $sgpr20_sgpr21
	s_branch .LBB29_2
.LBB29_22:
                                        ; implicit-def: $sgpr10_sgpr11
	s_load_b96 s[12:14], s[0:1], 0x44
	s_branch .LBB29_5
.LBB29_23:
	v_div_scale_f32 v0, null, v7, v7, v6
	s_wait_loadcnt 0x0
	s_delay_alu instid0(VALU_DEP_1) | instskip(NEXT) | instid1(TRANS32_DEP_1)
	v_rcp_f32_e32 v3, v0
	v_fma_f32 v4, -v0, v3, 1.0
	s_delay_alu instid0(VALU_DEP_1) | instskip(SKIP_1) | instid1(VALU_DEP_1)
	v_fmac_f32_e32 v3, v4, v3
	v_div_scale_f32 v4, vcc_lo, v6, v7, v6
	v_mul_f32_e32 v5, v4, v3
	s_delay_alu instid0(VALU_DEP_1) | instskip(NEXT) | instid1(VALU_DEP_1)
	v_fma_f32 v8, -v0, v5, v4
	v_fmac_f32_e32 v5, v8, v3
	s_delay_alu instid0(VALU_DEP_1) | instskip(SKIP_1) | instid1(VALU_DEP_1)
	v_fma_f32 v0, -v0, v5, v4
	s_wait_alu 0xfffd
	v_div_fmas_f32 v0, v0, v3, v5
	s_delay_alu instid0(VALU_DEP_1)
	v_div_fixup_f32 v0, v0, v7, v6
	global_store_b32 v[1:2], v0, off
.LBB29_24:
	s_endpgm
	.section	.rodata,"a",@progbits
	.p2align	6, 0x0
	.amdhsa_kernel _ZL33flash_attn_stream_k_fixup_generalILi128ELi2ELi4EEvPfPK15HIP_vector_typeIfLj2EEiiiiS1_IjLj3EES5_S5_S5_
		.amdhsa_group_segment_fixed_size 0
		.amdhsa_private_segment_fixed_size 0
		.amdhsa_kernarg_size 336
		.amdhsa_user_sgpr_count 2
		.amdhsa_user_sgpr_dispatch_ptr 0
		.amdhsa_user_sgpr_queue_ptr 0
		.amdhsa_user_sgpr_kernarg_segment_ptr 1
		.amdhsa_user_sgpr_dispatch_id 0
		.amdhsa_user_sgpr_private_segment_size 0
		.amdhsa_wavefront_size32 1
		.amdhsa_uses_dynamic_stack 0
		.amdhsa_enable_private_segment 0
		.amdhsa_system_sgpr_workgroup_id_x 1
		.amdhsa_system_sgpr_workgroup_id_y 1
		.amdhsa_system_sgpr_workgroup_id_z 1
		.amdhsa_system_sgpr_workgroup_info 0
		.amdhsa_system_vgpr_workitem_id 0
		.amdhsa_next_free_vgpr 9
		.amdhsa_next_free_sgpr 44
		.amdhsa_reserve_vcc 1
		.amdhsa_float_round_mode_32 0
		.amdhsa_float_round_mode_16_64 0
		.amdhsa_float_denorm_mode_32 3
		.amdhsa_float_denorm_mode_16_64 3
		.amdhsa_fp16_overflow 0
		.amdhsa_workgroup_processor_mode 1
		.amdhsa_memory_ordered 1
		.amdhsa_forward_progress 1
		.amdhsa_inst_pref_size 28
		.amdhsa_round_robin_scheduling 0
		.amdhsa_exception_fp_ieee_invalid_op 0
		.amdhsa_exception_fp_denorm_src 0
		.amdhsa_exception_fp_ieee_div_zero 0
		.amdhsa_exception_fp_ieee_overflow 0
		.amdhsa_exception_fp_ieee_underflow 0
		.amdhsa_exception_fp_ieee_inexact 0
		.amdhsa_exception_int_div_zero 0
	.end_amdhsa_kernel
	.section	.text._ZL33flash_attn_stream_k_fixup_generalILi128ELi2ELi4EEvPfPK15HIP_vector_typeIfLj2EEiiiiS1_IjLj3EES5_S5_S5_,"axG",@progbits,_ZL33flash_attn_stream_k_fixup_generalILi128ELi2ELi4EEvPfPK15HIP_vector_typeIfLj2EEiiiiS1_IjLj3EES5_S5_S5_,comdat
.Lfunc_end29:
	.size	_ZL33flash_attn_stream_k_fixup_generalILi128ELi2ELi4EEvPfPK15HIP_vector_typeIfLj2EEiiiiS1_IjLj3EES5_S5_S5_, .Lfunc_end29-_ZL33flash_attn_stream_k_fixup_generalILi128ELi2ELi4EEvPfPK15HIP_vector_typeIfLj2EEiiiiS1_IjLj3EES5_S5_S5_
                                        ; -- End function
	.set _ZL33flash_attn_stream_k_fixup_generalILi128ELi2ELi4EEvPfPK15HIP_vector_typeIfLj2EEiiiiS1_IjLj3EES5_S5_S5_.num_vgpr, 9
	.set _ZL33flash_attn_stream_k_fixup_generalILi128ELi2ELi4EEvPfPK15HIP_vector_typeIfLj2EEiiiiS1_IjLj3EES5_S5_S5_.num_agpr, 0
	.set _ZL33flash_attn_stream_k_fixup_generalILi128ELi2ELi4EEvPfPK15HIP_vector_typeIfLj2EEiiiiS1_IjLj3EES5_S5_S5_.numbered_sgpr, 44
	.set _ZL33flash_attn_stream_k_fixup_generalILi128ELi2ELi4EEvPfPK15HIP_vector_typeIfLj2EEiiiiS1_IjLj3EES5_S5_S5_.num_named_barrier, 0
	.set _ZL33flash_attn_stream_k_fixup_generalILi128ELi2ELi4EEvPfPK15HIP_vector_typeIfLj2EEiiiiS1_IjLj3EES5_S5_S5_.private_seg_size, 0
	.set _ZL33flash_attn_stream_k_fixup_generalILi128ELi2ELi4EEvPfPK15HIP_vector_typeIfLj2EEiiiiS1_IjLj3EES5_S5_S5_.uses_vcc, 1
	.set _ZL33flash_attn_stream_k_fixup_generalILi128ELi2ELi4EEvPfPK15HIP_vector_typeIfLj2EEiiiiS1_IjLj3EES5_S5_S5_.uses_flat_scratch, 0
	.set _ZL33flash_attn_stream_k_fixup_generalILi128ELi2ELi4EEvPfPK15HIP_vector_typeIfLj2EEiiiiS1_IjLj3EES5_S5_S5_.has_dyn_sized_stack, 0
	.set _ZL33flash_attn_stream_k_fixup_generalILi128ELi2ELi4EEvPfPK15HIP_vector_typeIfLj2EEiiiiS1_IjLj3EES5_S5_S5_.has_recursion, 0
	.set _ZL33flash_attn_stream_k_fixup_generalILi128ELi2ELi4EEvPfPK15HIP_vector_typeIfLj2EEiiiiS1_IjLj3EES5_S5_S5_.has_indirect_call, 0
	.section	.AMDGPU.csdata,"",@progbits
; Kernel info:
; codeLenInByte = 3548
; TotalNumSgprs: 46
; NumVgprs: 9
; ScratchSize: 0
; MemoryBound: 0
; FloatMode: 240
; IeeeMode: 1
; LDSByteSize: 0 bytes/workgroup (compile time only)
; SGPRBlocks: 0
; VGPRBlocks: 1
; NumSGPRsForWavesPerEU: 46
; NumVGPRsForWavesPerEU: 9
; Occupancy: 16
; WaveLimiterHint : 0
; COMPUTE_PGM_RSRC2:SCRATCH_EN: 0
; COMPUTE_PGM_RSRC2:USER_SGPR: 2
; COMPUTE_PGM_RSRC2:TRAP_HANDLER: 0
; COMPUTE_PGM_RSRC2:TGID_X_EN: 1
; COMPUTE_PGM_RSRC2:TGID_Y_EN: 1
; COMPUTE_PGM_RSRC2:TGID_Z_EN: 1
; COMPUTE_PGM_RSRC2:TIDIG_COMP_CNT: 0
	.section	.text._ZL15flash_attn_tileILi128ELi128ELi1ELi4ELb0EEvPKcS1_S1_S1_S1_PKiPfP15HIP_vector_typeIfLj2EEffffjfiS5_IjLj3EEiiiiiiiiiiiliiliiiiil,"axG",@progbits,_ZL15flash_attn_tileILi128ELi128ELi1ELi4ELb0EEvPKcS1_S1_S1_S1_PKiPfP15HIP_vector_typeIfLj2EEffffjfiS5_IjLj3EEiiiiiiiiiiiliiliiiiil,comdat
	.globl	_ZL15flash_attn_tileILi128ELi128ELi1ELi4ELb0EEvPKcS1_S1_S1_S1_PKiPfP15HIP_vector_typeIfLj2EEffffjfiS5_IjLj3EEiiiiiiiiiiiliiliiiiil ; -- Begin function _ZL15flash_attn_tileILi128ELi128ELi1ELi4ELb0EEvPKcS1_S1_S1_S1_PKiPfP15HIP_vector_typeIfLj2EEffffjfiS5_IjLj3EEiiiiiiiiiiiliiliiiiil
	.p2align	8
	.type	_ZL15flash_attn_tileILi128ELi128ELi1ELi4ELb0EEvPKcS1_S1_S1_S1_PKiPfP15HIP_vector_typeIfLj2EEffffjfiS5_IjLj3EEiiiiiiiiiiiliiliiiiil,@function
_ZL15flash_attn_tileILi128ELi128ELi1ELi4ELb0EEvPKcS1_S1_S1_S1_PKiPfP15HIP_vector_typeIfLj2EEffffjfiS5_IjLj3EEiiiiiiiiiiiliiliiiiil: ; @_ZL15flash_attn_tileILi128ELi128ELi1ELi4ELb0EEvPKcS1_S1_S1_S1_PKiPfP15HIP_vector_typeIfLj2EEffffjfiS5_IjLj3EEiiiiiiiiiiiliiliiiiil
; %bb.0:
	s_clause 0x1
	s_load_b128 s[20:23], s[0:1], 0x5c
	s_load_b64 s[30:31], s[0:1], 0x80
	s_lshr_b32 s5, ttmp7, 16
	s_load_b64 s[36:37], s[0:1], 0xb8
	s_mov_b64 s[34:35], 0
	s_wait_kmcnt 0x0
	s_ashr_i32 s2, s23, 31
	s_delay_alu instid0(SALU_CYCLE_1) | instskip(NEXT) | instid1(SALU_CYCLE_1)
	s_lshr_b32 s2, s2, 30
	s_add_co_i32 s2, s23, s2
	s_delay_alu instid0(SALU_CYCLE_1) | instskip(NEXT) | instid1(SALU_CYCLE_1)
	s_ashr_i32 s2, s2, 2
	s_cvt_f32_u32 s3, s2
	s_sub_co_i32 s4, 0, s2
	s_delay_alu instid0(SALU_CYCLE_2) | instskip(NEXT) | instid1(TRANS32_DEP_1)
	v_rcp_iflag_f32_e32 v1, s3
	v_readfirstlane_b32 s3, v1
	s_mul_f32 s3, s3, 0x4f7ffffe
	s_wait_alu 0xfffe
	s_delay_alu instid0(SALU_CYCLE_2) | instskip(SKIP_1) | instid1(SALU_CYCLE_2)
	s_cvt_u32_f32 s3, s3
	s_wait_alu 0xfffe
	s_mul_i32 s4, s4, s3
	s_delay_alu instid0(SALU_CYCLE_1) | instskip(NEXT) | instid1(SALU_CYCLE_1)
	s_mul_hi_u32 s4, s3, s4
	s_add_co_i32 s3, s3, s4
	s_wait_alu 0xfffe
	s_mul_hi_u32 s3, s5, s3
	s_wait_alu 0xfffe
	s_mul_i32 s4, s3, s2
	s_add_co_i32 s6, s3, 1
	s_sub_co_i32 s4, s5, s4
	s_delay_alu instid0(SALU_CYCLE_1)
	s_sub_co_i32 s7, s4, s2
	s_cmp_ge_u32 s4, s2
	s_cselect_b32 s3, s6, s3
	s_cselect_b32 s4, s7, s4
	s_wait_alu 0xfffe
	s_add_co_i32 s6, s3, 1
	s_cmp_ge_u32 s4, s2
	s_cselect_b32 s28, s6, s3
	s_abs_i32 s2, s31
	s_abs_i32 s7, s23
	s_wait_alu 0xfffe
	s_cvt_f32_u32 s3, s2
	s_sub_co_i32 s4, 0, s2
	s_lshl_b32 s5, s5, 2
	s_mul_i32 s6, s28, s23
	s_wait_alu 0xfffe
	v_rcp_iflag_f32_e32 v1, s3
	s_sub_co_i32 s33, s5, s6
	s_delay_alu instid0(TRANS32_DEP_1) | instskip(SKIP_2) | instid1(SALU_CYCLE_2)
	v_readfirstlane_b32 s3, v1
	s_mul_f32 s3, s3, 0x4f7ffffe
	s_wait_alu 0xfffe
	s_cvt_u32_f32 s3, s3
	s_wait_alu 0xfffe
	s_delay_alu instid0(SALU_CYCLE_2) | instskip(NEXT) | instid1(SALU_CYCLE_1)
	s_mul_i32 s4, s4, s3
	s_mul_hi_u32 s4, s3, s4
	s_delay_alu instid0(SALU_CYCLE_1)
	s_add_co_i32 s3, s3, s4
	s_xor_b32 s4, s23, s31
	s_wait_alu 0xfffe
	s_mul_hi_u32 s3, s7, s3
	s_ashr_i32 s24, s4, 31
	s_wait_alu 0xfffe
	s_mul_i32 s5, s3, s2
	s_delay_alu instid0(SALU_CYCLE_1)
	s_sub_co_i32 s4, s7, s5
	s_add_co_i32 s5, s3, 1
	s_sub_co_i32 s6, s4, s2
	s_cmp_ge_u32 s4, s2
	s_cselect_b32 s3, s5, s3
	s_cselect_b32 s4, s6, s4
	s_wait_alu 0xfffe
	s_add_co_i32 s5, s3, 1
	s_cmp_ge_u32 s4, s2
	s_cselect_b32 s2, s5, s3
	s_load_b512 s[4:19], s[0:1], 0x0
	s_xor_b32 s2, s2, s24
	s_mov_b32 s3, 0
	s_wait_alu 0xfffe
	s_sub_co_i32 s38, s2, s24
	s_delay_alu instid0(SALU_CYCLE_1) | instskip(NEXT) | instid1(SALU_CYCLE_1)
	s_abs_i32 s31, s38
	s_cvt_f32_u32 s2, s31
	s_wait_alu 0xfffe
	s_delay_alu instid0(SALU_CYCLE_2) | instskip(SKIP_2) | instid1(TRANS32_DEP_1)
	v_rcp_iflag_f32_e32 v1, s2
	s_wait_kmcnt 0x0
	s_cmp_eq_u64 s[10:11], 0
	v_readfirstlane_b32 s2, v1
	s_cbranch_scc1 .LBB30_2
; %bb.1:
	s_abs_i32 s26, s36
	s_delay_alu instid0(SALU_CYCLE_1) | instskip(NEXT) | instid1(SALU_CYCLE_3)
	s_cvt_f32_u32 s24, s26
	v_rcp_iflag_f32_e32 v1, s24
	s_delay_alu instid0(TRANS32_DEP_1) | instskip(SKIP_2) | instid1(SALU_CYCLE_2)
	v_readfirstlane_b32 s24, v1
	s_mul_f32 s24, s24, 0x4f7ffffe
	s_wait_alu 0xfffe
	s_cvt_u32_f32 s27, s24
	s_sub_co_i32 s24, 0, s26
	s_wait_alu 0xfffe
	s_delay_alu instid0(SALU_CYCLE_1) | instskip(SKIP_4) | instid1(SALU_CYCLE_1)
	s_mul_i32 s24, s24, s27
	s_wait_alu 0xfffe
	s_mul_hi_u32 s29, s27, s24
	s_load_b64 s[24:25], s[0:1], 0xc8
	s_add_co_i32 s27, s27, s29
	s_mul_hi_u32 s27, s28, s27
	s_delay_alu instid0(SALU_CYCLE_1) | instskip(NEXT) | instid1(SALU_CYCLE_1)
	s_mul_i32 s27, s27, s26
	s_sub_co_i32 s27, s28, s27
	s_delay_alu instid0(SALU_CYCLE_1) | instskip(SKIP_2) | instid1(SALU_CYCLE_1)
	s_sub_co_i32 s29, s27, s26
	s_cmp_ge_u32 s27, s26
	s_cselect_b32 s27, s29, s27
	s_sub_co_i32 s29, s27, s26
	s_cmp_ge_u32 s27, s26
	s_cselect_b32 s26, s29, s27
	s_delay_alu instid0(SALU_CYCLE_1)
	s_ashr_i32 s27, s26, 31
	s_wait_kmcnt 0x0
	s_mul_u64 s[24:25], s[24:25], s[26:27]
	s_wait_alu 0xfffe
	s_add_nc_u64 s[34:35], s[10:11], s[24:25]
.LBB30_2:
	v_lshrrev_b32_e32 v1, 10, v0
	s_load_b96 s[24:26], s[0:1], 0x70
	v_bfe_u32 v21, v0, 10, 2
	s_delay_alu instid0(VALU_DEP_2) | instskip(NEXT) | instid1(VALU_DEP_1)
	v_bfe_u32 v1, v1, 2, 8
	v_add_nc_u32_e32 v1, ttmp9, v1
	s_delay_alu instid0(VALU_DEP_1) | instskip(SKIP_3) | instid1(VALU_DEP_1)
	v_mul_hi_u32 v2, s20, v1
	s_wait_kmcnt 0x0
	s_mov_b32 s20, s25
	s_mul_i32 s10, s33, s25
	v_add_nc_u32_e32 v2, v1, v2
	s_delay_alu instid0(VALU_DEP_1)
	v_lshrrev_b32_e32 v2, s21, v2
	s_ashr_i32 s21, s25, 31
	s_ashr_i32 s25, s24, 31
	s_wait_alu 0xfffe
	s_lshr_b64 s[40:41], s[20:21], 2
	s_lshr_b32 s11, s21, 2
	v_mul_lo_u32 v2, v2, s22
	v_mad_co_u64_u32 v[4:5], null, s40, v21, 0
	s_lshr_b64 s[40:41], s[24:25], 2
	s_mul_i32 s20, s28, s26
	s_wait_alu 0xfffe
	s_ashr_i32 s21, s20, 31
	s_wait_alu 0xfffe
	s_add_nc_u64 s[4:5], s[4:5], s[20:21]
	v_sub_nc_u32_e32 v3, v1, v2
	v_mov_b32_e32 v2, v5
	s_delay_alu instid0(VALU_DEP_2) | instskip(NEXT) | instid1(VALU_DEP_1)
	v_mad_co_u64_u32 v[6:7], null, s40, v3, 0
	v_mov_b32_e32 v5, v7
	s_delay_alu instid0(VALU_DEP_3)
	v_mad_co_u64_u32 v[7:8], null, s11, v21, v[2:3]
	s_lshr_b32 s11, s25, 2
	v_and_b32_e32 v2, 0x3ff, v0
	s_wait_alu 0xfffe
	v_mad_co_u64_u32 v[8:9], null, s11, v3, v[5:6]
	s_ashr_i32 s11, s10, 31
	s_cmp_eq_u64 s[14:15], 0
	v_mov_b32_e32 v5, v7
	s_wait_alu 0xfffe
	s_add_nc_u64 s[4:5], s[4:5], s[10:11]
	v_dual_mov_b32 v7, v8 :: v_dual_lshlrev_b32 v8, 4, v2
	s_delay_alu instid0(VALU_DEP_2) | instskip(NEXT) | instid1(VALU_DEP_2)
	v_lshlrev_b64_e32 v[4:5], 2, v[4:5]
	v_lshlrev_b64_e32 v[6:7], 2, v[6:7]
	s_delay_alu instid0(VALU_DEP_2) | instskip(NEXT) | instid1(VALU_DEP_1)
	v_add_co_u32 v4, vcc_lo, s4, v4
	v_add_co_ci_u32_e64 v5, null, s5, v5, vcc_lo
	s_load_b32 s4, s[0:1], 0x40
	v_add_co_u32 v4, vcc_lo, v4, v6
	s_wait_alu 0xfffd
	v_add_co_ci_u32_e64 v5, null, v5, v7, vcc_lo
	s_delay_alu instid0(VALU_DEP_2) | instskip(SKIP_1) | instid1(VALU_DEP_2)
	v_add_co_u32 v4, vcc_lo, v4, v8
	s_wait_alu 0xfffd
	v_add_co_ci_u32_e64 v5, null, 0, v5, vcc_lo
	global_load_b128 v[4:7], v[4:5], off
	s_wait_loadcnt 0x0
	s_wait_kmcnt 0x0
	v_fma_mixlo_f16 v5, s4, v5, 0
	v_fma_mixlo_f16 v8, s4, v4, 0
	v_bfe_u32 v4, v0, 10, 10
	v_fma_mixlo_f16 v6, s4, v6, 0
	v_fma_mixlo_f16 v7, s4, v7, 0
	v_lshlrev_b32_e32 v5, 16, v5
	v_and_b32_e32 v8, 0xffff, v8
	v_lshlrev_b32_e32 v0, 3, v2
	v_lshl_add_u32 v23, v4, 8, 0x2400
	v_lshlrev_b32_e32 v7, 16, v7
	v_and_b32_e32 v6, 0xffff, v6
	v_or_b32_e32 v5, v5, v8
	s_delay_alu instid0(VALU_DEP_4) | instskip(NEXT) | instid1(VALU_DEP_3)
	v_add_nc_u32_e32 v8, v23, v0
	v_or3_b32 v6, v7, v6, 0
	s_delay_alu instid0(VALU_DEP_3)
	v_or3_b32 v5, 0, 0, v5
	ds_store_b64 v8, v[5:6]
	s_wait_dscnt 0x0
	s_barrier_signal -1
	s_barrier_wait -1
	global_inv scope:SCOPE_SE
	s_cbranch_scc1 .LBB30_4
; %bb.3:
	s_load_b32 s4, s[0:1], 0xd0
	s_mov_b32 s5, 0
	s_wait_kmcnt 0x0
	s_mul_i32 s4, s4, s28
	s_wait_alu 0xfffe
	s_add_co_i32 s4, s4, ttmp9
	s_wait_alu 0xfffe
	s_lshl_b64 s[4:5], s[4:5], 2
	s_wait_alu 0xfffe
	s_add_nc_u64 s[4:5], s[14:15], s[4:5]
	s_load_b32 s30, s[4:5], 0x0
.LBB30_4:
	s_and_b32 s4, ttmp7, 0xffff
	v_mbcnt_lo_u32_b32 v24, -1, 0
	s_wait_alu 0xfffe
	s_lshl_b32 s10, s4, 6
	s_wait_kmcnt 0x0
	s_wait_alu 0xfffe
	s_cmp_lt_i32 s10, s30
	s_cbranch_scc1 .LBB30_7
; %bb.5:
	v_mbcnt_lo_u32_b32 v6, -1, 0
	v_mov_b32_e32 v5, 32
	s_delay_alu instid0(VALU_DEP_2)
	v_xor_b32_e32 v29, 16, v6
	v_xor_b32_e32 v28, 8, v6
	;; [unrolled: 1-line block ×5, first 2 shown]
	v_lshlrev_b32_e32 v22, 2, v2
	s_mov_b32 s29, 0
	s_cbranch_execz .LBB30_8
; %bb.6:
	v_dual_mov_b32 v47, 0 :: v_dual_mov_b32 v48, 0
	v_mov_b32_e32 v20, 0xfeffffff
	v_mov_b32_e32 v46, 0
	s_branch .LBB30_11
.LBB30_7:
                                        ; implicit-def: $vgpr6
                                        ; implicit-def: $vgpr5
                                        ; implicit-def: $vgpr29
                                        ; implicit-def: $vgpr28
                                        ; implicit-def: $vgpr27
                                        ; implicit-def: $vgpr26
                                        ; implicit-def: $vgpr25
	v_lshlrev_b32_e32 v22, 2, v2
	s_mov_b32 s29, 0
.LBB30_8:
	s_mul_f32 s2, s2, 0x4f7ffffe
	s_clause 0x1
	s_load_b128 s[24:27], s[0:1], 0x98
	s_load_b64 s[20:21], s[0:1], 0x8c
	s_sub_co_i32 s11, 0, s31
	s_mov_b32 s15, s3
	s_cvt_u32_f32 s5, s2
	s_abs_i32 s2, s33
	s_ashr_i32 s40, s38, 31
	s_load_b64 s[38:39], s[0:1], 0xa8
	s_mul_i32 s11, s11, s5
	s_ashr_i32 s36, s33, 31
	s_wait_alu 0xfffe
	s_mul_hi_u32 s11, s5, s11
	v_lshrrev_b32_e32 v5, 3, v2
	s_wait_alu 0xfffe
	s_add_co_i32 s14, s5, s11
	s_ashr_i32 s5, s37, 1
	s_mul_u64 s[14:15], s[2:3], s[14:15]
	s_xor_b32 s11, s36, s40
	s_mul_i32 s3, s15, s31
	s_add_co_i32 s36, s15, 1
	s_wait_alu 0xfffe
	s_sub_co_i32 s2, s2, s3
	v_lshl_add_u32 v6, v4, 2, v5
	s_wait_kmcnt 0x0
	s_ashr_i32 s14, s26, 2
	s_ashr_i32 s20, s20, 2
	s_wait_alu 0xfffe
	s_sub_co_i32 s3, s2, s31
	s_cmp_ge_u32 s2, s31
	v_dual_mov_b32 v46, 0 :: v_dual_and_b32 v11, 28, v22
	s_cselect_b32 s15, s36, s15
	s_wait_alu 0xfffe
	s_cselect_b32 s2, s3, s2
	s_add_co_i32 s26, s15, 1
	s_wait_alu 0xfffe
	s_cmp_ge_u32 s2, s31
	s_mul_u64 s[2:3], s[24:25], s[28:29]
	s_cselect_b32 s15, s26, s15
	s_wait_alu 0xfffe
	s_add_nc_u64 s[2:3], s[6:7], s[2:3]
	s_xor_b32 s15, s15, s11
	v_mul_lo_u32 v5, s20, v6
	s_sub_co_i32 s7, s15, s11
	s_mul_u64 s[24:25], s[38:39], s[28:29]
	s_mul_i32 s6, s7, s21
	v_lshrrev_b32_e32 v8, 4, v2
	v_dual_mov_b32 v20, 0xfeffffff :: v_dual_lshlrev_b32 v7, 2, v11
	s_wait_alu 0xfffe
	s_add_nc_u64 s[8:9], s[8:9], s[24:25]
	s_mul_i32 s24, s7, s27
	s_ashr_i32 s7, s6, 31
	v_lshl_add_u32 v13, v4, 1, v8
	s_add_nc_u64 s[6:7], s[2:3], s[6:7]
	s_lshl_b32 s2, s20, 4
	v_mad_u32_u24 v30, 0x90, v6, v7
	s_wait_alu 0xfffe
	v_dual_mov_b32 v48, 0 :: v_dual_add_nc_u32 v7, s2, v5
	v_mul_lo_u32 v12, s14, v13
	v_and_b32_e32 v42, 60, v22
	v_ashrrev_i32_e32 v6, 31, v5
	s_delay_alu instid0(VALU_DEP_4)
	v_add_nc_u32_e32 v9, s2, v7
	v_ashrrev_i32_e32 v8, 31, v7
	v_lshl_add_u32 v35, v4, 7, 0x2800
	v_lshlrev_b32_e32 v17, 2, v42
	v_mad_co_u64_u32 v[3:4], null, v3, s5, v[2:3]
	v_add_nc_u32_e32 v14, s2, v9
	s_lshl_b32 s2, s14, 3
	v_ashrrev_i32_e32 v10, 31, v9
	s_wait_alu 0xfffe
	v_add_nc_u32_e32 v16, s2, v12
	v_lshl_or_b32 v36, v13, 8, v17
	v_ashrrev_i32_e32 v15, 31, v14
	v_ashrrev_i32_e32 v13, 31, v12
	v_lshlrev_b64_e32 v[4:5], 2, v[5:6]
	v_add_nc_u32_e32 v18, s2, v16
	v_ashrrev_i32_e32 v17, 31, v16
	v_lshlrev_b32_e32 v41, 2, v11
	v_lshlrev_b64_e32 v[6:7], 2, v[7:8]
	v_lshlrev_b64_e32 v[8:9], 2, v[9:10]
	v_add_nc_u32_e32 v43, s2, v18
	v_ashrrev_i32_e32 v19, 31, v18
	v_lshlrev_b64_e32 v[10:11], 2, v[14:15]
	v_lshlrev_b64_e32 v[12:13], 2, v[12:13]
	;; [unrolled: 1-line block ×3, first 2 shown]
	v_ashrrev_i32_e32 v44, 31, v43
	v_lshlrev_b64_e32 v[16:17], 2, v[18:19]
	v_add_nc_u32_e32 v31, 0x900, v30
	v_dual_mov_b32 v47, 0 :: v_dual_add_nc_u32 v32, 0x1200, v30
	s_delay_alu instid0(VALU_DEP_4)
	v_lshlrev_b64_e32 v[18:19], 2, v[43:44]
	v_add_nc_u32_e32 v33, 0x1b00, v30
	v_mul_u32_u24_e32 v34, 0x90, v2
	v_lshl_add_u32 v37, v2, 1, v35
	v_add_nc_u32_e32 v38, 0x800, v36
	v_add_nc_u32_e32 v39, 0x1000, v36
	;; [unrolled: 1-line block ×3, first 2 shown]
	v_xor_b32_e32 v29, 16, v24
	v_xor_b32_e32 v28, 8, v24
	;; [unrolled: 1-line block ×5, first 2 shown]
	v_lshlrev_b32_e32 v42, 2, v42
	v_add_nc_u32_e32 v43, 0x800, v0
	v_add_nc_u32_e32 v44, 0x1000, v0
	;; [unrolled: 1-line block ×3, first 2 shown]
	s_ashr_i32 s25, s24, 31
	s_ashr_i32 s21, s20, 31
	s_wait_alu 0xfffe
	s_add_nc_u64 s[8:9], s[8:9], s[24:25]
	s_ashr_i32 s15, s14, 31
	s_add_nc_u64 s[24:25], s[0:1], 0xd0
.LBB30_9:                               ; =>This Inner Loop Header: Depth=1
	v_cmp_gt_i32_e32 vcc_lo, 32, v29
	s_ashr_i32 s11, s10, 31
	s_or_b32 s2, s10, 32
	s_wait_alu 0xfffe
	s_mul_u64 s[26:27], s[10:11], s[20:21]
	s_mul_u64 s[36:37], s[10:11], s[14:15]
	s_wait_alu 0xfffd
	v_cndmask_b32_e32 v53, v24, v29, vcc_lo
	v_cmp_gt_i32_e32 vcc_lo, 32, v28
	s_wait_alu 0xfffe
	s_lshl_b64 s[26:27], s[26:27], 2
	s_lshl_b64 s[36:37], s[36:37], 2
	s_wait_alu 0xfffe
	s_add_nc_u64 s[26:27], s[6:7], s[26:27]
	s_add_nc_u64 s[36:37], s[8:9], s[36:37]
	s_wait_alu 0xfffd
	v_cndmask_b32_e32 v54, v24, v28, vcc_lo
	v_cmp_gt_i32_e32 vcc_lo, 32, v27
	s_ashr_i32 s3, s2, 31
	v_dual_mov_b32 v50, 0 :: v_dual_add_nc_u32 v51, s10, v3
	s_wait_alu 0xfffd
	v_dual_cndmask_b32 v55, v24, v27 :: v_dual_lshlrev_b32 v86, 2, v54
	v_cmp_gt_i32_e32 vcc_lo, 32, v26
	v_lshlrev_b32_e32 v85, 2, v53
	s_wait_alu 0xfffe
	s_mul_u64 s[2:3], s[2:3], s[14:15]
	v_ashrrev_i32_e32 v52, 31, v51
	s_wait_alu 0xfffe
	s_lshl_b64 s[2:3], s[2:3], 2
	s_wait_alu 0xfffd
	v_cndmask_b32_e32 v56, v24, v26, vcc_lo
	v_cmp_gt_i32_e32 vcc_lo, 32, v25
	s_wait_alu 0xfffe
	s_add_nc_u64 s[2:3], s[8:9], s[2:3]
	v_lshlrev_b64_e32 v[51:52], 1, v[51:52]
	v_dual_mov_b32 v49, v20 :: v_dual_mov_b32 v20, 0
	s_wait_alu 0xfffd
	v_cndmask_b32_e32 v57, v24, v25, vcc_lo
	v_add_co_u32 v53, vcc_lo, s26, v4
	v_lshlrev_b32_e32 v88, 2, v56
	v_lshlrev_b32_e32 v87, 2, v55
	s_wait_alu 0xfffd
	v_add_co_ci_u32_e64 v54, null, s27, v5, vcc_lo
	v_add_co_u32 v55, vcc_lo, s26, v6
	v_lshlrev_b32_e32 v89, 2, v57
	s_wait_alu 0xfffd
	v_add_co_ci_u32_e64 v56, null, s27, v7, vcc_lo
	v_add_co_u32 v57, vcc_lo, s26, v8
	s_wait_alu 0xfffd
	v_add_co_ci_u32_e64 v58, null, s27, v9, vcc_lo
	v_add_co_u32 v59, vcc_lo, s26, v10
	;; [unrolled: 3-line block ×6, first 2 shown]
	s_wait_alu 0xfffd
	v_add_co_ci_u32_e64 v84, null, s37, v19, vcc_lo
	s_wait_alu 0xfffe
	v_add_co_u32 v90, vcc_lo, s2, v12
	s_wait_alu 0xfffd
	v_add_co_ci_u32_e64 v91, null, s3, v13, vcc_lo
	v_add_co_u32 v92, vcc_lo, s2, v14
	s_wait_alu 0xfffd
	v_add_co_ci_u32_e64 v93, null, s3, v15, vcc_lo
	;; [unrolled: 3-line block ×12, first 2 shown]
	s_clause 0x3
	global_load_b128 v[51:54], v[67:68], off
	global_load_b128 v[55:58], v[69:70], off
	;; [unrolled: 1-line block ×4, first 2 shown]
	v_add_co_u32 v83, vcc_lo, v83, v42
	s_wait_alu 0xfffd
	v_add_co_ci_u32_e64 v84, null, 0, v84, vcc_lo
	v_add_co_u32 v106, vcc_lo, v90, v42
	s_wait_alu 0xfffd
	v_add_co_ci_u32_e64 v107, null, 0, v91, vcc_lo
	v_add_co_u32 v108, vcc_lo, v92, v42
	s_wait_alu 0xfffd
	v_add_co_ci_u32_e64 v109, null, 0, v93, vcc_lo
	v_add_co_u32 v110, vcc_lo, v94, v42
	s_wait_alu 0xfffd
	v_add_co_ci_u32_e64 v111, null, 0, v95, vcc_lo
	v_add_co_u32 v112, vcc_lo, v96, v42
	s_wait_alu 0xfffd
	v_add_co_ci_u32_e64 v113, null, 0, v97, vcc_lo
	s_wait_loadcnt 0x3
	ds_store_b128 v30, v[51:54]
	s_wait_loadcnt 0x2
	ds_store_b128 v31, v[55:58]
	;; [unrolled: 2-line block ×4, first 2 shown]
	s_wait_dscnt 0x0
	s_barrier_signal -1
	s_barrier_wait -1
	global_inv scope:SCOPE_SE
	ds_load_b128 v[51:54], v34
	ds_load_b128 v[55:58], v23
	ds_load_b128 v[59:62], v34 offset:4608
	s_wait_dscnt 0x1
	;;#ASMSTART
	v_dot2_f32_f16 v20, v51, v55, v20
	;;#ASMEND
	;;#ASMSTART
	v_dot2_f32_f16 v20, v52, v56, v20
	;;#ASMEND
	;;#ASMSTART
	v_dot2_f32_f16 v20, v53, v57, v20
	;;#ASMEND
	;;#ASMSTART
	v_dot2_f32_f16 v20, v54, v58, v20
	;;#ASMEND
	s_wait_dscnt 0x0
	;;#ASMSTART
	v_dot2_f32_f16 v50, v59, v55, v50
	;;#ASMEND
	;;#ASMSTART
	v_dot2_f32_f16 v50, v60, v56, v50
	;;#ASMEND
	;;#ASMSTART
	v_dot2_f32_f16 v50, v61, v57, v50
	;;#ASMEND
	;;#ASMSTART
	v_dot2_f32_f16 v50, v62, v58, v50
	;;#ASMEND
	ds_load_b128 v[51:54], v34 offset:16
	ds_load_b128 v[55:58], v23 offset:16
	ds_load_b128 v[59:62], v34 offset:4624
	s_wait_dscnt 0x1
	;;#ASMSTART
	v_dot2_f32_f16 v20, v51, v55, v20
	;;#ASMEND
	;;#ASMSTART
	v_dot2_f32_f16 v20, v52, v56, v20
	;;#ASMEND
	;;#ASMSTART
	v_dot2_f32_f16 v20, v53, v57, v20
	;;#ASMEND
	;;#ASMSTART
	v_dot2_f32_f16 v20, v54, v58, v20
	;;#ASMEND
	s_wait_dscnt 0x0
	;;#ASMSTART
	v_dot2_f32_f16 v50, v59, v55, v50
	;;#ASMEND
	;;#ASMSTART
	v_dot2_f32_f16 v50, v60, v56, v50
	;;#ASMEND
	;;#ASMSTART
	v_dot2_f32_f16 v50, v61, v57, v50
	;;#ASMEND
	;;#ASMSTART
	v_dot2_f32_f16 v50, v62, v58, v50
	;;#ASMEND
	ds_load_b128 v[51:54], v34 offset:32
	ds_load_b128 v[55:58], v23 offset:32
	;; [unrolled: 29-line block ×7, first 2 shown]
	ds_load_b128 v[59:62], v34 offset:4720
	s_wait_dscnt 0x1
	;;#ASMSTART
	v_dot2_f32_f16 v20, v51, v55, v20
	;;#ASMEND
	;;#ASMSTART
	v_dot2_f32_f16 v20, v52, v56, v20
	;;#ASMEND
	;; [unrolled: 3-line block ×4, first 2 shown]
	s_wait_dscnt 0x0
	;;#ASMSTART
	v_dot2_f32_f16 v50, v59, v55, v50
	;;#ASMEND
	;;#ASMSTART
	v_dot2_f32_f16 v50, v60, v56, v50
	;;#ASMEND
	;; [unrolled: 3-line block ×4, first 2 shown]
	s_wait_loadcnt 0x0
	s_barrier_signal -1
	s_barrier_wait -1
	global_inv scope:SCOPE_SE
	s_clause 0x3
	global_load_b128 v[51:54], v[67:68], off offset:128
	global_load_b128 v[55:58], v[69:70], off offset:128
	;; [unrolled: 1-line block ×4, first 2 shown]
	s_wait_loadcnt 0x3
	ds_store_b128 v30, v[51:54]
	s_wait_loadcnt 0x2
	ds_store_b128 v31, v[55:58]
	;; [unrolled: 2-line block ×4, first 2 shown]
	s_wait_dscnt 0x0
	s_barrier_signal -1
	s_barrier_wait -1
	global_inv scope:SCOPE_SE
	ds_load_b128 v[51:54], v34
	ds_load_b128 v[55:58], v23 offset:128
	ds_load_b128 v[59:62], v34 offset:4608
	s_wait_dscnt 0x1
	;;#ASMSTART
	v_dot2_f32_f16 v20, v51, v55, v20
	;;#ASMEND
	;;#ASMSTART
	v_dot2_f32_f16 v20, v52, v56, v20
	;;#ASMEND
	;;#ASMSTART
	v_dot2_f32_f16 v20, v53, v57, v20
	;;#ASMEND
	;;#ASMSTART
	v_dot2_f32_f16 v20, v54, v58, v20
	;;#ASMEND
	s_wait_dscnt 0x0
	;;#ASMSTART
	v_dot2_f32_f16 v50, v59, v55, v50
	;;#ASMEND
	;;#ASMSTART
	v_dot2_f32_f16 v50, v60, v56, v50
	;;#ASMEND
	;;#ASMSTART
	v_dot2_f32_f16 v50, v61, v57, v50
	;;#ASMEND
	;;#ASMSTART
	v_dot2_f32_f16 v50, v62, v58, v50
	;;#ASMEND
	ds_load_b128 v[51:54], v34 offset:16
	ds_load_b128 v[55:58], v23 offset:144
	ds_load_b128 v[59:62], v34 offset:4624
	s_wait_dscnt 0x1
	;;#ASMSTART
	v_dot2_f32_f16 v20, v51, v55, v20
	;;#ASMEND
	;;#ASMSTART
	v_dot2_f32_f16 v20, v52, v56, v20
	;;#ASMEND
	;;#ASMSTART
	v_dot2_f32_f16 v20, v53, v57, v20
	;;#ASMEND
	;;#ASMSTART
	v_dot2_f32_f16 v20, v54, v58, v20
	;;#ASMEND
	s_wait_dscnt 0x0
	;;#ASMSTART
	v_dot2_f32_f16 v50, v59, v55, v50
	;;#ASMEND
	;;#ASMSTART
	v_dot2_f32_f16 v50, v60, v56, v50
	;;#ASMEND
	;;#ASMSTART
	v_dot2_f32_f16 v50, v61, v57, v50
	;;#ASMEND
	;;#ASMSTART
	v_dot2_f32_f16 v50, v62, v58, v50
	;;#ASMEND
	ds_load_b128 v[51:54], v34 offset:32
	;; [unrolled: 29-line block ×7, first 2 shown]
	ds_load_b128 v[55:58], v23 offset:240
	ds_load_b128 v[59:62], v34 offset:4720
	s_wait_dscnt 0x1
	;;#ASMSTART
	v_dot2_f32_f16 v20, v51, v55, v20
	;;#ASMEND
	;;#ASMSTART
	v_dot2_f32_f16 v20, v52, v56, v20
	;;#ASMEND
	;; [unrolled: 3-line block ×4, first 2 shown]
	s_wait_dscnt 0x0
	;;#ASMSTART
	v_dot2_f32_f16 v50, v59, v55, v50
	;;#ASMEND
	;;#ASMSTART
	v_dot2_f32_f16 v50, v60, v56, v50
	;;#ASMEND
	;; [unrolled: 3-line block ×4, first 2 shown]
	s_clause 0x1
	global_load_u16 v67, v[75:76], off
	global_load_u16 v68, v[75:76], off offset:64
	s_wait_loadcnt 0x0
	s_barrier_signal -1
	s_barrier_wait -1
	global_inv scope:SCOPE_SE
	s_clause 0x3
	global_load_b128 v[51:54], v[77:78], off
	global_load_b128 v[55:58], v[79:80], off
	;; [unrolled: 1-line block ×4, first 2 shown]
	v_cvt_f32_f16_e32 v67, v67
	v_cvt_f32_f16_e32 v68, v68
	s_delay_alu instid0(VALU_DEP_1) | instskip(NEXT) | instid1(VALU_DEP_1)
	v_dual_add_f32 v50, v50, v68 :: v_dual_add_f32 v67, v20, v67
	v_add_f32_e32 v68, 0x40051340, v50
	s_delay_alu instid0(VALU_DEP_2) | instskip(NEXT) | instid1(VALU_DEP_1)
	v_add_f32_e32 v20, 0x40051340, v67
	v_max3_num_f32 v20, v49, v20, v68
	ds_bpermute_b32 v68, v85, v20
	s_wait_dscnt 0x0
	v_max_num_f32_e32 v68, v68, v68
	s_delay_alu instid0(VALU_DEP_1) | instskip(SKIP_3) | instid1(VALU_DEP_1)
	v_max_num_f32_e32 v20, v20, v68
	ds_bpermute_b32 v68, v86, v20
	s_wait_dscnt 0x0
	v_max_num_f32_e32 v68, v68, v68
	v_max_num_f32_e32 v20, v20, v68
	ds_bpermute_b32 v68, v87, v20
	s_wait_dscnt 0x0
	v_max_num_f32_e32 v68, v68, v68
	s_delay_alu instid0(VALU_DEP_1) | instskip(SKIP_3) | instid1(VALU_DEP_1)
	v_max_num_f32_e32 v20, v20, v68
	ds_bpermute_b32 v68, v88, v20
	s_wait_dscnt 0x0
	v_max_num_f32_e32 v68, v68, v68
	v_max_num_f32_e32 v20, v20, v68
	ds_bpermute_b32 v68, v89, v20
	s_wait_dscnt 0x0
	v_max_num_f32_e32 v68, v68, v68
	s_delay_alu instid0(VALU_DEP_1) | instskip(NEXT) | instid1(VALU_DEP_1)
	v_max_num_f32_e32 v20, v20, v68
	v_sub_f32_e32 v49, v49, v20
	v_sub_f32_e32 v67, v67, v20
	;; [unrolled: 1-line block ×3, first 2 shown]
	s_delay_alu instid0(VALU_DEP_3) | instskip(NEXT) | instid1(VALU_DEP_2)
	v_mul_f32_e32 v70, 0x3fb8aa3b, v49
	v_dual_mul_f32 v68, 0x3fb8aa3b, v67 :: v_dual_mul_f32 v69, 0x3fb8aa3b, v50
	v_cmp_ngt_f32_e64 s3, 0xc2ce8ed0, v67
	v_cmp_ngt_f32_e32 vcc_lo, 0xc2ce8ed0, v50
	s_delay_alu instid0(VALU_DEP_4) | instskip(NEXT) | instid1(VALU_DEP_4)
	v_fma_f32 v75, 0x3fb8aa3b, v49, -v70
	v_fma_f32 v71, 0x3fb8aa3b, v67, -v68
	v_rndne_f32_e32 v72, v68
	v_fma_f32 v73, 0x3fb8aa3b, v50, -v69
	v_rndne_f32_e32 v74, v69
	v_rndne_f32_e32 v76, v70
	s_delay_alu instid0(VALU_DEP_4) | instskip(NEXT) | instid1(VALU_DEP_4)
	v_dual_fmac_f32 v71, 0x32a5705f, v67 :: v_dual_sub_f32 v68, v68, v72
	v_fmac_f32_e32 v73, 0x32a5705f, v50
	s_delay_alu instid0(VALU_DEP_4) | instskip(NEXT) | instid1(VALU_DEP_4)
	v_sub_f32_e32 v69, v69, v74
	v_dual_fmac_f32 v75, 0x32a5705f, v49 :: v_dual_sub_f32 v70, v70, v76
	s_delay_alu instid0(VALU_DEP_4) | instskip(SKIP_1) | instid1(VALU_DEP_4)
	v_add_f32_e32 v68, v68, v71
	v_cvt_i32_f32_e32 v72, v72
	v_add_f32_e32 v69, v69, v73
	v_cvt_i32_f32_e32 v74, v74
	v_add_f32_e32 v70, v70, v75
	v_exp_f32_e32 v68, v68
	v_cvt_i32_f32_e32 v76, v76
	v_exp_f32_e32 v69, v69
	v_cmp_ngt_f32_e64 s2, 0xc2ce8ed0, v49
	v_exp_f32_e32 v70, v70
	s_delay_alu instid0(TRANS32_DEP_3) | instskip(NEXT) | instid1(TRANS32_DEP_2)
	v_ldexp_f32 v68, v68, v72
	v_ldexp_f32 v69, v69, v74
	s_delay_alu instid0(TRANS32_DEP_1) | instskip(SKIP_1) | instid1(VALU_DEP_3)
	v_ldexp_f32 v70, v70, v76
	s_wait_alu 0xf1ff
	v_cndmask_b32_e64 v68, 0, v68, s3
	v_cmp_nlt_f32_e64 s3, 0x42b17218, v67
	s_wait_alu 0xfffd
	v_cndmask_b32_e32 v69, 0, v69, vcc_lo
	v_cmp_nlt_f32_e32 vcc_lo, 0x42b17218, v50
	v_cndmask_b32_e64 v50, 0, v70, s2
	v_cmp_nlt_f32_e64 s2, 0x42b17218, v49
	s_wait_alu 0xf1ff
	v_cndmask_b32_e64 v114, 0x7f800000, v68, s3
	s_wait_alu 0xfffd
	v_cndmask_b32_e32 v115, 0x7f800000, v69, vcc_lo
	v_cndmask_b32_e64 v49, 0x7f800000, v50, s2
	s_delay_alu instid0(VALU_DEP_3) | instskip(NEXT) | instid1(VALU_DEP_3)
	v_cvt_f16_f32_e32 v50, v114
	v_cvt_f16_f32_e32 v67, v115
	ds_store_b16 v37, v50
	ds_store_b16 v37, v67 offset:64
	s_wait_loadcnt 0x3
	ds_store_b128 v36, v[51:54]
	s_wait_loadcnt 0x2
	ds_store_b128 v38, v[55:58]
	;; [unrolled: 2-line block ×4, first 2 shown]
	s_wait_dscnt 0x0
	s_barrier_signal -1
	s_barrier_wait -1
	global_inv scope:SCOPE_SE
	ds_load_b128 v[50:53], v35
	v_cvt_f16_f32_e32 v68, v49
	s_delay_alu instid0(VALU_DEP_1)
	v_and_b32_e32 v102, 0xffff, v68
	ds_load_2addr_b64 v[54:57], v0 offset1:32
	ds_load_b128 v[58:61], v35 offset:16
	ds_load_b128 v[62:65], v35 offset:32
	;; [unrolled: 1-line block ×3, first 2 shown]
	ds_load_2addr_b64 v[70:73], v0 offset0:64 offset1:96
	ds_load_2addr_b64 v[74:77], v0 offset0:128 offset1:160
	;; [unrolled: 1-line block ×3, first 2 shown]
	ds_load_2addr_b64 v[82:85], v43 offset1:32
	ds_load_2addr_b64 v[86:89], v43 offset0:64 offset1:96
	ds_load_2addr_b64 v[90:93], v43 offset0:128 offset1:160
	;; [unrolled: 1-line block ×3, first 2 shown]
	ds_load_2addr_b64 v[98:101], v44 offset1:32
	v_mul_u32_u24_e32 v116, 0x10001, v102
	s_wait_dscnt 0x9
	v_and_b32_e32 v118, 0xffff, v62
	v_and_b32_e32 v119, 0xffff, v63
	v_and_b32_e32 v102, 0xffff, v50
	v_lshrrev_b32_e32 v50, 16, v50
	v_and_b32_e32 v120, 0xffff, v64
	v_and_b32_e32 v121, 0xffff, v65
	s_delay_alu instid0(VALU_DEP_4) | instskip(NEXT) | instid1(VALU_DEP_4)
	v_mul_u32_u24_e32 v117, 0x10001, v102
	v_mul_u32_u24_e32 v50, 0x10001, v50
	ds_load_2addr_b64 v[102:105], v44 offset0:64 offset1:96
	v_pk_mul_f16 v54, v54, v117
	s_delay_alu instid0(VALU_DEP_1) | instskip(SKIP_2) | instid1(VALU_DEP_3)
	v_pk_fma_f16 v46, v46, v116, v54
	v_pk_mul_f16 v54, v55, v117
	v_lshrrev_b32_e32 v117, 16, v53
	v_pk_fma_f16 v46, v56, v50, v46
	s_delay_alu instid0(VALU_DEP_3) | instskip(SKIP_1) | instid1(VALU_DEP_4)
	v_pk_fma_f16 v47, v47, v116, v54
	v_and_b32_e32 v116, 0xffff, v53
	v_mul_u32_u24_e32 v117, 0x10001, v117
	s_delay_alu instid0(VALU_DEP_3)
	v_pk_fma_f16 v47, v57, v50, v47
	v_and_b32_e32 v50, 0xffff, v51
	v_lshrrev_b32_e32 v51, 16, v51
	v_mul_u32_u24_e32 v116, 0x10001, v116
	ds_load_2addr_b64 v[54:57], v44 offset0:128 offset1:160
	v_mul_u32_u24_e32 v50, 0x10001, v50
	v_mul_u32_u24_e32 v51, 0x10001, v51
	s_wait_dscnt 0x9
	s_delay_alu instid0(VALU_DEP_2) | instskip(SKIP_2) | instid1(VALU_DEP_3)
	v_pk_fma_f16 v46, v70, v50, v46
	v_pk_fma_f16 v47, v71, v50, v47
	v_and_b32_e32 v50, 0xffff, v52
	v_pk_fma_f16 v46, v72, v51, v46
	s_delay_alu instid0(VALU_DEP_3) | instskip(SKIP_1) | instid1(VALU_DEP_4)
	v_pk_fma_f16 v47, v73, v51, v47
	v_lshrrev_b32_e32 v51, 16, v52
	v_mul_u32_u24_e32 v50, 0x10001, v50
	ds_load_2addr_b64 v[70:73], v44 offset0:192 offset1:224
	v_mul_u32_u24_e32 v51, 0x10001, v51
	s_wait_dscnt 0x9
	v_pk_fma_f16 v46, v74, v50, v46
	v_pk_fma_f16 v47, v75, v50, v47
	s_delay_alu instid0(VALU_DEP_2) | instskip(NEXT) | instid1(VALU_DEP_2)
	v_pk_fma_f16 v46, v76, v51, v46
	v_pk_fma_f16 v47, v77, v51, v47
	ds_load_2addr_b64 v[74:77], v45 offset1:32
	ds_load_2addr_b64 v[50:53], v45 offset0:64 offset1:96
	s_wait_dscnt 0xa
	v_pk_fma_f16 v46, v78, v116, v46
	v_pk_fma_f16 v47, v79, v116, v47
	v_and_b32_e32 v116, 0xffff, v58
	v_lshrrev_b32_e32 v58, 16, v58
	s_delay_alu instid0(VALU_DEP_4) | instskip(NEXT) | instid1(VALU_DEP_4)
	v_pk_fma_f16 v46, v80, v117, v46
	v_pk_fma_f16 v47, v81, v117, v47
	s_delay_alu instid0(VALU_DEP_4) | instskip(NEXT) | instid1(VALU_DEP_4)
	v_mul_u32_u24_e32 v116, 0x10001, v116
	v_mul_u32_u24_e32 v58, 0x10001, v58
	ds_load_2addr_b64 v[78:81], v45 offset0:128 offset1:160
	v_and_b32_e32 v117, 0xffff, v61
	s_wait_dscnt 0xa
	v_pk_fma_f16 v46, v82, v116, v46
	v_pk_fma_f16 v47, v83, v116, v47
	v_and_b32_e32 v116, 0xffff, v60
	s_delay_alu instid0(VALU_DEP_3) | instskip(NEXT) | instid1(VALU_DEP_3)
	v_pk_fma_f16 v46, v84, v58, v46
	v_pk_fma_f16 v47, v85, v58, v47
	v_and_b32_e32 v58, 0xffff, v59
	v_lshrrev_b32_e32 v59, 16, v59
	ds_load_2addr_b64 v[82:85], v45 offset0:192 offset1:224
	s_wait_loadcnt_dscnt 0x0
	s_barrier_signal -1
	v_mul_u32_u24_e32 v58, 0x10001, v58
	v_mul_u32_u24_e32 v59, 0x10001, v59
	s_barrier_wait -1
	global_inv scope:SCOPE_SE
	v_mul_u32_u24_e32 v116, 0x10001, v116
	v_pk_fma_f16 v46, v86, v58, v46
	v_pk_fma_f16 v47, v87, v58, v47
	s_delay_alu instid0(VALU_DEP_2) | instskip(NEXT) | instid1(VALU_DEP_2)
	v_pk_fma_f16 v46, v88, v59, v46
	v_pk_fma_f16 v47, v89, v59, v47
	global_load_b128 v[86:89], v[106:107], off
	v_lshrrev_b32_e32 v106, 16, v60
	v_lshrrev_b32_e32 v107, 16, v61
	v_pk_fma_f16 v46, v90, v116, v46
	v_pk_fma_f16 v47, v91, v116, v47
	global_load_b128 v[58:61], v[108:109], off
	v_mul_u32_u24_e32 v90, 0x10001, v106
	v_lshrrev_b32_e32 v108, 16, v62
	v_lshrrev_b32_e32 v109, 16, v63
	;; [unrolled: 1-line block ×4, first 2 shown]
	v_pk_fma_f16 v46, v92, v90, v46
	v_pk_fma_f16 v47, v93, v90, v47
	s_clause 0x1
	global_load_b128 v[62:65], v[110:111], off
	global_load_b128 v[90:93], v[112:113], off
	v_mul_u32_u24_e32 v112, 0x10001, v117
	v_mul_u32_u24_e32 v109, 0x10001, v109
	;; [unrolled: 1-line block ×3, first 2 shown]
	v_mov_b32_e32 v110, v48
	v_add_f32_e32 v48, v114, v115
	v_pk_fma_f16 v46, v94, v112, v46
	v_pk_fma_f16 v47, v95, v112, v47
	v_mul_u32_u24_e32 v95, 0x10001, v107
	v_mul_u32_u24_e32 v107, 0x10001, v108
	;; [unrolled: 1-line block ×5, first 2 shown]
	v_pk_fma_f16 v46, v96, v95, v46
	v_pk_fma_f16 v47, v97, v95, v47
	v_mul_u32_u24_e32 v97, 0x10001, v118
	v_lshrrev_b32_e32 v111, 16, v66
	v_and_b32_e32 v66, 0xffff, v66
	v_mul_u32_u24_e32 v106, 0x10001, v106
	v_lshrrev_b32_e32 v94, 16, v67
	v_pk_fma_f16 v46, v98, v97, v46
	v_pk_fma_f16 v47, v99, v97, v47
	v_mul_u32_u24_e32 v66, 0x10001, v66
	v_and_b32_e32 v67, 0xffff, v67
	v_mul_u32_u24_e32 v111, 0x10001, v111
	v_pk_fma_f16 v46, v100, v107, v46
	v_pk_fma_f16 v47, v101, v107, v47
	v_lshrrev_b32_e32 v95, 16, v68
	v_mul_u32_u24_e32 v67, 0x10001, v67
	v_and_b32_e32 v68, 0xffff, v68
	v_pk_fma_f16 v46, v102, v108, v46
	v_pk_fma_f16 v47, v103, v108, v47
	v_mul_u32_u24_e32 v94, 0x10001, v94
	v_lshrrev_b32_e32 v96, 16, v69
	v_mul_u32_u24_e32 v68, 0x10001, v68
	v_pk_fma_f16 v46, v104, v109, v46
	v_pk_fma_f16 v47, v105, v109, v47
	v_and_b32_e32 v69, 0xffff, v69
	v_mul_u32_u24_e32 v95, 0x10001, v95
	v_mul_u32_u24_e32 v96, 0x10001, v96
	v_pk_fma_f16 v46, v54, v112, v46
	v_pk_fma_f16 v47, v55, v112, v47
	v_mul_u32_u24_e32 v69, 0x10001, v69
	s_wait_loadcnt 0x3
	ds_store_b128 v36, v[86:89]
	s_wait_loadcnt 0x2
	ds_store_b128 v38, v[58:61]
	;; [unrolled: 2-line block ×4, first 2 shown]
	v_pk_fma_f16 v46, v56, v113, v46
	v_pk_fma_f16 v47, v57, v113, v47
	s_wait_dscnt 0x0
	s_barrier_signal -1
	s_barrier_wait -1
	v_pk_fma_f16 v46, v70, v114, v46
	v_pk_fma_f16 v47, v71, v114, v47
	global_inv scope:SCOPE_SE
	v_pk_fma_f16 v46, v72, v106, v46
	v_pk_fma_f16 v47, v73, v106, v47
	s_delay_alu instid0(VALU_DEP_2) | instskip(NEXT) | instid1(VALU_DEP_2)
	v_pk_fma_f16 v46, v74, v66, v46
	v_pk_fma_f16 v47, v75, v66, v47
	s_delay_alu instid0(VALU_DEP_2) | instskip(NEXT) | instid1(VALU_DEP_2)
	;; [unrolled: 3-line block ×8, first 2 shown]
	v_pk_fma_f16 v46, v84, v96, v46
	v_pk_fma_f16 v47, v85, v96, v47
	ds_load_b128 v[50:53], v35 offset:64
	ds_load_2addr_b64 v[54:57], v0 offset1:32
	ds_load_b128 v[58:61], v35 offset:80
	ds_load_b128 v[62:65], v35 offset:96
	;; [unrolled: 1-line block ×3, first 2 shown]
	ds_load_2addr_b64 v[70:73], v0 offset0:64 offset1:96
	ds_load_2addr_b64 v[74:77], v0 offset0:128 offset1:160
	;; [unrolled: 1-line block ×3, first 2 shown]
	ds_load_2addr_b64 v[82:85], v43 offset1:32
	ds_load_2addr_b64 v[86:89], v43 offset0:64 offset1:96
	ds_load_2addr_b64 v[90:93], v43 offset0:128 offset1:160
	;; [unrolled: 1-line block ×3, first 2 shown]
	ds_load_2addr_b64 v[98:101], v44 offset1:32
	ds_load_2addr_b64 v[102:105], v44 offset0:64 offset1:96
	s_wait_dscnt 0xd
	v_lshrrev_b32_e32 v106, 16, v50
	v_and_b32_e32 v50, 0xffff, v50
	v_and_b32_e32 v111, 0xffff, v51
	v_lshrrev_b32_e32 v107, 16, v51
	s_wait_dscnt 0xb
	v_lshrrev_b32_e32 v114, 16, v58
	v_and_b32_e32 v118, 0xffff, v58
	v_mul_u32_u24_e32 v50, 0x10001, v50
	v_mul_u32_u24_e32 v58, 0x10001, v111
	v_and_b32_e32 v112, 0xffff, v52
	v_lshrrev_b32_e32 v108, 16, v52
	v_and_b32_e32 v113, 0xffff, v53
	v_pk_fma_f16 v46, v54, v50, v46
	v_pk_fma_f16 v47, v55, v50, v47
	v_mul_u32_u24_e32 v54, 0x10001, v106
	s_wait_dscnt 0xa
	v_lshrrev_b32_e32 v106, 16, v62
	v_and_b32_e32 v123, 0xffff, v62
	v_mul_u32_u24_e32 v62, 0x10001, v108
	v_lshrrev_b32_e32 v109, 16, v53
	v_pk_fma_f16 v46, v56, v54, v46
	v_pk_fma_f16 v47, v57, v54, v47
	v_dual_fmac_f32 v48, v110, v49 :: v_dual_and_b32 v119, 0xffff, v59
	v_lshrrev_b32_e32 v115, 16, v59
	s_wait_dscnt 0x8
	v_pk_fma_f16 v46, v70, v58, v46
	v_pk_fma_f16 v47, v71, v58, v47
	v_mul_u32_u24_e32 v58, 0x10001, v107
	v_mul_u32_u24_e32 v70, 0x10001, v113
	v_and_b32_e32 v120, 0xffff, v60
	v_lshrrev_b32_e32 v116, 16, v60
	v_and_b32_e32 v121, 0xffff, v61
	v_pk_fma_f16 v46, v72, v58, v46
	v_pk_fma_f16 v47, v73, v58, v47
	v_mul_u32_u24_e32 v58, 0x10001, v112
	v_lshrrev_b32_e32 v117, 16, v61
	v_mul_u32_u24_e32 v108, 0x10001, v121
	v_mul_u32_u24_e32 v112, 0x10001, v123
	ds_load_2addr_b64 v[50:53], v44 offset0:128 offset1:160
	s_wait_dscnt 0x8
	v_pk_fma_f16 v46, v74, v58, v46
	v_pk_fma_f16 v47, v75, v58, v47
	v_lshrrev_b32_e32 v74, 16, v66
	v_and_b32_e32 v124, 0xffff, v63
	v_mul_u32_u24_e32 v106, 0x10001, v106
	v_pk_fma_f16 v46, v76, v62, v46
	v_pk_fma_f16 v47, v77, v62, v47
	v_lshrrev_b32_e32 v111, 16, v63
	v_mul_u32_u24_e32 v113, 0x10001, v124
	ds_load_2addr_b64 v[54:57], v44 offset0:192 offset1:224
	s_wait_dscnt 0x8
	v_pk_fma_f16 v46, v78, v70, v46
	v_pk_fma_f16 v47, v79, v70, v47
	v_mul_u32_u24_e32 v70, 0x10001, v109
	v_and_b32_e32 v78, 0xffff, v66
	v_mul_u32_u24_e32 v66, 0x10001, v118
	v_mul_u32_u24_e32 v109, 0x10001, v117
	v_and_b32_e32 v125, 0xffff, v64
	v_pk_fma_f16 v46, v80, v70, v46
	v_pk_fma_f16 v47, v81, v70, v47
	v_mul_u32_u24_e32 v70, 0x10001, v114
	v_mul_u32_u24_e32 v111, 0x10001, v111
	v_lshrrev_b32_e32 v107, 16, v64
	s_wait_dscnt 0x7
	v_pk_fma_f16 v46, v82, v66, v46
	v_pk_fma_f16 v47, v83, v66, v47
	v_mul_u32_u24_e32 v82, 0x10001, v119
	v_mul_u32_u24_e32 v83, 0x10001, v115
	;; [unrolled: 1-line block ×3, first 2 shown]
	v_pk_fma_f16 v46, v84, v70, v46
	v_pk_fma_f16 v47, v85, v70, v47
	v_mul_u32_u24_e32 v84, 0x10001, v120
	v_mul_u32_u24_e32 v85, 0x10001, v116
	v_and_b32_e32 v126, 0xffff, v65
	s_wait_dscnt 0x6
	v_pk_fma_f16 v46, v86, v82, v46
	v_pk_fma_f16 v47, v87, v82, v47
	ds_load_2addr_b64 v[58:61], v45 offset1:32
	v_mul_u32_u24_e32 v107, 0x10001, v107
	v_lshrrev_b32_e32 v122, 16, v65
	v_pk_fma_f16 v46, v88, v83, v46
	v_pk_fma_f16 v47, v89, v83, v47
	v_mul_u32_u24_e32 v115, 0x10001, v126
	ds_load_2addr_b64 v[62:65], v45 offset0:64 offset1:96
	v_mul_u32_u24_e32 v116, 0x10001, v122
	s_wait_dscnt 0x7
	v_pk_fma_f16 v46, v90, v84, v46
	v_pk_fma_f16 v47, v91, v84, v47
	v_mul_u32_u24_e32 v78, 0x10001, v78
	v_lshrrev_b32_e32 v75, 16, v67
	v_lshrrev_b32_e32 v76, 16, v68
	v_pk_fma_f16 v46, v92, v85, v46
	v_pk_fma_f16 v47, v93, v85, v47
	v_lshrrev_b32_e32 v77, 16, v69
	v_and_b32_e32 v79, 0xffff, v67
	v_and_b32_e32 v80, 0xffff, v68
	s_wait_dscnt 0x6
	v_pk_fma_f16 v46, v94, v108, v46
	v_pk_fma_f16 v47, v95, v108, v47
	v_and_b32_e32 v81, 0xffff, v69
	ds_load_2addr_b64 v[66:69], v45 offset0:128 offset1:160
	v_mul_u32_u24_e32 v74, 0x10001, v74
	v_pk_fma_f16 v46, v96, v109, v46
	v_pk_fma_f16 v47, v97, v109, v47
	v_mul_u32_u24_e32 v79, 0x10001, v79
	ds_load_2addr_b64 v[70:73], v45 offset0:192 offset1:224
	v_mul_u32_u24_e32 v75, 0x10001, v75
	s_wait_dscnt 0x7
	v_pk_fma_f16 v46, v98, v112, v46
	v_pk_fma_f16 v47, v99, v112, v47
	s_wait_loadcnt_dscnt 0x0
	s_barrier_signal -1
	s_barrier_wait -1
	v_pk_fma_f16 v46, v100, v106, v46
	v_pk_fma_f16 v47, v101, v106, v47
	global_inv scope:SCOPE_SE
	s_load_b32 s2, s[24:25], 0x4
	v_mul_u32_u24_e32 v80, 0x10001, v80
	v_pk_fma_f16 v46, v102, v113, v46
	v_pk_fma_f16 v47, v103, v113, v47
	v_mul_u32_u24_e32 v76, 0x10001, v76
	v_mul_u32_u24_e32 v81, 0x10001, v81
	;; [unrolled: 1-line block ×3, first 2 shown]
	v_pk_fma_f16 v46, v104, v111, v46
	v_pk_fma_f16 v47, v105, v111, v47
	s_delay_alu instid0(VALU_DEP_2) | instskip(NEXT) | instid1(VALU_DEP_2)
	v_pk_fma_f16 v46, v50, v114, v46
	v_pk_fma_f16 v47, v51, v114, v47
	s_delay_alu instid0(VALU_DEP_2) | instskip(NEXT) | instid1(VALU_DEP_2)
	v_pk_fma_f16 v46, v52, v107, v46
	v_pk_fma_f16 v47, v53, v107, v47
	s_wait_kmcnt 0x0
	s_lshl_b32 s2, s2, 6
	s_delay_alu instid0(VALU_DEP_2) | instskip(NEXT) | instid1(VALU_DEP_2)
	v_pk_fma_f16 v46, v54, v115, v46
	v_pk_fma_f16 v47, v55, v115, v47
	s_wait_alu 0xfffe
	s_add_co_i32 s10, s2, s10
	s_wait_alu 0xfffe
	s_cmp_ge_i32 s10, s30
	v_pk_fma_f16 v46, v56, v116, v46
	v_pk_fma_f16 v47, v57, v116, v47
	s_delay_alu instid0(VALU_DEP_2) | instskip(NEXT) | instid1(VALU_DEP_2)
	v_pk_fma_f16 v46, v58, v78, v46
	v_pk_fma_f16 v47, v59, v78, v47
	s_delay_alu instid0(VALU_DEP_2) | instskip(NEXT) | instid1(VALU_DEP_2)
	;; [unrolled: 3-line block ×8, first 2 shown]
	v_pk_fma_f16 v46, v72, v49, v46
	v_pk_fma_f16 v47, v73, v49, v47
	s_cbranch_scc0 .LBB30_9
; %bb.10:
	v_dual_mov_b32 v5, 32 :: v_dual_mov_b32 v6, v24
.LBB30_11:
	s_delay_alu instid0(VALU_DEP_1)
	v_cmp_lt_i32_e32 vcc_lo, v29, v5
	s_cmp_lg_u64 s[12:13], 0
	s_cselect_b32 s2, -1, 0
	s_cmp_eq_u32 s4, 0
	s_wait_alu 0xfffd
	v_cndmask_b32_e32 v0, v6, v29, vcc_lo
	v_cmp_lt_i32_e32 vcc_lo, v28, v5
	s_cselect_b32 s3, -1, 0
	s_wait_alu 0xfffe
	s_and_b32 s2, s3, s2
	s_wait_alu 0xfffd
	v_cndmask_b32_e32 v3, v6, v28, vcc_lo
	v_cmp_lt_i32_e32 vcc_lo, v27, v5
	s_delay_alu instid0(VALU_DEP_2)
	v_lshlrev_b32_e32 v3, 2, v3
	v_lshlrev_b32_e32 v0, 2, v0
	s_wait_alu 0xfffd
	v_cndmask_b32_e32 v4, v6, v27, vcc_lo
	v_cmp_lt_i32_e32 vcc_lo, v26, v5
	ds_bpermute_b32 v0, v0, v48
	v_lshlrev_b32_e32 v4, 2, v4
	s_wait_dscnt 0x0
	v_add_f32_e32 v0, v48, v0
	ds_bpermute_b32 v3, v3, v0
	s_wait_dscnt 0x0
	v_add_f32_e32 v0, v0, v3
	ds_bpermute_b32 v3, v4, v0
	s_wait_alu 0xfffd
	v_cndmask_b32_e32 v4, v6, v26, vcc_lo
	v_cmp_lt_i32_e32 vcc_lo, v25, v5
	s_delay_alu instid0(VALU_DEP_2)
	v_lshlrev_b32_e32 v4, 2, v4
	s_wait_dscnt 0x0
	v_add_f32_e32 v0, v0, v3
	ds_bpermute_b32 v3, v4, v0
	s_wait_alu 0xfffd
	v_cndmask_b32_e32 v4, v6, v25, vcc_lo
	s_wait_alu 0xfffe
	s_and_b32 vcc_lo, exec_lo, s2
	s_delay_alu instid0(VALU_DEP_1)
	v_lshlrev_b32_e32 v4, 2, v4
	s_wait_dscnt 0x0
	v_dual_add_f32 v0, v0, v3 :: v_dual_add_nc_u32 v3, s33, v21
	ds_bpermute_b32 v4, v4, v0
	s_wait_dscnt 0x0
	v_add_f32_e32 v21, v0, v4
	s_wait_alu 0xfffe
	s_cbranch_vccz .LBB30_13
; %bb.12:
	v_ashrrev_i32_e32 v4, 31, v3
	s_delay_alu instid0(VALU_DEP_1) | instskip(NEXT) | instid1(VALU_DEP_1)
	v_lshlrev_b64_e32 v[4:5], 2, v[3:4]
	v_add_co_u32 v4, vcc_lo, s12, v4
	s_wait_alu 0xfffd
	s_delay_alu instid0(VALU_DEP_2) | instskip(SKIP_4) | instid1(VALU_DEP_1)
	v_add_co_ci_u32_e64 v5, null, s13, v5, vcc_lo
	global_load_b32 v0, v[4:5], off
	v_max_num_f32_e32 v4, v20, v20
	s_wait_loadcnt 0x0
	v_max_num_f32_e32 v5, v0, v0
	v_max_num_f32_e32 v4, v4, v5
	s_delay_alu instid0(VALU_DEP_1) | instskip(NEXT) | instid1(VALU_DEP_1)
	v_sub_f32_e32 v0, v0, v4
	v_mul_f32_e32 v9, 0x3fb8aa3b, v0
	v_sub_f32_e32 v5, v20, v4
	v_mov_b32_e32 v20, v4
	s_delay_alu instid0(VALU_DEP_3) | instskip(NEXT) | instid1(VALU_DEP_3)
	v_rndne_f32_e32 v11, v9
	v_mul_f32_e32 v6, 0x3fb8aa3b, v5
	v_fma_f32 v10, 0x3fb8aa3b, v0, -v9
	v_cmp_ngt_f32_e32 vcc_lo, 0xc2ce8ed0, v5
	s_delay_alu instid0(VALU_DEP_3) | instskip(SKIP_1) | instid1(VALU_DEP_2)
	v_fma_f32 v7, 0x3fb8aa3b, v5, -v6
	v_rndne_f32_e32 v8, v6
	v_dual_fmac_f32 v10, 0x32a5705f, v0 :: v_dual_fmac_f32 v7, 0x32a5705f, v5
	s_delay_alu instid0(VALU_DEP_2) | instskip(SKIP_1) | instid1(VALU_DEP_2)
	v_sub_f32_e32 v6, v6, v8
	v_cvt_i32_f32_e32 v8, v8
	v_add_f32_e32 v6, v6, v7
	v_sub_f32_e32 v7, v9, v11
	s_delay_alu instid0(VALU_DEP_2) | instskip(NEXT) | instid1(VALU_DEP_1)
	v_exp_f32_e32 v6, v6
	v_add_f32_e32 v7, v7, v10
	s_delay_alu instid0(VALU_DEP_1) | instskip(NEXT) | instid1(TRANS32_DEP_2)
	v_exp_f32_e32 v7, v7
	v_ldexp_f32 v6, v6, v8
	v_cvt_i32_f32_e32 v8, v11
	s_wait_alu 0xfffd
	s_delay_alu instid0(VALU_DEP_2)
	v_cndmask_b32_e32 v6, 0, v6, vcc_lo
	v_cmp_nlt_f32_e32 vcc_lo, 0x42b17218, v5
	s_delay_alu instid0(TRANS32_DEP_1) | instid1(VALU_DEP_3)
	v_ldexp_f32 v7, v7, v8
	s_wait_alu 0xfffd
	s_delay_alu instid0(VALU_DEP_3) | instskip(SKIP_3) | instid1(VALU_DEP_3)
	v_cndmask_b32_e32 v5, 0x7f800000, v6, vcc_lo
	v_cmp_ngt_f32_e32 vcc_lo, 0xc2ce8ed0, v0
	s_wait_alu 0xfffd
	v_cndmask_b32_e32 v6, 0, v7, vcc_lo
	v_cvt_f16_f32_e32 v7, v5
	v_cmp_nlt_f32_e32 vcc_lo, 0x42b17218, v0
	s_wait_alu 0xfffd
	s_delay_alu instid0(VALU_DEP_3) | instskip(NEXT) | instid1(VALU_DEP_3)
	v_cndmask_b32_e32 v0, 0x7f800000, v6, vcc_lo
	v_and_b32_e32 v6, 0xffff, v7
	s_delay_alu instid0(VALU_DEP_2) | instskip(NEXT) | instid1(VALU_DEP_2)
	v_fmac_f32_e32 v0, v21, v5
	v_mul_u32_u24_e32 v5, 0x10001, v6
	s_delay_alu instid0(VALU_DEP_2) | instskip(NEXT) | instid1(VALU_DEP_2)
	v_mov_b32_e32 v21, v0
	v_pk_mul_f16 v46, v46, v5
	v_pk_mul_f16 v47, v47, v5
.LBB30_13:
	s_delay_alu instid0(VALU_DEP_1) | instskip(SKIP_4) | instid1(TRANS32_DEP_1)
	v_div_scale_f32 v4, null, v21, v21, 1.0
	v_div_scale_f32 v6, vcc_lo, 1.0, v21, 1.0
	s_load_b32 s0, s[0:1], 0xd4
	v_rcp_f32_e32 v5, v4
	v_cvt_f32_f16_e32 v9, v47
	v_fma_f32 v0, -v4, v5, 1.0
	s_delay_alu instid0(VALU_DEP_1) | instskip(SKIP_3) | instid1(VALU_DEP_2)
	v_fmac_f32_e32 v5, v0, v5
	v_mad_co_u64_u32 v[0:1], null, s28, s22, v[1:2]
	s_wait_kmcnt 0x0
	s_cmp_lg_u32 s0, 1
	v_mul_f32_e32 v7, v6, v5
	s_cselect_b32 s1, -1, 0
	s_delay_alu instid0(VALU_DEP_2) | instskip(NEXT) | instid1(VALU_DEP_2)
	v_mad_co_u64_u32 v[0:1], null, v0, s23, v[3:4]
	v_fma_f32 v8, -v4, v7, v6
	s_delay_alu instid0(VALU_DEP_1) | instskip(NEXT) | instid1(VALU_DEP_3)
	v_fmac_f32_e32 v7, v8, v5
	v_mad_co_u64_u32 v[0:1], null, s0, v0, s[4:5]
	s_delay_alu instid0(VALU_DEP_2) | instskip(SKIP_2) | instid1(VALU_DEP_3)
	v_fma_f32 v3, -v4, v7, v6
	v_lshrrev_b32_e32 v6, 16, v47
	v_cvt_f32_f16_e32 v4, v46
	v_div_fmas_f32 v1, v3, v5, v7
	v_cmp_eq_u32_e32 vcc_lo, 0, v2
	v_lshrrev_b32_e32 v5, 16, v46
	v_lshl_add_u32 v2, v0, 7, v22
	v_cvt_f32_f16_e32 v10, v6
	v_div_fixup_f32 v1, v1, v21, 1.0
	s_delay_alu instid0(VALU_DEP_4) | instskip(SKIP_1) | instid1(VALU_DEP_2)
	v_cvt_f32_f16_e32 v8, v5
	s_wait_alu 0xfffe
	v_cndmask_b32_e64 v7, v1, 1.0, s1
	v_mov_b32_e32 v3, 0
	s_delay_alu instid0(VALU_DEP_2) | instskip(SKIP_1) | instid1(VALU_DEP_3)
	v_mul_f32_e32 v1, v7, v4
	v_mul_f32_e32 v4, v7, v10
	v_lshlrev_b64_e32 v[5:6], 2, v[2:3]
	v_mul_f32_e32 v2, v7, v8
	v_mul_f32_e32 v3, v7, v9
	s_delay_alu instid0(VALU_DEP_3) | instskip(SKIP_1) | instid1(VALU_DEP_4)
	v_add_co_u32 v5, s0, s16, v5
	s_wait_alu 0xf1ff
	v_add_co_ci_u32_e64 v6, null, s17, v6, s0
	s_and_b32 s0, vcc_lo, s1
	global_store_b128 v[5:6], v[1:4], off
	s_wait_alu 0xfffe
	s_and_saveexec_b32 s1, s0
	s_cbranch_execz .LBB30_15
; %bb.14:
	v_ashrrev_i32_e32 v1, 31, v0
	s_delay_alu instid0(VALU_DEP_1) | instskip(NEXT) | instid1(VALU_DEP_1)
	v_lshlrev_b64_e32 v[0:1], 3, v[0:1]
	v_add_co_u32 v0, vcc_lo, s18, v0
	s_wait_alu 0xfffd
	s_delay_alu instid0(VALU_DEP_2)
	v_add_co_ci_u32_e64 v1, null, s19, v1, vcc_lo
	global_store_b64 v[0:1], v[20:21], off
.LBB30_15:
	s_nop 0
	s_sendmsg sendmsg(MSG_DEALLOC_VGPRS)
	s_endpgm
	.section	.rodata,"a",@progbits
	.p2align	6, 0x0
	.amdhsa_kernel _ZL15flash_attn_tileILi128ELi128ELi1ELi4ELb0EEvPKcS1_S1_S1_S1_PKiPfP15HIP_vector_typeIfLj2EEffffjfiS5_IjLj3EEiiiiiiiiiiiliiliiiiil
		.amdhsa_group_segment_fixed_size 10752
		.amdhsa_private_segment_fixed_size 0
		.amdhsa_kernarg_size 464
		.amdhsa_user_sgpr_count 2
		.amdhsa_user_sgpr_dispatch_ptr 0
		.amdhsa_user_sgpr_queue_ptr 0
		.amdhsa_user_sgpr_kernarg_segment_ptr 1
		.amdhsa_user_sgpr_dispatch_id 0
		.amdhsa_user_sgpr_private_segment_size 0
		.amdhsa_wavefront_size32 1
		.amdhsa_uses_dynamic_stack 0
		.amdhsa_enable_private_segment 0
		.amdhsa_system_sgpr_workgroup_id_x 1
		.amdhsa_system_sgpr_workgroup_id_y 1
		.amdhsa_system_sgpr_workgroup_id_z 1
		.amdhsa_system_sgpr_workgroup_info 0
		.amdhsa_system_vgpr_workitem_id 1
		.amdhsa_next_free_vgpr 127
		.amdhsa_next_free_sgpr 42
		.amdhsa_reserve_vcc 1
		.amdhsa_float_round_mode_32 0
		.amdhsa_float_round_mode_16_64 0
		.amdhsa_float_denorm_mode_32 3
		.amdhsa_float_denorm_mode_16_64 3
		.amdhsa_fp16_overflow 0
		.amdhsa_workgroup_processor_mode 1
		.amdhsa_memory_ordered 1
		.amdhsa_forward_progress 1
		.amdhsa_inst_pref_size 59
		.amdhsa_round_robin_scheduling 0
		.amdhsa_exception_fp_ieee_invalid_op 0
		.amdhsa_exception_fp_denorm_src 0
		.amdhsa_exception_fp_ieee_div_zero 0
		.amdhsa_exception_fp_ieee_overflow 0
		.amdhsa_exception_fp_ieee_underflow 0
		.amdhsa_exception_fp_ieee_inexact 0
		.amdhsa_exception_int_div_zero 0
	.end_amdhsa_kernel
	.section	.text._ZL15flash_attn_tileILi128ELi128ELi1ELi4ELb0EEvPKcS1_S1_S1_S1_PKiPfP15HIP_vector_typeIfLj2EEffffjfiS5_IjLj3EEiiiiiiiiiiiliiliiiiil,"axG",@progbits,_ZL15flash_attn_tileILi128ELi128ELi1ELi4ELb0EEvPKcS1_S1_S1_S1_PKiPfP15HIP_vector_typeIfLj2EEffffjfiS5_IjLj3EEiiiiiiiiiiiliiliiiiil,comdat
.Lfunc_end30:
	.size	_ZL15flash_attn_tileILi128ELi128ELi1ELi4ELb0EEvPKcS1_S1_S1_S1_PKiPfP15HIP_vector_typeIfLj2EEffffjfiS5_IjLj3EEiiiiiiiiiiiliiliiiiil, .Lfunc_end30-_ZL15flash_attn_tileILi128ELi128ELi1ELi4ELb0EEvPKcS1_S1_S1_S1_PKiPfP15HIP_vector_typeIfLj2EEffffjfiS5_IjLj3EEiiiiiiiiiiiliiliiiiil
                                        ; -- End function
	.set _ZL15flash_attn_tileILi128ELi128ELi1ELi4ELb0EEvPKcS1_S1_S1_S1_PKiPfP15HIP_vector_typeIfLj2EEffffjfiS5_IjLj3EEiiiiiiiiiiiliiliiiiil.num_vgpr, 127
	.set _ZL15flash_attn_tileILi128ELi128ELi1ELi4ELb0EEvPKcS1_S1_S1_S1_PKiPfP15HIP_vector_typeIfLj2EEffffjfiS5_IjLj3EEiiiiiiiiiiiliiliiiiil.num_agpr, 0
	.set _ZL15flash_attn_tileILi128ELi128ELi1ELi4ELb0EEvPKcS1_S1_S1_S1_PKiPfP15HIP_vector_typeIfLj2EEffffjfiS5_IjLj3EEiiiiiiiiiiiliiliiiiil.numbered_sgpr, 42
	.set _ZL15flash_attn_tileILi128ELi128ELi1ELi4ELb0EEvPKcS1_S1_S1_S1_PKiPfP15HIP_vector_typeIfLj2EEffffjfiS5_IjLj3EEiiiiiiiiiiiliiliiiiil.num_named_barrier, 0
	.set _ZL15flash_attn_tileILi128ELi128ELi1ELi4ELb0EEvPKcS1_S1_S1_S1_PKiPfP15HIP_vector_typeIfLj2EEffffjfiS5_IjLj3EEiiiiiiiiiiiliiliiiiil.private_seg_size, 0
	.set _ZL15flash_attn_tileILi128ELi128ELi1ELi4ELb0EEvPKcS1_S1_S1_S1_PKiPfP15HIP_vector_typeIfLj2EEffffjfiS5_IjLj3EEiiiiiiiiiiiliiliiiiil.uses_vcc, 1
	.set _ZL15flash_attn_tileILi128ELi128ELi1ELi4ELb0EEvPKcS1_S1_S1_S1_PKiPfP15HIP_vector_typeIfLj2EEffffjfiS5_IjLj3EEiiiiiiiiiiiliiliiiiil.uses_flat_scratch, 0
	.set _ZL15flash_attn_tileILi128ELi128ELi1ELi4ELb0EEvPKcS1_S1_S1_S1_PKiPfP15HIP_vector_typeIfLj2EEffffjfiS5_IjLj3EEiiiiiiiiiiiliiliiiiil.has_dyn_sized_stack, 0
	.set _ZL15flash_attn_tileILi128ELi128ELi1ELi4ELb0EEvPKcS1_S1_S1_S1_PKiPfP15HIP_vector_typeIfLj2EEffffjfiS5_IjLj3EEiiiiiiiiiiiliiliiiiil.has_recursion, 0
	.set _ZL15flash_attn_tileILi128ELi128ELi1ELi4ELb0EEvPKcS1_S1_S1_S1_PKiPfP15HIP_vector_typeIfLj2EEffffjfiS5_IjLj3EEiiiiiiiiiiiliiliiiiil.has_indirect_call, 0
	.section	.AMDGPU.csdata,"",@progbits
; Kernel info:
; codeLenInByte = 7524
; TotalNumSgprs: 44
; NumVgprs: 127
; ScratchSize: 0
; MemoryBound: 0
; FloatMode: 240
; IeeeMode: 1
; LDSByteSize: 10752 bytes/workgroup (compile time only)
; SGPRBlocks: 0
; VGPRBlocks: 15
; NumSGPRsForWavesPerEU: 44
; NumVGPRsForWavesPerEU: 127
; Occupancy: 10
; WaveLimiterHint : 1
; COMPUTE_PGM_RSRC2:SCRATCH_EN: 0
; COMPUTE_PGM_RSRC2:USER_SGPR: 2
; COMPUTE_PGM_RSRC2:TRAP_HANDLER: 0
; COMPUTE_PGM_RSRC2:TGID_X_EN: 1
; COMPUTE_PGM_RSRC2:TGID_Y_EN: 1
; COMPUTE_PGM_RSRC2:TGID_Z_EN: 1
; COMPUTE_PGM_RSRC2:TIDIG_COMP_CNT: 1
	.section	.text._ZL33flash_attn_stream_k_fixup_uniformILi128ELi1ELi4EEvPfPK15HIP_vector_typeIfLj2EEiiiiiiS1_IjLj3EES5_S5_,"axG",@progbits,_ZL33flash_attn_stream_k_fixup_uniformILi128ELi1ELi4EEvPfPK15HIP_vector_typeIfLj2EEiiiiiiS1_IjLj3EES5_S5_,comdat
	.globl	_ZL33flash_attn_stream_k_fixup_uniformILi128ELi1ELi4EEvPfPK15HIP_vector_typeIfLj2EEiiiiiiS1_IjLj3EES5_S5_ ; -- Begin function _ZL33flash_attn_stream_k_fixup_uniformILi128ELi1ELi4EEvPfPK15HIP_vector_typeIfLj2EEiiiiiiS1_IjLj3EES5_S5_
	.p2align	8
	.type	_ZL33flash_attn_stream_k_fixup_uniformILi128ELi1ELi4EEvPfPK15HIP_vector_typeIfLj2EEiiiiiiS1_IjLj3EES5_S5_,@function
_ZL33flash_attn_stream_k_fixup_uniformILi128ELi1ELi4EEvPfPK15HIP_vector_typeIfLj2EEiiiiiiS1_IjLj3EES5_S5_: ; @_ZL33flash_attn_stream_k_fixup_uniformILi128ELi1ELi4EEvPfPK15HIP_vector_typeIfLj2EEiiiiiiS1_IjLj3EES5_S5_
; %bb.0:
	s_clause 0x1
	s_load_b256 s[4:11], s[0:1], 0x1c
	s_load_b128 s[16:19], s[0:1], 0x3c
	s_wait_kmcnt 0x0
	s_mul_hi_u32 s2, s7, ttmp9
	s_delay_alu instid0(SALU_CYCLE_1) | instskip(NEXT) | instid1(SALU_CYCLE_1)
	s_add_co_i32 s2, ttmp9, s2
	s_lshr_b32 s12, s2, s8
	s_delay_alu instid0(SALU_CYCLE_1) | instskip(SKIP_2) | instid1(SALU_CYCLE_1)
	s_mul_i32 s2, s12, s9
	s_load_b64 s[8:9], s[0:1], 0x10
	s_sub_co_i32 s2, ttmp9, s2
	s_mul_hi_u32 s3, s2, s10
	s_and_b32 s10, ttmp7, 0xffff
	s_add_co_i32 s3, s2, s3
	s_delay_alu instid0(SALU_CYCLE_1) | instskip(NEXT) | instid1(SALU_CYCLE_1)
	s_lshr_b32 s11, s3, s11
	s_mul_i32 s3, s11, s16
	s_delay_alu instid0(SALU_CYCLE_1) | instskip(NEXT) | instid1(SALU_CYCLE_1)
	s_sub_co_i32 s2, s2, s3
	s_mul_hi_u32 s3, s2, s17
	s_delay_alu instid0(SALU_CYCLE_1) | instskip(NEXT) | instid1(SALU_CYCLE_1)
	s_add_co_i32 s3, s2, s3
	s_lshr_b32 s3, s3, s18
	s_delay_alu instid0(SALU_CYCLE_1)
	s_mul_i32 s7, s3, s19
	s_lshl_b32 s14, s3, 2
	s_sub_co_i32 s13, s2, s7
	s_lshr_b32 s7, ttmp7, 16
	s_add_co_i32 s13, s13, s10
	s_wait_kmcnt 0x0
	s_cmp_lt_i32 s13, s8
	s_cselect_b32 s2, -1, 0
	s_add_co_i32 s14, s14, s7
	s_delay_alu instid0(SALU_CYCLE_1) | instskip(SKIP_1) | instid1(SALU_CYCLE_1)
	s_cmp_lt_i32 s14, s5
	s_cselect_b32 s3, -1, 0
	s_and_b32 s2, s2, s3
	s_delay_alu instid0(SALU_CYCLE_1)
	s_and_not1_b32 vcc_lo, exec_lo, s2
	s_cbranch_vccnz .LBB31_6
; %bb.1:
	s_mul_i32 s12, s12, s8
	s_mul_i32 s11, s11, s5
	s_add_co_i32 s5, s13, s12
	s_load_b128 s[0:3], s[0:1], 0x0
	s_add_co_i32 s8, s14, s11
	s_mul_i32 s5, s5, s9
	s_delay_alu instid0(SALU_CYCLE_1) | instskip(NEXT) | instid1(SALU_CYCLE_1)
	s_add_co_i32 s8, s8, s5
	v_lshl_or_b32 v1, s8, 7, v0
	s_mul_i32 s8, s6, ttmp9
	s_wait_alu 0xfffe
	s_add_co_i32 s9, s8, s6
	s_delay_alu instid0(VALU_DEP_1) | instskip(SKIP_2) | instid1(VALU_DEP_1)
	v_ashrrev_i32_e32 v2, 31, v1
	s_wait_alu 0xfffe
	s_add_co_i32 s5, s9, -2
	v_lshlrev_b64_e32 v[1:2], 2, v[1:2]
	s_wait_kmcnt 0x0
	s_delay_alu instid0(VALU_DEP_1) | instskip(NEXT) | instid1(VALU_DEP_1)
	v_add_co_u32 v1, vcc_lo, s0, v1
	v_add_co_ci_u32_e64 v2, null, s1, v2, vcc_lo
	s_add_co_i32 s0, s10, s9
	s_wait_alu 0xfffe
	s_lshl_b32 s0, s0, 2
	global_load_b32 v5, v[1:2], off
	s_wait_alu 0xfffe
	s_add_co_i32 s0, s0, s7
	s_wait_alu 0xfffe
	s_add_co_i32 s0, s0, -4
	s_wait_alu 0xfffe
	s_ashr_i32 s1, s0, 31
	s_wait_alu 0xfffe
	s_lshl_b64 s[0:1], s[0:1], 3
	s_cmp_lt_i32 s5, s8
	s_wait_alu 0xfffe
	s_add_nc_u64 s[0:1], s[2:3], s[0:1]
	s_load_b32 s11, s[0:1], 0x4
	s_cbranch_scc1 .LBB31_4
; %bb.2:
	s_load_b32 s0, s[0:1], 0x0
	s_add_co_i32 s1, ttmp9, 1
	s_lshl_b32 s5, s7, 7
	s_wait_alu 0xfffe
	s_mul_i32 s1, s6, s1
	s_lshl_b32 s6, s10, 9
	s_wait_alu 0xfffe
	s_lshl_b32 s1, s1, 9
	s_add_co_i32 s5, s5, s6
	s_lshl_b32 s12, s4, 4
	s_wait_alu 0xfffe
	s_add_co_i32 s5, s5, s1
	s_add_co_i32 s1, s10, s4
	v_or_b32_e32 v0, s5, v0
	s_wait_alu 0xfffe
	s_add_co_i32 s1, s1, s9
	s_ashr_i32 s13, s12, 31
	s_wait_alu 0xfffe
	s_lshl_b32 s1, s1, 2
	s_wait_kmcnt 0x0
	v_dual_mov_b32 v6, s11 :: v_dual_add_nc_u32 v3, 0xfffffc00, v0
	s_lshl_b64 s[4:5], s[12:13], 2
	s_wait_alu 0xfffe
	s_add_co_i32 s6, s7, s1
	s_add_nc_u64 s[4:5], s[2:3], s[4:5]
	s_add_co_i32 s1, s9, -1
	s_add_co_i32 s6, s6, -8
.LBB31_3:                               ; =>This Inner Loop Header: Depth=1
	v_ashrrev_i32_e32 v4, 31, v3
	s_ashr_i32 s7, s6, 31
	v_mov_b32_e32 v10, v6
	s_lshl_b64 s[10:11], s[6:7], 3
	s_wait_loadcnt 0x0
	v_mov_b32_e32 v9, v5
	v_lshlrev_b64_e32 v[7:8], 2, v[3:4]
	s_wait_alu 0xfffe
	s_add_nc_u64 s[10:11], s[2:3], s[10:11]
	v_max_num_f32_e64 v4, s0, s0
	s_load_b64 s[10:11], s[10:11], 0x0
	v_add_nc_u32_e32 v3, 0xfffffe00, v3
	v_add_co_u32 v7, vcc_lo, s4, v7
	s_wait_alu 0xfffd
	v_add_co_ci_u32_e64 v8, null, s5, v8, vcc_lo
	v_readfirstlane_b32 s7, v4
	global_load_b32 v0, v[7:8], off
	s_wait_kmcnt 0x0
	v_max_num_f32_e64 v4, s10, s10
	s_delay_alu instid0(VALU_DEP_1) | instskip(SKIP_1) | instid1(SALU_CYCLE_3)
	v_readfirstlane_b32 s9, v4
	s_max_num_f32 s7, s7, s9
	s_sub_f32 s0, s0, s7
	s_sub_f32 s9, s10, s7
	s_wait_alu 0xfffe
	s_delay_alu instid0(SALU_CYCLE_1) | instskip(NEXT) | instid1(SALU_CYCLE_1)
	s_mul_f32 s10, s0, 0x3fb8aa3b
	s_mul_f32 s12, s9, 0x3fb8aa3b
	s_wait_alu 0xfffe
	s_delay_alu instid0(SALU_CYCLE_1)
	s_xor_b32 s13, s10, 0x80000000
	s_rndne_f32 s14, s10
	s_fmamk_f32 s13, s0, 0x3fb8aa3b, s13
	s_cmp_nlt_f32 s0, 0xc2ce8ed0
	s_rndne_f32 s15, s12
	s_wait_alu 0xfffe
	s_sub_f32 s10, s10, s14
	s_fmamk_f32 s13, s0, 0x32a5705f, s13
	s_cvt_i32_f32 s14, s14
	s_cselect_b32 vcc_lo, -1, 0
	s_cmp_ngt_f32 s0, 0x42b17218
	s_wait_alu 0xfffe
	s_add_f32 s10, s10, s13
	s_sub_f32 s13, s12, s15
	s_wait_alu 0xfffe
	s_delay_alu instid0(SALU_CYCLE_1) | instskip(SKIP_1) | instid1(TRANS32_DEP_1)
	v_s_exp_f32 s10, s10
	s_wait_alu 0xf1ff
	v_ldexp_f32 v4, s10, s14
	s_cvt_i32_f32 s10, s15
	s_delay_alu instid0(VALU_DEP_1) | instskip(SKIP_3) | instid1(VALU_DEP_1)
	v_cndmask_b32_e32 v4, 0, v4, vcc_lo
	s_cselect_b32 vcc_lo, -1, 0
	s_cmp_ge_f32 s0, 0xc1a00000
	s_wait_alu 0xfffe
	v_cndmask_b32_e32 v4, 0x7f800000, v4, vcc_lo
	s_cselect_b32 vcc_lo, -1, 0
	s_xor_b32 s0, s12, 0x80000000
	s_cmp_nlt_f32 s9, 0xc2ce8ed0
	s_wait_alu 0xfffe
	s_fmamk_f32 s0, s9, 0x3fb8aa3b, s0
	s_wait_alu 0xfffe
	s_delay_alu instid0(SALU_CYCLE_2) | instskip(SKIP_1) | instid1(SALU_CYCLE_2)
	s_fmamk_f32 s0, s9, 0x32a5705f, s0
	s_wait_alu 0xfffe
	s_add_f32 s0, s13, s0
	s_wait_alu 0xfffe
	s_delay_alu instid0(SALU_CYCLE_2) | instskip(SKIP_1) | instid1(TRANS32_DEP_1)
	v_s_exp_f32 s0, s0
	s_wait_alu 0xf1ff
	v_ldexp_f32 v7, s0, s10
	s_cselect_b32 s0, -1, 0
	s_cmp_ngt_f32 s9, 0x42b17218
	s_wait_alu 0xfffe
	s_delay_alu instid0(VALU_DEP_1) | instskip(SKIP_3) | instid1(VALU_DEP_1)
	v_cndmask_b32_e64 v7, 0, v7, s0
	s_cselect_b32 s0, -1, 0
	s_cmp_ge_f32 s9, 0xc1a00000
	s_wait_alu 0xfffe
	v_cndmask_b32_e64 v7, 0x7f800000, v7, s0
	s_cselect_b32 s0, -1, 0
	s_add_co_i32 s1, s1, -1
	s_add_co_i32 s6, s6, -4
	s_wait_alu 0xfffe
	s_cmp_le_i32 s1, s8
	v_cndmask_b32_e64 v7, 0, v7, s0
	s_mov_b32 s0, s7
	s_wait_loadcnt 0x0
	s_delay_alu instid0(VALU_DEP_1) | instskip(NEXT) | instid1(VALU_DEP_1)
	v_dual_mul_f32 v5, v0, v7 :: v_dual_cndmask_b32 v4, 0, v4
	v_dual_mul_f32 v8, s11, v7 :: v_dual_fmac_f32 v5, v9, v4
	s_delay_alu instid0(VALU_DEP_1) | instskip(NEXT) | instid1(VALU_DEP_1)
	v_mov_b32_e32 v6, v8
	v_fmac_f32_e32 v6, v10, v4
	s_cbranch_scc0 .LBB31_3
	s_branch .LBB31_5
.LBB31_4:
	s_wait_kmcnt 0x0
	v_mov_b32_e32 v6, s11
.LBB31_5:
	s_wait_loadcnt 0x0
	s_delay_alu instid0(VALU_DEP_1) | instskip(NEXT) | instid1(VALU_DEP_1)
	v_div_scale_f32 v0, null, v6, v6, v5
	v_rcp_f32_e32 v3, v0
	s_delay_alu instid0(TRANS32_DEP_1) | instskip(NEXT) | instid1(VALU_DEP_1)
	v_fma_f32 v4, -v0, v3, 1.0
	v_fmac_f32_e32 v3, v4, v3
	v_div_scale_f32 v4, vcc_lo, v5, v6, v5
	s_delay_alu instid0(VALU_DEP_1) | instskip(NEXT) | instid1(VALU_DEP_1)
	v_mul_f32_e32 v7, v4, v3
	v_fma_f32 v8, -v0, v7, v4
	s_delay_alu instid0(VALU_DEP_1) | instskip(NEXT) | instid1(VALU_DEP_1)
	v_fmac_f32_e32 v7, v8, v3
	v_fma_f32 v0, -v0, v7, v4
	s_wait_alu 0xfffd
	s_delay_alu instid0(VALU_DEP_1) | instskip(NEXT) | instid1(VALU_DEP_1)
	v_div_fmas_f32 v0, v0, v3, v7
	v_div_fixup_f32 v0, v0, v6, v5
	global_store_b32 v[1:2], v0, off
.LBB31_6:
	s_endpgm
	.section	.rodata,"a",@progbits
	.p2align	6, 0x0
	.amdhsa_kernel _ZL33flash_attn_stream_k_fixup_uniformILi128ELi1ELi4EEvPfPK15HIP_vector_typeIfLj2EEiiiiiiS1_IjLj3EES5_S5_
		.amdhsa_group_segment_fixed_size 0
		.amdhsa_private_segment_fixed_size 0
		.amdhsa_kernarg_size 76
		.amdhsa_user_sgpr_count 2
		.amdhsa_user_sgpr_dispatch_ptr 0
		.amdhsa_user_sgpr_queue_ptr 0
		.amdhsa_user_sgpr_kernarg_segment_ptr 1
		.amdhsa_user_sgpr_dispatch_id 0
		.amdhsa_user_sgpr_private_segment_size 0
		.amdhsa_wavefront_size32 1
		.amdhsa_uses_dynamic_stack 0
		.amdhsa_enable_private_segment 0
		.amdhsa_system_sgpr_workgroup_id_x 1
		.amdhsa_system_sgpr_workgroup_id_y 1
		.amdhsa_system_sgpr_workgroup_id_z 1
		.amdhsa_system_sgpr_workgroup_info 0
		.amdhsa_system_vgpr_workitem_id 0
		.amdhsa_next_free_vgpr 11
		.amdhsa_next_free_sgpr 20
		.amdhsa_reserve_vcc 1
		.amdhsa_float_round_mode_32 0
		.amdhsa_float_round_mode_16_64 0
		.amdhsa_float_denorm_mode_32 3
		.amdhsa_float_denorm_mode_16_64 3
		.amdhsa_fp16_overflow 0
		.amdhsa_workgroup_processor_mode 1
		.amdhsa_memory_ordered 1
		.amdhsa_forward_progress 1
		.amdhsa_inst_pref_size 9
		.amdhsa_round_robin_scheduling 0
		.amdhsa_exception_fp_ieee_invalid_op 0
		.amdhsa_exception_fp_denorm_src 0
		.amdhsa_exception_fp_ieee_div_zero 0
		.amdhsa_exception_fp_ieee_overflow 0
		.amdhsa_exception_fp_ieee_underflow 0
		.amdhsa_exception_fp_ieee_inexact 0
		.amdhsa_exception_int_div_zero 0
	.end_amdhsa_kernel
	.section	.text._ZL33flash_attn_stream_k_fixup_uniformILi128ELi1ELi4EEvPfPK15HIP_vector_typeIfLj2EEiiiiiiS1_IjLj3EES5_S5_,"axG",@progbits,_ZL33flash_attn_stream_k_fixup_uniformILi128ELi1ELi4EEvPfPK15HIP_vector_typeIfLj2EEiiiiiiS1_IjLj3EES5_S5_,comdat
.Lfunc_end31:
	.size	_ZL33flash_attn_stream_k_fixup_uniformILi128ELi1ELi4EEvPfPK15HIP_vector_typeIfLj2EEiiiiiiS1_IjLj3EES5_S5_, .Lfunc_end31-_ZL33flash_attn_stream_k_fixup_uniformILi128ELi1ELi4EEvPfPK15HIP_vector_typeIfLj2EEiiiiiiS1_IjLj3EES5_S5_
                                        ; -- End function
	.set _ZL33flash_attn_stream_k_fixup_uniformILi128ELi1ELi4EEvPfPK15HIP_vector_typeIfLj2EEiiiiiiS1_IjLj3EES5_S5_.num_vgpr, 11
	.set _ZL33flash_attn_stream_k_fixup_uniformILi128ELi1ELi4EEvPfPK15HIP_vector_typeIfLj2EEiiiiiiS1_IjLj3EES5_S5_.num_agpr, 0
	.set _ZL33flash_attn_stream_k_fixup_uniformILi128ELi1ELi4EEvPfPK15HIP_vector_typeIfLj2EEiiiiiiS1_IjLj3EES5_S5_.numbered_sgpr, 20
	.set _ZL33flash_attn_stream_k_fixup_uniformILi128ELi1ELi4EEvPfPK15HIP_vector_typeIfLj2EEiiiiiiS1_IjLj3EES5_S5_.num_named_barrier, 0
	.set _ZL33flash_attn_stream_k_fixup_uniformILi128ELi1ELi4EEvPfPK15HIP_vector_typeIfLj2EEiiiiiiS1_IjLj3EES5_S5_.private_seg_size, 0
	.set _ZL33flash_attn_stream_k_fixup_uniformILi128ELi1ELi4EEvPfPK15HIP_vector_typeIfLj2EEiiiiiiS1_IjLj3EES5_S5_.uses_vcc, 1
	.set _ZL33flash_attn_stream_k_fixup_uniformILi128ELi1ELi4EEvPfPK15HIP_vector_typeIfLj2EEiiiiiiS1_IjLj3EES5_S5_.uses_flat_scratch, 0
	.set _ZL33flash_attn_stream_k_fixup_uniformILi128ELi1ELi4EEvPfPK15HIP_vector_typeIfLj2EEiiiiiiS1_IjLj3EES5_S5_.has_dyn_sized_stack, 0
	.set _ZL33flash_attn_stream_k_fixup_uniformILi128ELi1ELi4EEvPfPK15HIP_vector_typeIfLj2EEiiiiiiS1_IjLj3EES5_S5_.has_recursion, 0
	.set _ZL33flash_attn_stream_k_fixup_uniformILi128ELi1ELi4EEvPfPK15HIP_vector_typeIfLj2EEiiiiiiS1_IjLj3EES5_S5_.has_indirect_call, 0
	.section	.AMDGPU.csdata,"",@progbits
; Kernel info:
; codeLenInByte = 1120
; TotalNumSgprs: 22
; NumVgprs: 11
; ScratchSize: 0
; MemoryBound: 0
; FloatMode: 240
; IeeeMode: 1
; LDSByteSize: 0 bytes/workgroup (compile time only)
; SGPRBlocks: 0
; VGPRBlocks: 1
; NumSGPRsForWavesPerEU: 22
; NumVGPRsForWavesPerEU: 11
; Occupancy: 16
; WaveLimiterHint : 0
; COMPUTE_PGM_RSRC2:SCRATCH_EN: 0
; COMPUTE_PGM_RSRC2:USER_SGPR: 2
; COMPUTE_PGM_RSRC2:TRAP_HANDLER: 0
; COMPUTE_PGM_RSRC2:TGID_X_EN: 1
; COMPUTE_PGM_RSRC2:TGID_Y_EN: 1
; COMPUTE_PGM_RSRC2:TGID_Z_EN: 1
; COMPUTE_PGM_RSRC2:TIDIG_COMP_CNT: 0
	.section	.text._ZL33flash_attn_stream_k_fixup_generalILi128ELi1ELi4EEvPfPK15HIP_vector_typeIfLj2EEiiiiS1_IjLj3EES5_S5_S5_,"axG",@progbits,_ZL33flash_attn_stream_k_fixup_generalILi128ELi1ELi4EEvPfPK15HIP_vector_typeIfLj2EEiiiiS1_IjLj3EES5_S5_S5_,comdat
	.globl	_ZL33flash_attn_stream_k_fixup_generalILi128ELi1ELi4EEvPfPK15HIP_vector_typeIfLj2EEiiiiS1_IjLj3EES5_S5_S5_ ; -- Begin function _ZL33flash_attn_stream_k_fixup_generalILi128ELi1ELi4EEvPfPK15HIP_vector_typeIfLj2EEiiiiS1_IjLj3EES5_S5_S5_
	.p2align	8
	.type	_ZL33flash_attn_stream_k_fixup_generalILi128ELi1ELi4EEvPfPK15HIP_vector_typeIfLj2EEiiiiS1_IjLj3EES5_S5_S5_,@function
_ZL33flash_attn_stream_k_fixup_generalILi128ELi1ELi4EEvPfPK15HIP_vector_typeIfLj2EEiiiiS1_IjLj3EES5_S5_S5_: ; @_ZL33flash_attn_stream_k_fixup_generalILi128ELi1ELi4EEvPfPK15HIP_vector_typeIfLj2EEiiiiS1_IjLj3EES5_S5_S5_
; %bb.0:
	s_clause 0x1
	s_load_b128 s[4:7], s[0:1], 0x10
	s_load_b32 s16, s[0:1], 0x50
	s_mov_b32 s2, ttmp9
	s_ashr_i32 s3, ttmp9, 31
	s_mov_b32 s17, 0
	s_delay_alu instid0(SALU_CYCLE_1) | instskip(SKIP_3) | instid1(SALU_CYCLE_1)
	s_mov_b32 s8, s17
	s_wait_kmcnt 0x0
	s_ashr_i32 s19, s7, 31
	s_mov_b32 s18, s7
	s_mul_u64 s[2:3], s[18:19], s[2:3]
	s_delay_alu instid0(SALU_CYCLE_1) | instskip(NEXT) | instid1(SALU_CYCLE_1)
	s_mov_b32 s9, s3
	s_cmp_lg_u64 s[8:9], 0
	s_cbranch_scc0 .LBB32_21
; %bb.1:
	s_add_nc_u64 s[8:9], s[16:17], 0
	s_mov_b32 s15, s17
	s_xor_b64 s[8:9], s[8:9], 0
	s_mov_b32 s23, s17
	s_cvt_f32_u32 s7, s8
	s_cvt_f32_u32 s10, s9
	s_sub_nc_u64 s[12:13], 0, s[8:9]
	s_delay_alu instid0(SALU_CYCLE_2) | instskip(NEXT) | instid1(SALU_CYCLE_3)
	s_fmamk_f32 s7, s10, 0x4f800000, s7
	v_s_rcp_f32 s7, s7
	s_delay_alu instid0(TRANS32_DEP_1) | instskip(SKIP_1) | instid1(SALU_CYCLE_2)
	s_mul_f32 s7, s7, 0x5f7ffffc
	s_wait_alu 0xfffe
	s_mul_f32 s10, s7, 0x2f800000
	s_delay_alu instid0(SALU_CYCLE_3) | instskip(NEXT) | instid1(SALU_CYCLE_3)
	s_trunc_f32 s10, s10
	s_fmamk_f32 s7, s10, 0xcf800000, s7
	s_cvt_u32_f32 s11, s10
	s_wait_alu 0xfffe
	s_delay_alu instid0(SALU_CYCLE_1) | instskip(NEXT) | instid1(SALU_CYCLE_3)
	s_cvt_u32_f32 s10, s7
	s_mul_u64 s[20:21], s[12:13], s[10:11]
	s_delay_alu instid0(SALU_CYCLE_1)
	s_mul_hi_u32 s25, s10, s21
	s_mul_i32 s24, s10, s21
	s_mul_hi_u32 s14, s10, s20
	s_mul_i32 s22, s11, s20
	s_add_nc_u64 s[14:15], s[14:15], s[24:25]
	s_mul_hi_u32 s7, s11, s20
	s_mul_hi_u32 s26, s11, s21
	s_add_co_u32 s14, s14, s22
	s_wait_alu 0xfffe
	s_add_co_ci_u32 s22, s15, s7
	s_mul_i32 s20, s11, s21
	s_add_co_ci_u32 s21, s26, 0
	s_delay_alu instid0(SALU_CYCLE_1)
	s_add_nc_u64 s[14:15], s[22:23], s[20:21]
	s_mov_b32 s21, s17
	s_add_co_u32 s10, s10, s14
	s_cselect_b32 s7, -1, 0
	s_wait_alu 0xfffe
	s_cmp_lg_u32 s7, 0
	s_add_co_ci_u32 s11, s11, s15
	s_mov_b32 s15, s17
	s_mul_u64 s[12:13], s[12:13], s[10:11]
	s_delay_alu instid0(SALU_CYCLE_1)
	s_mul_hi_u32 s23, s10, s13
	s_mul_i32 s22, s10, s13
	s_mul_hi_u32 s14, s10, s12
	s_mul_i32 s20, s11, s12
	s_add_nc_u64 s[14:15], s[14:15], s[22:23]
	s_mul_hi_u32 s7, s11, s12
	s_mul_hi_u32 s24, s11, s13
	s_mul_i32 s12, s11, s13
	s_add_co_u32 s13, s14, s20
	s_wait_alu 0xfffe
	s_add_co_ci_u32 s20, s15, s7
	s_add_co_ci_u32 s13, s24, 0
	s_mov_b32 s15, s17
	s_add_nc_u64 s[12:13], s[20:21], s[12:13]
	s_delay_alu instid0(SALU_CYCLE_1) | instskip(SKIP_1) | instid1(SALU_CYCLE_1)
	s_add_co_u32 s7, s10, s12
	s_cselect_b32 s10, -1, 0
	s_cmp_lg_u32 s10, 0
	s_add_co_ci_u32 s20, s11, s13
	s_ashr_i32 s10, s3, 31
	s_delay_alu instid0(SALU_CYCLE_1) | instskip(NEXT) | instid1(SALU_CYCLE_1)
	s_mov_b32 s11, s10
	s_add_nc_u64 s[12:13], s[2:3], s[10:11]
	s_delay_alu instid0(SALU_CYCLE_1) | instskip(NEXT) | instid1(SALU_CYCLE_1)
	s_xor_b64 s[12:13], s[12:13], s[10:11]
	s_mul_hi_u32 s23, s12, s20
	s_mul_i32 s22, s12, s20
	s_wait_alu 0xfffe
	s_mul_hi_u32 s14, s12, s7
	s_mul_hi_u32 s24, s13, s7
	s_mul_i32 s7, s13, s7
	s_add_nc_u64 s[14:15], s[14:15], s[22:23]
	s_mul_hi_u32 s3, s13, s20
	s_wait_alu 0xfffe
	s_add_co_u32 s7, s14, s7
	s_mul_i32 s22, s13, s20
	s_add_co_ci_u32 s20, s15, s24
	s_add_co_ci_u32 s23, s3, 0
	s_delay_alu instid0(SALU_CYCLE_1) | instskip(NEXT) | instid1(SALU_CYCLE_1)
	s_add_nc_u64 s[14:15], s[20:21], s[22:23]
	s_mul_u64 s[20:21], s[8:9], s[14:15]
	s_delay_alu instid0(SALU_CYCLE_1)
	s_sub_co_u32 s3, s12, s20
	s_cselect_b32 s7, -1, 0
	s_sub_co_i32 s12, s13, s21
	s_wait_alu 0xfffe
	s_cmp_lg_u32 s7, 0
	s_sub_co_ci_u32 s12, s12, s9
	s_sub_co_u32 s20, s3, s8
	s_cselect_b32 s22, -1, 0
	s_delay_alu instid0(SALU_CYCLE_1) | instskip(SKIP_2) | instid1(SALU_CYCLE_1)
	s_cmp_lg_u32 s22, 0
	s_add_nc_u64 s[22:23], s[14:15], 1
	s_sub_co_ci_u32 s12, s12, 0
	s_cmp_ge_u32 s12, s9
	s_cselect_b32 s24, -1, 0
	s_cmp_ge_u32 s20, s8
	s_cselect_b32 s20, -1, 0
	s_cmp_eq_u32 s12, s9
	s_cselect_b32 s12, s20, s24
	s_add_nc_u64 s[24:25], s[14:15], 2
	s_cmp_lg_u32 s12, 0
	s_cselect_b32 s12, s24, s22
	s_cselect_b32 s20, s25, s23
	s_cmp_lg_u32 s7, 0
	s_sub_co_ci_u32 s7, s13, s21
	s_wait_alu 0xfffe
	s_cmp_ge_u32 s7, s9
	s_cselect_b32 s13, -1, 0
	s_cmp_ge_u32 s3, s8
	s_cselect_b32 s3, -1, 0
	s_cmp_eq_u32 s7, s9
	s_cselect_b32 s3, s3, s13
	s_delay_alu instid0(SALU_CYCLE_1) | instskip(SKIP_4) | instid1(SALU_CYCLE_1)
	s_cmp_lg_u32 s3, 0
	s_mov_b32 s3, s17
	s_cselect_b32 s9, s20, s15
	s_cselect_b32 s8, s12, s14
	s_xor_b64 s[10:11], s[10:11], 0
	s_xor_b64 s[8:9], s[8:9], s[10:11]
	s_delay_alu instid0(SALU_CYCLE_1)
	s_sub_nc_u64 s[20:21], s[8:9], s[10:11]
	s_and_not1_b32 vcc_lo, exec_lo, s3
	s_cbranch_vccnz .LBB32_3
.LBB32_2:
	v_cvt_f32_u32_e32 v1, s16
	s_sub_co_i32 s7, 0, s16
	s_delay_alu instid0(VALU_DEP_1) | instskip(NEXT) | instid1(TRANS32_DEP_1)
	v_rcp_iflag_f32_e32 v1, v1
	v_mul_f32_e32 v1, 0x4f7ffffe, v1
	s_delay_alu instid0(VALU_DEP_1) | instskip(NEXT) | instid1(VALU_DEP_1)
	v_cvt_u32_f32_e32 v1, v1
	v_readfirstlane_b32 s3, v1
	s_wait_alu 0xfffe
	s_mul_i32 s7, s7, s3
	s_wait_alu 0xfffe
	s_mul_hi_u32 s7, s3, s7
	s_wait_alu 0xfffe
	s_add_co_i32 s3, s3, s7
	s_delay_alu instid0(SALU_CYCLE_1) | instskip(NEXT) | instid1(SALU_CYCLE_1)
	s_mul_hi_u32 s3, s2, s3
	s_mul_i32 s7, s3, s16
	s_wait_alu 0xfffe
	s_sub_co_i32 s2, s2, s7
	s_add_co_i32 s7, s3, 1
	s_sub_co_i32 s8, s2, s16
	s_cmp_ge_u32 s2, s16
	s_wait_alu 0xfffe
	s_cselect_b32 s3, s7, s3
	s_cselect_b32 s2, s8, s2
	s_add_co_i32 s7, s3, 1
	s_cmp_ge_u32 s2, s16
	s_wait_alu 0xfffe
	s_cselect_b32 s20, s7, s3
.LBB32_3:
	s_add_co_i32 s2, ttmp9, 1
	s_mov_b32 s8, 0
	s_ashr_i32 s3, s2, 31
	s_delay_alu instid0(SALU_CYCLE_1) | instskip(NEXT) | instid1(SALU_CYCLE_1)
	s_mul_u64 s[2:3], s[18:19], s[2:3]
	s_mov_b32 s9, s3
	s_delay_alu instid0(SALU_CYCLE_1)
	s_cmp_lg_u64 s[8:9], 0
	s_cbranch_scc0 .LBB32_22
; %bb.4:
	s_add_nc_u64 s[10:11], s[16:17], 0
	s_mov_b32 s23, s8
	s_xor_b64 s[10:11], s[10:11], 0
	s_mov_b32 s27, s8
	s_cvt_f32_u32 s7, s10
	s_cvt_f32_u32 s9, s11
	s_sub_nc_u64 s[14:15], 0, s[10:11]
	s_wait_alu 0xfffe
	s_delay_alu instid0(SALU_CYCLE_1) | instskip(SKIP_1) | instid1(SALU_CYCLE_2)
	s_fmamk_f32 s7, s9, 0x4f800000, s7
	s_wait_alu 0xfffe
	v_s_rcp_f32 s7, s7
	s_delay_alu instid0(TRANS32_DEP_1) | instskip(SKIP_1) | instid1(SALU_CYCLE_2)
	s_mul_f32 s7, s7, 0x5f7ffffc
	s_wait_alu 0xfffe
	s_mul_f32 s9, s7, 0x2f800000
	s_delay_alu instid0(SALU_CYCLE_3) | instskip(NEXT) | instid1(SALU_CYCLE_3)
	s_trunc_f32 s9, s9
	s_fmamk_f32 s7, s9, 0xcf800000, s7
	s_cvt_u32_f32 s13, s9
	s_wait_alu 0xfffe
	s_delay_alu instid0(SALU_CYCLE_1) | instskip(NEXT) | instid1(SALU_CYCLE_3)
	s_cvt_u32_f32 s12, s7
	s_mul_u64 s[24:25], s[14:15], s[12:13]
	s_delay_alu instid0(SALU_CYCLE_1)
	s_mul_hi_u32 s29, s12, s25
	s_mul_i32 s28, s12, s25
	s_mul_hi_u32 s22, s12, s24
	s_mul_i32 s9, s13, s24
	s_add_nc_u64 s[22:23], s[22:23], s[28:29]
	s_mul_hi_u32 s7, s13, s24
	s_mul_hi_u32 s21, s13, s25
	s_add_co_u32 s9, s22, s9
	s_wait_alu 0xfffe
	s_add_co_ci_u32 s26, s23, s7
	s_mul_i32 s24, s13, s25
	s_add_co_ci_u32 s25, s21, 0
	s_delay_alu instid0(SALU_CYCLE_1)
	s_add_nc_u64 s[22:23], s[26:27], s[24:25]
	s_mov_b32 s25, s8
	s_add_co_u32 s12, s12, s22
	s_cselect_b32 s7, -1, 0
	s_wait_alu 0xfffe
	s_cmp_lg_u32 s7, 0
	s_add_co_ci_u32 s13, s13, s23
	s_mov_b32 s23, s8
	s_mul_u64 s[14:15], s[14:15], s[12:13]
	s_delay_alu instid0(SALU_CYCLE_1)
	s_mul_hi_u32 s27, s12, s15
	s_mul_i32 s26, s12, s15
	s_mul_hi_u32 s22, s12, s14
	s_mul_i32 s9, s13, s14
	s_add_nc_u64 s[22:23], s[22:23], s[26:27]
	s_mul_hi_u32 s7, s13, s14
	s_mul_hi_u32 s21, s13, s15
	s_add_co_u32 s9, s22, s9
	s_wait_alu 0xfffe
	s_add_co_ci_u32 s24, s23, s7
	s_mul_i32 s14, s13, s15
	s_add_co_ci_u32 s15, s21, 0
	s_mov_b32 s23, s8
	s_add_nc_u64 s[14:15], s[24:25], s[14:15]
	s_delay_alu instid0(SALU_CYCLE_1) | instskip(SKIP_1) | instid1(SALU_CYCLE_1)
	s_add_co_u32 s7, s12, s14
	s_cselect_b32 s9, -1, 0
	s_cmp_lg_u32 s9, 0
	s_add_co_ci_u32 s9, s13, s15
	s_ashr_i32 s12, s3, 31
	s_delay_alu instid0(SALU_CYCLE_1) | instskip(NEXT) | instid1(SALU_CYCLE_1)
	s_mov_b32 s13, s12
	s_add_nc_u64 s[14:15], s[2:3], s[12:13]
	s_delay_alu instid0(SALU_CYCLE_1) | instskip(NEXT) | instid1(SALU_CYCLE_1)
	s_xor_b64 s[14:15], s[14:15], s[12:13]
	s_mul_hi_u32 s27, s14, s9
	s_mul_i32 s26, s14, s9
	s_wait_alu 0xfffe
	s_mul_hi_u32 s22, s14, s7
	s_mul_hi_u32 s21, s15, s7
	s_mul_i32 s7, s15, s7
	s_add_nc_u64 s[22:23], s[22:23], s[26:27]
	s_mul_hi_u32 s3, s15, s9
	s_wait_alu 0xfffe
	s_add_co_u32 s7, s22, s7
	s_add_co_ci_u32 s24, s23, s21
	s_mul_i32 s26, s15, s9
	s_add_co_ci_u32 s27, s3, 0
	s_delay_alu instid0(SALU_CYCLE_1) | instskip(NEXT) | instid1(SALU_CYCLE_1)
	s_add_nc_u64 s[22:23], s[24:25], s[26:27]
	s_mul_u64 s[24:25], s[10:11], s[22:23]
	s_add_nc_u64 s[26:27], s[22:23], 1
	s_sub_co_u32 s3, s14, s24
	s_cselect_b32 s7, -1, 0
	s_sub_co_i32 s9, s15, s25
	s_wait_alu 0xfffe
	s_cmp_lg_u32 s7, 0
	s_add_nc_u64 s[28:29], s[22:23], 2
	s_sub_co_ci_u32 s9, s9, s11
	s_sub_co_u32 s14, s3, s10
	s_cselect_b32 s21, -1, 0
	s_delay_alu instid0(SALU_CYCLE_1) | instskip(SKIP_1) | instid1(SALU_CYCLE_1)
	s_cmp_lg_u32 s21, 0
	s_sub_co_ci_u32 s9, s9, 0
	s_cmp_ge_u32 s9, s11
	s_cselect_b32 s21, -1, 0
	s_cmp_ge_u32 s14, s10
	s_cselect_b32 s14, -1, 0
	s_cmp_eq_u32 s9, s11
	s_cselect_b32 s9, s14, s21
	s_delay_alu instid0(SALU_CYCLE_1)
	s_cmp_lg_u32 s9, 0
	s_cselect_b32 s9, s28, s26
	s_cselect_b32 s14, s29, s27
	s_cmp_lg_u32 s7, 0
	s_sub_co_ci_u32 s7, s15, s25
	s_wait_alu 0xfffe
	s_cmp_ge_u32 s7, s11
	s_cselect_b32 s15, -1, 0
	s_cmp_ge_u32 s3, s10
	s_cselect_b32 s3, -1, 0
	s_cmp_eq_u32 s7, s11
	s_cselect_b32 s3, s3, s15
	s_delay_alu instid0(SALU_CYCLE_1) | instskip(SKIP_3) | instid1(SALU_CYCLE_1)
	s_cmp_lg_u32 s3, 0
	s_cselect_b32 s11, s14, s23
	s_cselect_b32 s10, s9, s22
	s_xor_b64 s[12:13], s[12:13], 0
	s_xor_b64 s[10:11], s[10:11], s[12:13]
	s_delay_alu instid0(SALU_CYCLE_1)
	s_sub_nc_u64 s[10:11], s[10:11], s[12:13]
	s_load_b96 s[12:14], s[0:1], 0x44
	s_and_not1_b32 vcc_lo, exec_lo, s8
	s_cbranch_vccnz .LBB32_6
.LBB32_5:
	v_cvt_f32_u32_e32 v1, s16
	s_sub_co_i32 s7, 0, s16
	s_delay_alu instid0(VALU_DEP_1) | instskip(NEXT) | instid1(TRANS32_DEP_1)
	v_rcp_iflag_f32_e32 v1, v1
	v_mul_f32_e32 v1, 0x4f7ffffe, v1
	s_delay_alu instid0(VALU_DEP_1) | instskip(NEXT) | instid1(VALU_DEP_1)
	v_cvt_u32_f32_e32 v1, v1
	v_readfirstlane_b32 s3, v1
	s_wait_alu 0xfffe
	s_mul_i32 s7, s7, s3
	s_wait_alu 0xfffe
	s_mul_hi_u32 s7, s3, s7
	s_wait_alu 0xfffe
	s_add_co_i32 s3, s3, s7
	s_delay_alu instid0(SALU_CYCLE_1) | instskip(NEXT) | instid1(SALU_CYCLE_1)
	s_mul_hi_u32 s3, s2, s3
	s_mul_i32 s7, s3, s16
	s_wait_alu 0xfffe
	s_sub_co_i32 s2, s2, s7
	s_add_co_i32 s7, s3, 1
	s_sub_co_i32 s8, s2, s16
	s_cmp_ge_u32 s2, s16
	s_wait_alu 0xfffe
	s_cselect_b32 s3, s7, s3
	s_cselect_b32 s2, s8, s2
	s_add_co_i32 s7, s3, 1
	s_cmp_ge_u32 s2, s16
	s_wait_alu 0xfffe
	s_cselect_b32 s10, s7, s3
.LBB32_6:
	s_mov_b32 s21, 0
	s_wait_kmcnt 0x0
	s_mov_b32 s22, s12
	s_mov_b32 s23, s21
	s_cmp_eq_u32 s20, s10
	s_mul_u64 s[2:3], s[20:21], s[22:23]
	s_cselect_b32 s7, -1, 0
	s_add_co_i32 s2, s3, s20
	s_mov_b32 s11, s21
	s_lshr_b32 s12, s2, s13
	s_mul_u64 s[2:3], s[10:11], s[22:23]
	s_mul_i32 s2, s12, s14
	s_delay_alu instid0(SALU_CYCLE_1) | instskip(SKIP_2) | instid1(SALU_CYCLE_1)
	s_cmp_eq_u32 s2, s20
	s_cselect_b32 s2, -1, 0
	s_add_co_i32 s3, s3, s10
	s_lshr_b32 s3, s3, s13
	s_delay_alu instid0(SALU_CYCLE_1)
	s_cmp_eq_u32 s12, s3
	s_mul_i32 s3, s3, s14
	s_cselect_b32 s8, -1, 0
	s_cmp_lg_u32 s3, s10
	s_cselect_b32 s3, -1, 0
	s_wait_alu 0xfffe
	s_or_b32 s2, s7, s2
	s_and_b32 s3, s8, s3
	s_delay_alu instid0(SALU_CYCLE_1) | instskip(NEXT) | instid1(SALU_CYCLE_1)
	s_or_b32 s2, s2, s3
	s_and_b32 vcc_lo, exec_lo, s2
	s_cbranch_vccnz .LBB32_24
; %bb.7:
	s_load_b256 s[24:31], s[0:1], 0x20
	s_mov_b32 s3, s21
	s_load_b32 s7, s[0:1], 0x40
	s_and_b32 s15, ttmp7, 0xffff
	s_wait_kmcnt 0x0
	s_mov_b32 s2, s24
	s_delay_alu instid0(SALU_CYCLE_1) | instskip(NEXT) | instid1(SALU_CYCLE_1)
	s_mul_u64 s[2:3], s[20:21], s[2:3]
	s_add_co_i32 s2, s3, s20
	s_delay_alu instid0(SALU_CYCLE_1) | instskip(NEXT) | instid1(SALU_CYCLE_1)
	s_lshr_b32 s2, s2, s25
	s_mul_i32 s3, s2, s26
	s_delay_alu instid0(SALU_CYCLE_1) | instskip(NEXT) | instid1(SALU_CYCLE_1)
	s_sub_co_i32 s8, s20, s3
	s_mul_hi_u32 s3, s8, s27
	s_delay_alu instid0(SALU_CYCLE_1) | instskip(NEXT) | instid1(SALU_CYCLE_1)
	s_add_co_i32 s3, s8, s3
	s_lshr_b32 s3, s3, s28
	s_delay_alu instid0(SALU_CYCLE_1) | instskip(NEXT) | instid1(SALU_CYCLE_1)
	s_mul_i32 s9, s3, s29
	s_sub_co_i32 s8, s8, s9
	s_delay_alu instid0(SALU_CYCLE_1) | instskip(NEXT) | instid1(SALU_CYCLE_1)
	s_mul_hi_u32 s9, s8, s30
	s_add_co_i32 s9, s8, s9
	s_delay_alu instid0(SALU_CYCLE_1)
	s_lshr_b32 s24, s9, s31
	s_mov_b32 s9, s21
	s_mul_i32 s7, s24, s7
	s_lshr_b32 s21, ttmp7, 16
	s_wait_alu 0xfffe
	s_sub_co_i32 s8, s8, s7
	s_lshl_b32 s24, s24, 2
	s_mul_u64 s[10:11], s[8:9], s[22:23]
	s_delay_alu instid0(SALU_CYCLE_1)
	s_add_co_i32 s7, s8, s11
	s_wait_alu 0xfffe
	s_lshr_b32 s7, s7, s13
	s_wait_alu 0xfffe
	s_add_co_i32 s7, s7, s15
	s_wait_alu 0xfffe
	s_cmp_lt_i32 s7, s4
	s_cselect_b32 s8, -1, 0
	s_add_co_i32 s24, s24, s21
	s_delay_alu instid0(SALU_CYCLE_1) | instskip(SKIP_1) | instid1(SALU_CYCLE_1)
	s_cmp_lt_i32 s24, s6
	s_cselect_b32 s9, -1, 0
	s_and_b32 s8, s8, s9
	s_delay_alu instid0(SALU_CYCLE_1)
	s_and_not1_b32 vcc_lo, exec_lo, s8
	s_cbranch_vccnz .LBB32_24
; %bb.8:
	s_mul_i32 s2, s2, s4
	s_load_b128 s[8:11], s[0:1], 0x0
	s_mul_i32 s3, s3, s6
	s_add_co_i32 s0, s7, s2
	s_add_co_i32 s1, s24, s3
	s_mul_i32 s0, s0, s5
	v_cvt_f32_u32_e32 v4, s16
	s_add_co_i32 s1, s1, s0
	s_add_co_i32 s34, ttmp9, -1
	v_lshl_or_b32 v1, s1, 7, v0
	s_add_nc_u64 s[0:1], s[16:17], 0
	v_rcp_iflag_f32_e32 v4, v4
	s_wait_alu 0xfffe
	s_xor_b64 s[6:7], s[0:1], 0
	s_add_co_i32 s0, s15, ttmp9
	v_ashrrev_i32_e32 v2, 31, v1
	s_wait_alu 0xfffe
	s_cvt_f32_u32 s1, s6
	s_cvt_f32_u32 s2, s7
	s_lshl_b32 s0, s0, 2
	v_lshl_or_b32 v0, s21, 7, v0
	v_lshlrev_b64_e32 v[1:2], 2, v[1:2]
	s_wait_alu 0xfffe
	s_add_co_i32 s0, s0, s21
	s_fmamk_f32 s2, s2, 0x4f800000, s1
	s_wait_alu 0xfffe
	s_ashr_i32 s1, s0, 31
	s_sub_nc_u64 s[30:31], 0, s[6:7]
	s_wait_alu 0xfffe
	s_lshl_b64 s[0:1], s[0:1], 3
	s_wait_kmcnt 0x0
	v_add_co_u32 v1, vcc_lo, s8, v1
	s_delay_alu instid0(VALU_DEP_1)
	v_add_co_ci_u32_e64 v2, null, s9, v2, vcc_lo
	v_s_rcp_f32 s2, s2
	s_wait_alu 0xfffe
	s_add_nc_u64 s[0:1], s[10:11], s[0:1]
	s_mov_b32 s8, 0
	global_load_b32 v3, v[1:2], off
	s_load_b64 s[26:27], s[0:1], 0x0
	v_mul_f32_e32 v4, 0x4f7ffffe, v4
	s_lshl_b32 s0, s16, 4
	s_mul_f32 s2, s2, 0x5f7ffffc
	s_wait_alu 0xfffe
	s_delay_alu instid0(SALU_CYCLE_2) | instskip(SKIP_1) | instid1(SALU_CYCLE_2)
	s_mul_f32 s1, s2, 0x2f800000
	s_wait_alu 0xfffe
	s_trunc_f32 s3, s1
	s_mov_b32 s1, s8
	s_wait_alu 0xfffe
	s_lshl_b64 s[0:1], s[0:1], 2
	s_fmamk_f32 s2, s3, 0xcf800000, s2
	s_cvt_u32_f32 s29, s3
	s_wait_alu 0xfffe
	s_add_nc_u64 s[24:25], s[10:11], s[0:1]
	s_cvt_u32_f32 s28, s2
	s_wait_kmcnt 0x0
	v_mov_b32_e32 v5, s27
	v_cvt_u32_f32_e32 v4, v4
.LBB32_9:                               ; =>This Inner Loop Header: Depth=1
	s_wait_alu 0xfffe
	s_ashr_i32 s35, s34, 31
	s_mov_b32 s2, -1
	s_wait_alu 0xfffe
	s_mul_u64 s[0:1], s[34:35], s[18:19]
                                        ; implicit-def: $sgpr38_sgpr39
	s_wait_alu 0xfffe
	s_mov_b32 s9, s1
	s_wait_alu 0xfffe
	s_cmp_lg_u64 s[8:9], 0
	s_cbranch_scc0 .LBB32_11
; %bb.10:                               ;   in Loop: Header=BB32_9 Depth=1
	s_mul_u64 s[2:3], s[30:31], s[28:29]
	s_mov_b32 s37, s8
	s_wait_alu 0xfffe
	s_mul_hi_u32 s5, s28, s3
	s_mul_i32 s4, s28, s3
	s_mul_hi_u32 s36, s28, s2
	s_mul_hi_u32 s9, s29, s2
	s_wait_alu 0xfffe
	s_add_nc_u64 s[4:5], s[36:37], s[4:5]
	s_mul_i32 s2, s29, s2
	s_mul_hi_u32 s17, s29, s3
	s_wait_alu 0xfffe
	s_add_co_u32 s2, s4, s2
	s_add_co_ci_u32 s2, s5, s9
	s_add_co_ci_u32 s5, s17, 0
	s_mul_i32 s4, s29, s3
	s_mov_b32 s3, s8
	s_mov_b32 s39, s8
	s_wait_alu 0xfffe
	s_add_nc_u64 s[2:3], s[2:3], s[4:5]
	s_wait_alu 0xfffe
	s_add_co_u32 s2, s28, s2
	s_cselect_b32 s4, -1, 0
	s_wait_alu 0xfffe
	s_cmp_lg_u32 s4, 0
	s_add_co_ci_u32 s3, s29, s3
	s_wait_alu 0xfffe
	s_mul_u64 s[4:5], s[30:31], s[2:3]
	s_wait_alu 0xfffe
	s_mul_hi_u32 s37, s2, s5
	s_mul_i32 s36, s2, s5
	s_mul_hi_u32 s38, s2, s4
	s_mul_hi_u32 s9, s3, s4
	s_mul_i32 s4, s3, s4
	s_wait_alu 0xfffe
	s_add_nc_u64 s[36:37], s[38:39], s[36:37]
	s_mul_hi_u32 s17, s3, s5
	s_wait_alu 0xfffe
	s_add_co_u32 s4, s36, s4
	s_add_co_ci_u32 s4, s37, s9
	s_add_co_ci_u32 s37, s17, 0
	s_mul_i32 s36, s3, s5
	s_mov_b32 s5, s8
	s_wait_alu 0xfffe
	s_add_nc_u64 s[4:5], s[4:5], s[36:37]
	s_mov_b32 s37, s8
	s_wait_alu 0xfffe
	s_add_co_u32 s9, s2, s4
	s_cselect_b32 s2, -1, 0
	s_wait_alu 0xfffe
	s_cmp_lg_u32 s2, 0
	s_add_co_ci_u32 s17, s3, s5
	s_ashr_i32 s2, s1, 31
	s_wait_alu 0xfffe
	s_mov_b32 s3, s2
	s_wait_alu 0xfffe
	s_add_nc_u64 s[4:5], s[0:1], s[2:3]
	s_wait_alu 0xfffe
	s_xor_b64 s[4:5], s[4:5], s[2:3]
	s_wait_alu 0xfffe
	s_mul_hi_u32 s39, s4, s17
	s_mul_i32 s38, s4, s17
	s_mul_hi_u32 s36, s4, s9
	s_mul_i32 s27, s5, s9
	s_wait_alu 0xfffe
	s_add_nc_u64 s[36:37], s[36:37], s[38:39]
	s_mul_hi_u32 s9, s5, s9
	s_mul_hi_u32 s1, s5, s17
	s_wait_alu 0xfffe
	s_add_co_u32 s27, s36, s27
	s_add_co_ci_u32 s36, s37, s9
	s_add_co_ci_u32 s39, s1, 0
	s_mul_i32 s38, s5, s17
	s_mov_b32 s37, s8
	s_wait_alu 0xfffe
	s_add_nc_u64 s[36:37], s[36:37], s[38:39]
	s_wait_alu 0xfffe
	s_mul_u64 s[38:39], s[6:7], s[36:37]
	s_add_nc_u64 s[40:41], s[36:37], 1
	s_wait_alu 0xfffe
	s_sub_co_u32 s1, s4, s38
	s_cselect_b32 s4, -1, 0
	s_sub_co_i32 s9, s5, s39
	s_wait_alu 0xfffe
	s_cmp_lg_u32 s4, 0
	s_add_nc_u64 s[42:43], s[36:37], 2
	s_sub_co_ci_u32 s9, s9, s7
	s_sub_co_u32 s17, s1, s6
	s_cselect_b32 s27, -1, 0
	s_wait_alu 0xfffe
	s_cmp_lg_u32 s27, 0
	s_sub_co_ci_u32 s9, s9, 0
	s_wait_alu 0xfffe
	s_cmp_ge_u32 s9, s7
	s_cselect_b32 s27, -1, 0
	s_cmp_ge_u32 s17, s6
	s_cselect_b32 s17, -1, 0
	s_cmp_eq_u32 s9, s7
	s_wait_alu 0xfffe
	s_cselect_b32 s9, s17, s27
	s_wait_alu 0xfffe
	s_cmp_lg_u32 s9, 0
	s_cselect_b32 s9, s42, s40
	s_cselect_b32 s17, s43, s41
	s_cmp_lg_u32 s4, 0
	s_sub_co_ci_u32 s4, s5, s39
	s_wait_alu 0xfffe
	s_cmp_ge_u32 s4, s7
	s_cselect_b32 s5, -1, 0
	s_cmp_ge_u32 s1, s6
	s_cselect_b32 s1, -1, 0
	s_cmp_eq_u32 s4, s7
	s_wait_alu 0xfffe
	s_cselect_b32 s1, s1, s5
	s_wait_alu 0xfffe
	s_cmp_lg_u32 s1, 0
	s_cselect_b32 s5, s17, s37
	s_cselect_b32 s4, s9, s36
	s_xor_b64 s[2:3], s[2:3], 0
	s_wait_alu 0xfffe
	s_xor_b64 s[4:5], s[4:5], s[2:3]
	s_wait_alu 0xfffe
	s_sub_nc_u64 s[38:39], s[4:5], s[2:3]
	s_mov_b32 s2, 0
.LBB32_11:                              ;   in Loop: Header=BB32_9 Depth=1
	s_wait_alu 0xfffe
	s_and_not1_b32 vcc_lo, exec_lo, s2
	s_wait_alu 0xfffe
	s_cbranch_vccnz .LBB32_13
; %bb.12:                               ;   in Loop: Header=BB32_9 Depth=1
	v_readfirstlane_b32 s1, v4
	s_sub_co_i32 s2, 0, s16
	s_wait_alu 0xfffe
	s_mul_i32 s2, s2, s1
	s_wait_alu 0xfffe
	s_mul_hi_u32 s2, s1, s2
	s_wait_alu 0xfffe
	s_add_co_i32 s1, s1, s2
	s_wait_alu 0xfffe
	s_mul_hi_u32 s1, s0, s1
	s_wait_alu 0xfffe
	s_mul_i32 s2, s1, s16
	s_wait_alu 0xfffe
	s_sub_co_i32 s0, s0, s2
	s_add_co_i32 s2, s1, 1
	s_wait_alu 0xfffe
	s_sub_co_i32 s3, s0, s16
	s_cmp_ge_u32 s0, s16
	s_cselect_b32 s1, s2, s1
	s_wait_alu 0xfffe
	s_cselect_b32 s0, s3, s0
	s_add_co_i32 s2, s1, 1
	s_wait_alu 0xfffe
	s_cmp_ge_u32 s0, s16
	s_cselect_b32 s38, s2, s1
.LBB32_13:                              ;   in Loop: Header=BB32_9 Depth=1
	v_readfirstlane_b32 s9, v0
	s_wait_alu 0xfffe
	s_cmp_lg_u32 s20, s38
	s_mov_b32 s0, -1
                                        ; implicit-def: $sgpr27
                                        ; implicit-def: $vgpr6
                                        ; implicit-def: $vgpr7
                                        ; implicit-def: $sgpr17
                                        ; implicit-def: $sgpr33
	s_cbranch_scc1 .LBB32_16
; %bb.14:                               ;   in Loop: Header=BB32_9 Depth=1
	s_wait_alu 0xfffe
	s_and_not1_b32 vcc_lo, exec_lo, s0
	s_wait_alu 0xfffe
	s_cbranch_vccz .LBB32_19
.LBB32_15:                              ;   in Loop: Header=BB32_9 Depth=1
	s_and_not1_b32 vcc_lo, exec_lo, s27
	s_wait_alu 0xfffe
	s_cbranch_vccnz .LBB32_20
	s_branch .LBB32_23
.LBB32_16:                              ;   in Loop: Header=BB32_9 Depth=1
	s_add_co_i32 s40, s34, s15
	s_mov_b32 s1, s8
	s_wait_alu 0xfffe
	s_add_co_i32 s0, s40, s16
	v_max_num_f32_e64 v6, s26, s26
	s_wait_alu 0xfffe
	s_lshl_b32 s0, s0, 2
	s_mov_b32 s39, s8
	s_wait_alu 0xfffe
	s_add_co_i32 s0, s0, s21
	s_mul_u64 s[42:43], s[38:39], s[22:23]
	s_wait_alu 0xfffe
	s_lshl_b64 s[0:1], s[0:1], 3
	s_mov_b32 s33, s20
	s_wait_alu 0xfffe
	s_add_nc_u64 s[0:1], s[10:11], s[0:1]
	s_load_b64 s[36:37], s[0:1], 0x0
	v_readfirstlane_b32 s0, v6
	s_wait_kmcnt 0x0
	v_max_num_f32_e64 v7, s36, s36
	s_delay_alu instid0(VALU_DEP_1) | instskip(SKIP_2) | instid1(SALU_CYCLE_2)
	v_readfirstlane_b32 s1, v7
	s_max_num_f32 s9, s0, s1
	s_wait_alu 0xfffe
	s_sub_f32 s35, s26, s9
	s_sub_f32 s36, s36, s9
	s_wait_alu 0xfffe
	s_delay_alu instid0(SALU_CYCLE_1)
	s_cmp_nlt_f32 s35, 0xc2ce8ed0
	s_cselect_b32 s0, -1, 0
	s_cmp_ngt_f32 s35, 0x42b17218
	s_cselect_b32 s1, -1, 0
	s_cmp_ge_f32 s35, 0xc1a00000
	s_cselect_b32 s2, -1, 0
	s_cmp_nlt_f32 s36, 0xc2ce8ed0
	s_cselect_b32 s3, -1, 0
	s_cmp_ngt_f32 s36, 0x42b17218
	s_cselect_b32 s4, -1, 0
	s_cmp_ge_f32 s36, 0xc1a00000
	s_cselect_b32 s5, -1, 0
	s_add_co_i32 s17, s43, s38
	s_wait_alu 0xfffe
	s_lshr_b32 s17, s17, s13
	s_wait_alu 0xfffe
	s_mul_i32 s27, s17, s14
	s_wait_alu 0xfffe
	s_cmp_eq_u32 s27, s38
	s_cselect_b32 s27, -1, 0
	s_cmp_lt_u32 s17, s12
	s_cselect_b32 s17, -1, 0
	s_wait_alu 0xfffe
	s_or_b32 s17, s17, s27
	s_mov_b32 s27, -1
	s_wait_alu 0xfffe
	s_and_b32 vcc_lo, exec_lo, s17
	s_mov_b32 s17, s34
	s_wait_alu 0xfffe
	s_cbranch_vccnz .LBB32_18
; %bb.17:                               ;   in Loop: Header=BB32_9 Depth=1
	s_add_co_i32 s17, s34, -1
	s_mov_b32 s27, 0
	s_mov_b32 s33, s38
.LBB32_18:                              ;   in Loop: Header=BB32_9 Depth=1
	v_lshl_add_u32 v6, s40, 9, v0
	s_mul_f32 s38, s36, 0x3fb8aa3b
	s_mul_f32 s39, s35, 0x3fb8aa3b
	s_wait_alu 0xfffe
	s_delay_alu instid0(SALU_CYCLE_1)
	s_xor_b32 s40, s38, 0x80000000
	v_ashrrev_i32_e32 v7, 31, v6
	s_rndne_f32 s41, s38
	s_wait_alu 0xfffe
	s_fmamk_f32 s40, s36, 0x3fb8aa3b, s40
	s_xor_b32 s42, s39, 0x80000000
	s_rndne_f32 s43, s39
	v_lshlrev_b64_e32 v[6:7], 2, v[6:7]
	s_sub_f32 s38, s38, s41
	s_wait_alu 0xfffe
	s_fmamk_f32 s36, s36, 0x32a5705f, s40
	s_fmamk_f32 s40, s35, 0x3fb8aa3b, s42
	s_sub_f32 s39, s39, s43
	v_add_co_u32 v6, vcc_lo, s24, v6
	s_wait_alu 0xfffd
	v_add_co_ci_u32_e64 v7, null, s25, v7, vcc_lo
	s_wait_alu 0xfffe
	s_add_f32 s36, s38, s36
	s_fmamk_f32 s35, s35, 0x32a5705f, s40
	s_cvt_i32_f32 s38, s41
	global_load_b32 v6, v[6:7], off
	s_wait_alu 0xfffe
	v_s_exp_f32 s36, s36
	s_add_f32 s35, s39, s35
	s_wait_alu 0xfffe
	s_delay_alu instid0(SALU_CYCLE_2) | instskip(NEXT) | instid1(TRANS32_DEP_2)
	v_s_exp_f32 s35, s35
	v_ldexp_f32 v7, s36, s38
	s_cvt_i32_f32 s36, s43
	s_wait_alu 0xf1fe
	s_delay_alu instid0(TRANS32_DEP_1) | instid1(SALU_CYCLE_2)
	v_ldexp_f32 v8, s35, s36
	s_delay_alu instid0(VALU_DEP_2) | instskip(NEXT) | instid1(VALU_DEP_2)
	v_cndmask_b32_e64 v7, 0, v7, s3
	v_cndmask_b32_e64 v8, 0, v8, s0
	s_delay_alu instid0(VALU_DEP_2) | instskip(NEXT) | instid1(VALU_DEP_2)
	v_cndmask_b32_e64 v7, 0x7f800000, v7, s4
	v_cndmask_b32_e64 v8, 0x7f800000, v8, s1
	;; [unrolled: 3-line block ×3, first 2 shown]
	s_wait_loadcnt 0x0
	s_delay_alu instid0(VALU_DEP_2) | instskip(SKIP_1) | instid1(VALU_DEP_1)
	v_mul_f32_e32 v6, v6, v7
	v_mul_f32_e32 v7, s37, v7
	v_fmac_f32_e32 v7, v5, v8
	s_delay_alu instid0(VALU_DEP_3)
	v_fmac_f32_e32 v6, v3, v8
	s_cbranch_execnz .LBB32_15
.LBB32_19:                              ;   in Loop: Header=BB32_9 Depth=1
	s_wait_loadcnt 0x0
	v_dual_mov_b32 v7, v5 :: v_dual_mov_b32 v6, v3
	s_add_co_i32 s17, s34, -1
	s_mov_b32 s33, s20
	s_mov_b32 s9, s26
	s_cbranch_execz .LBB32_23
.LBB32_20:                              ;   in Loop: Header=BB32_9 Depth=1
	v_mov_b32_e32 v5, v7
	s_wait_loadcnt 0x0
	v_mov_b32_e32 v3, v6
	s_mov_b32 s20, s33
	s_wait_alu 0xfffe
	s_mov_b32 s34, s17
	s_mov_b32 s26, s9
	s_branch .LBB32_9
.LBB32_21:
                                        ; implicit-def: $sgpr20_sgpr21
	s_branch .LBB32_2
.LBB32_22:
                                        ; implicit-def: $sgpr10_sgpr11
	s_load_b96 s[12:14], s[0:1], 0x44
	s_branch .LBB32_5
.LBB32_23:
	v_div_scale_f32 v0, null, v7, v7, v6
	s_wait_loadcnt 0x0
	s_delay_alu instid0(VALU_DEP_1) | instskip(NEXT) | instid1(TRANS32_DEP_1)
	v_rcp_f32_e32 v3, v0
	v_fma_f32 v4, -v0, v3, 1.0
	s_delay_alu instid0(VALU_DEP_1) | instskip(SKIP_1) | instid1(VALU_DEP_1)
	v_fmac_f32_e32 v3, v4, v3
	v_div_scale_f32 v4, vcc_lo, v6, v7, v6
	v_mul_f32_e32 v5, v4, v3
	s_delay_alu instid0(VALU_DEP_1) | instskip(NEXT) | instid1(VALU_DEP_1)
	v_fma_f32 v8, -v0, v5, v4
	v_fmac_f32_e32 v5, v8, v3
	s_delay_alu instid0(VALU_DEP_1) | instskip(SKIP_1) | instid1(VALU_DEP_1)
	v_fma_f32 v0, -v0, v5, v4
	s_wait_alu 0xfffd
	v_div_fmas_f32 v0, v0, v3, v5
	s_delay_alu instid0(VALU_DEP_1)
	v_div_fixup_f32 v0, v0, v7, v6
	global_store_b32 v[1:2], v0, off
.LBB32_24:
	s_endpgm
	.section	.rodata,"a",@progbits
	.p2align	6, 0x0
	.amdhsa_kernel _ZL33flash_attn_stream_k_fixup_generalILi128ELi1ELi4EEvPfPK15HIP_vector_typeIfLj2EEiiiiS1_IjLj3EES5_S5_S5_
		.amdhsa_group_segment_fixed_size 0
		.amdhsa_private_segment_fixed_size 0
		.amdhsa_kernarg_size 336
		.amdhsa_user_sgpr_count 2
		.amdhsa_user_sgpr_dispatch_ptr 0
		.amdhsa_user_sgpr_queue_ptr 0
		.amdhsa_user_sgpr_kernarg_segment_ptr 1
		.amdhsa_user_sgpr_dispatch_id 0
		.amdhsa_user_sgpr_private_segment_size 0
		.amdhsa_wavefront_size32 1
		.amdhsa_uses_dynamic_stack 0
		.amdhsa_enable_private_segment 0
		.amdhsa_system_sgpr_workgroup_id_x 1
		.amdhsa_system_sgpr_workgroup_id_y 1
		.amdhsa_system_sgpr_workgroup_id_z 1
		.amdhsa_system_sgpr_workgroup_info 0
		.amdhsa_system_vgpr_workitem_id 0
		.amdhsa_next_free_vgpr 9
		.amdhsa_next_free_sgpr 44
		.amdhsa_reserve_vcc 1
		.amdhsa_float_round_mode_32 0
		.amdhsa_float_round_mode_16_64 0
		.amdhsa_float_denorm_mode_32 3
		.amdhsa_float_denorm_mode_16_64 3
		.amdhsa_fp16_overflow 0
		.amdhsa_workgroup_processor_mode 1
		.amdhsa_memory_ordered 1
		.amdhsa_forward_progress 1
		.amdhsa_inst_pref_size 28
		.amdhsa_round_robin_scheduling 0
		.amdhsa_exception_fp_ieee_invalid_op 0
		.amdhsa_exception_fp_denorm_src 0
		.amdhsa_exception_fp_ieee_div_zero 0
		.amdhsa_exception_fp_ieee_overflow 0
		.amdhsa_exception_fp_ieee_underflow 0
		.amdhsa_exception_fp_ieee_inexact 0
		.amdhsa_exception_int_div_zero 0
	.end_amdhsa_kernel
	.section	.text._ZL33flash_attn_stream_k_fixup_generalILi128ELi1ELi4EEvPfPK15HIP_vector_typeIfLj2EEiiiiS1_IjLj3EES5_S5_S5_,"axG",@progbits,_ZL33flash_attn_stream_k_fixup_generalILi128ELi1ELi4EEvPfPK15HIP_vector_typeIfLj2EEiiiiS1_IjLj3EES5_S5_S5_,comdat
.Lfunc_end32:
	.size	_ZL33flash_attn_stream_k_fixup_generalILi128ELi1ELi4EEvPfPK15HIP_vector_typeIfLj2EEiiiiS1_IjLj3EES5_S5_S5_, .Lfunc_end32-_ZL33flash_attn_stream_k_fixup_generalILi128ELi1ELi4EEvPfPK15HIP_vector_typeIfLj2EEiiiiS1_IjLj3EES5_S5_S5_
                                        ; -- End function
	.set _ZL33flash_attn_stream_k_fixup_generalILi128ELi1ELi4EEvPfPK15HIP_vector_typeIfLj2EEiiiiS1_IjLj3EES5_S5_S5_.num_vgpr, 9
	.set _ZL33flash_attn_stream_k_fixup_generalILi128ELi1ELi4EEvPfPK15HIP_vector_typeIfLj2EEiiiiS1_IjLj3EES5_S5_S5_.num_agpr, 0
	.set _ZL33flash_attn_stream_k_fixup_generalILi128ELi1ELi4EEvPfPK15HIP_vector_typeIfLj2EEiiiiS1_IjLj3EES5_S5_S5_.numbered_sgpr, 44
	.set _ZL33flash_attn_stream_k_fixup_generalILi128ELi1ELi4EEvPfPK15HIP_vector_typeIfLj2EEiiiiS1_IjLj3EES5_S5_S5_.num_named_barrier, 0
	.set _ZL33flash_attn_stream_k_fixup_generalILi128ELi1ELi4EEvPfPK15HIP_vector_typeIfLj2EEiiiiS1_IjLj3EES5_S5_S5_.private_seg_size, 0
	.set _ZL33flash_attn_stream_k_fixup_generalILi128ELi1ELi4EEvPfPK15HIP_vector_typeIfLj2EEiiiiS1_IjLj3EES5_S5_S5_.uses_vcc, 1
	.set _ZL33flash_attn_stream_k_fixup_generalILi128ELi1ELi4EEvPfPK15HIP_vector_typeIfLj2EEiiiiS1_IjLj3EES5_S5_S5_.uses_flat_scratch, 0
	.set _ZL33flash_attn_stream_k_fixup_generalILi128ELi1ELi4EEvPfPK15HIP_vector_typeIfLj2EEiiiiS1_IjLj3EES5_S5_S5_.has_dyn_sized_stack, 0
	.set _ZL33flash_attn_stream_k_fixup_generalILi128ELi1ELi4EEvPfPK15HIP_vector_typeIfLj2EEiiiiS1_IjLj3EES5_S5_S5_.has_recursion, 0
	.set _ZL33flash_attn_stream_k_fixup_generalILi128ELi1ELi4EEvPfPK15HIP_vector_typeIfLj2EEiiiiS1_IjLj3EES5_S5_S5_.has_indirect_call, 0
	.section	.AMDGPU.csdata,"",@progbits
; Kernel info:
; codeLenInByte = 3556
; TotalNumSgprs: 46
; NumVgprs: 9
; ScratchSize: 0
; MemoryBound: 0
; FloatMode: 240
; IeeeMode: 1
; LDSByteSize: 0 bytes/workgroup (compile time only)
; SGPRBlocks: 0
; VGPRBlocks: 1
; NumSGPRsForWavesPerEU: 46
; NumVGPRsForWavesPerEU: 9
; Occupancy: 16
; WaveLimiterHint : 0
; COMPUTE_PGM_RSRC2:SCRATCH_EN: 0
; COMPUTE_PGM_RSRC2:USER_SGPR: 2
; COMPUTE_PGM_RSRC2:TRAP_HANDLER: 0
; COMPUTE_PGM_RSRC2:TGID_X_EN: 1
; COMPUTE_PGM_RSRC2:TGID_Y_EN: 1
; COMPUTE_PGM_RSRC2:TGID_Z_EN: 1
; COMPUTE_PGM_RSRC2:TIDIG_COMP_CNT: 0
	.section	.text._ZL15flash_attn_tileILi128ELi128ELi32ELi2ELb0EEvPKcS1_S1_S1_S1_PKiPfP15HIP_vector_typeIfLj2EEffffjfiS5_IjLj3EEiiiiiiiiiiiliiliiiiil,"axG",@progbits,_ZL15flash_attn_tileILi128ELi128ELi32ELi2ELb0EEvPKcS1_S1_S1_S1_PKiPfP15HIP_vector_typeIfLj2EEffffjfiS5_IjLj3EEiiiiiiiiiiiliiliiiiil,comdat
	.globl	_ZL15flash_attn_tileILi128ELi128ELi32ELi2ELb0EEvPKcS1_S1_S1_S1_PKiPfP15HIP_vector_typeIfLj2EEffffjfiS5_IjLj3EEiiiiiiiiiiiliiliiiiil ; -- Begin function _ZL15flash_attn_tileILi128ELi128ELi32ELi2ELb0EEvPKcS1_S1_S1_S1_PKiPfP15HIP_vector_typeIfLj2EEffffjfiS5_IjLj3EEiiiiiiiiiiiliiliiiiil
	.p2align	8
	.type	_ZL15flash_attn_tileILi128ELi128ELi32ELi2ELb0EEvPKcS1_S1_S1_S1_PKiPfP15HIP_vector_typeIfLj2EEffffjfiS5_IjLj3EEiiiiiiiiiiiliiliiiiil,@function
_ZL15flash_attn_tileILi128ELi128ELi32ELi2ELb0EEvPKcS1_S1_S1_S1_PKiPfP15HIP_vector_typeIfLj2EEffffjfiS5_IjLj3EEiiiiiiiiiiiliiliiiiil: ; @_ZL15flash_attn_tileILi128ELi128ELi32ELi2ELb0EEvPKcS1_S1_S1_S1_PKiPfP15HIP_vector_typeIfLj2EEffffjfiS5_IjLj3EEiiiiiiiiiiiliiliiiiil
; %bb.0:
	s_clause 0x1
	s_load_b128 s[28:31], s[0:1], 0x5c
	s_load_b64 s[38:39], s[0:1], 0x80
	s_lshr_b32 s5, ttmp7, 16
	s_clause 0x1
	s_load_b512 s[12:27], s[0:1], 0x0
	s_load_b64 s[8:9], s[0:1], 0xb8
	s_mov_b64 s[40:41], 0
	s_wait_kmcnt 0x0
	s_lshr_b32 s2, s31, 31
	s_delay_alu instid0(SALU_CYCLE_1) | instskip(NEXT) | instid1(SALU_CYCLE_1)
	s_add_co_i32 s2, s31, s2
	s_ashr_i32 s2, s2, 1
	s_delay_alu instid0(SALU_CYCLE_1) | instskip(SKIP_1) | instid1(SALU_CYCLE_2)
	s_cvt_f32_u32 s3, s2
	s_sub_co_i32 s4, 0, s2
	v_rcp_iflag_f32_e32 v1, s3
	s_delay_alu instid0(TRANS32_DEP_1) | instskip(SKIP_2) | instid1(SALU_CYCLE_2)
	v_readfirstlane_b32 s3, v1
	s_mul_f32 s3, s3, 0x4f7ffffe
	s_wait_alu 0xfffe
	s_cvt_u32_f32 s3, s3
	s_wait_alu 0xfffe
	s_delay_alu instid0(SALU_CYCLE_2) | instskip(NEXT) | instid1(SALU_CYCLE_1)
	s_mul_i32 s4, s4, s3
	s_mul_hi_u32 s4, s3, s4
	s_delay_alu instid0(SALU_CYCLE_1)
	s_add_co_i32 s3, s3, s4
	s_wait_alu 0xfffe
	s_mul_hi_u32 s3, s5, s3
	s_wait_alu 0xfffe
	s_mul_i32 s4, s3, s2
	s_add_co_i32 s6, s3, 1
	s_sub_co_i32 s4, s5, s4
	s_delay_alu instid0(SALU_CYCLE_1)
	s_sub_co_i32 s7, s4, s2
	s_cmp_ge_u32 s4, s2
	s_cselect_b32 s3, s6, s3
	s_cselect_b32 s4, s7, s4
	s_wait_alu 0xfffe
	s_add_co_i32 s6, s3, 1
	s_cmp_ge_u32 s4, s2
	s_cselect_b32 s36, s6, s3
	s_abs_i32 s2, s39
	s_abs_i32 s7, s31
	s_wait_alu 0xfffe
	s_cvt_f32_u32 s3, s2
	s_sub_co_i32 s4, 0, s2
	s_lshl_b32 s5, s5, 1
	s_mul_i32 s6, s36, s31
	s_wait_alu 0xfffe
	v_rcp_iflag_f32_e32 v1, s3
	s_sub_co_i32 s34, s5, s6
	s_delay_alu instid0(TRANS32_DEP_1) | instskip(SKIP_2) | instid1(SALU_CYCLE_2)
	v_readfirstlane_b32 s3, v1
	s_mul_f32 s3, s3, 0x4f7ffffe
	s_wait_alu 0xfffe
	s_cvt_u32_f32 s3, s3
	s_wait_alu 0xfffe
	s_delay_alu instid0(SALU_CYCLE_2) | instskip(NEXT) | instid1(SALU_CYCLE_1)
	s_mul_i32 s4, s4, s3
	s_mul_hi_u32 s4, s3, s4
	s_delay_alu instid0(SALU_CYCLE_1)
	s_add_co_i32 s3, s3, s4
	s_xor_b32 s4, s31, s39
	s_wait_alu 0xfffe
	s_mul_hi_u32 s3, s7, s3
	s_ashr_i32 s4, s4, 31
	s_wait_alu 0xfffe
	s_mul_i32 s5, s3, s2
	s_add_co_i32 s6, s3, 1
	s_sub_co_i32 s5, s7, s5
	s_delay_alu instid0(SALU_CYCLE_1)
	s_sub_co_i32 s7, s5, s2
	s_cmp_ge_u32 s5, s2
	s_cselect_b32 s3, s6, s3
	s_cselect_b32 s5, s7, s5
	s_wait_alu 0xfffe
	s_add_co_i32 s6, s3, 1
	s_cmp_ge_u32 s5, s2
	s_cselect_b32 s2, s6, s3
	s_mov_b32 s3, 0
	s_wait_alu 0xfffe
	s_xor_b32 s2, s2, s4
	s_wait_alu 0xfffe
	s_sub_co_i32 s35, s2, s4
	s_delay_alu instid0(SALU_CYCLE_1) | instskip(SKIP_3) | instid1(SALU_CYCLE_2)
	s_abs_i32 s33, s35
	s_cmp_eq_u64 s[18:19], 0
	s_cvt_f32_u32 s2, s33
	s_wait_alu 0xfffe
	v_rcp_iflag_f32_e32 v1, s2
	s_delay_alu instid0(TRANS32_DEP_1)
	v_readfirstlane_b32 s2, v1
	s_cbranch_scc1 .LBB33_2
; %bb.1:
	s_abs_i32 s6, s8
	s_delay_alu instid0(SALU_CYCLE_1) | instskip(NEXT) | instid1(SALU_CYCLE_3)
	s_cvt_f32_u32 s4, s6
	v_rcp_iflag_f32_e32 v1, s4
	s_delay_alu instid0(TRANS32_DEP_1) | instskip(SKIP_2) | instid1(SALU_CYCLE_2)
	v_readfirstlane_b32 s4, v1
	s_mul_f32 s4, s4, 0x4f7ffffe
	s_wait_alu 0xfffe
	s_cvt_u32_f32 s7, s4
	s_sub_co_i32 s4, 0, s6
	s_wait_alu 0xfffe
	s_delay_alu instid0(SALU_CYCLE_1) | instskip(SKIP_4) | instid1(SALU_CYCLE_1)
	s_mul_i32 s4, s4, s7
	s_wait_alu 0xfffe
	s_mul_hi_u32 s8, s7, s4
	s_load_b64 s[4:5], s[0:1], 0xc8
	s_add_co_i32 s7, s7, s8
	s_mul_hi_u32 s7, s36, s7
	s_delay_alu instid0(SALU_CYCLE_1) | instskip(NEXT) | instid1(SALU_CYCLE_1)
	s_mul_i32 s7, s7, s6
	s_sub_co_i32 s7, s36, s7
	s_delay_alu instid0(SALU_CYCLE_1) | instskip(SKIP_2) | instid1(SALU_CYCLE_1)
	s_sub_co_i32 s8, s7, s6
	s_cmp_ge_u32 s7, s6
	s_cselect_b32 s7, s8, s7
	s_sub_co_i32 s8, s7, s6
	s_cmp_ge_u32 s7, s6
	s_cselect_b32 s6, s8, s7
	s_delay_alu instid0(SALU_CYCLE_1)
	s_ashr_i32 s7, s6, 31
	s_wait_kmcnt 0x0
	s_mul_u64 s[4:5], s[4:5], s[6:7]
	s_wait_alu 0xfffe
	s_add_nc_u64 s[40:41], s[18:19], s[4:5]
.LBB33_2:
	v_bfe_u32 v1, v0, 10, 10
	s_lshl_b32 s19, ttmp9, 5
	v_and_b32_e32 v39, 0x3ff, v0
	s_load_b96 s[4:6], s[0:1], 0x70
	s_delay_alu instid0(VALU_DEP_2) | instskip(SKIP_1) | instid1(VALU_DEP_3)
	v_lshlrev_b32_e32 v18, 3, v1
	v_lshlrev_b32_e32 v24, 2, v1
	;; [unrolled: 1-line block ×3, first 2 shown]
	s_delay_alu instid0(VALU_DEP_3) | instskip(NEXT) | instid1(VALU_DEP_3)
	v_or_b32_e32 v36, 2, v18
	v_add_nc_u32_e32 v25, s19, v24
	v_or_b32_e32 v56, 3, v18
	v_or_b32_e32 v57, 4, v18
	;; [unrolled: 1-line block ×3, first 2 shown]
	v_lshrrev_b32_e32 v33, 1, v36
	v_mul_hi_u32 v3, v25, s28
	v_lshrrev_b32_e32 v37, 1, v56
	v_lshrrev_b32_e32 v32, 1, v57
	;; [unrolled: 1-line block ×3, first 2 shown]
	v_add_nc_u32_e32 v35, s19, v33
	v_or_b32_e32 v59, 6, v18
	v_add_nc_u32_e32 v38, s19, v37
	s_wait_kmcnt 0x0
	s_ashr_i32 s45, s4, 31
	v_add_nc_u32_e32 v0, v25, v3
	v_mul_hi_u32 v3, v35, s28
	s_mov_b32 s44, s4
	v_mul_hi_u32 v6, v38, s28
	s_mul_i32 s10, s36, s6
	v_lshrrev_b32_e32 v0, s29, v0
	s_lshr_b64 s[6:7], s[44:45], 2
	s_lshr_b32 s7, s45, 2
	v_add_nc_u32_e32 v34, s19, v32
	v_add_nc_u32_e32 v3, v35, v3
	v_mul_lo_u32 v0, v0, s30
	v_add_nc_u32_e32 v7, v38, v6
	s_mul_i32 s42, s34, s5
	s_ashr_i32 s11, s10, 31
	v_lshrrev_b32_e32 v3, s29, v3
	s_ashr_i32 s47, s5, 31
	v_lshrrev_b32_e32 v10, s29, v7
	s_and_b32 s46, s5, -4
	v_sub_nc_u32_e32 v0, v25, v0
	v_mul_lo_u32 v5, v3, s30
	s_ashr_i32 s43, s42, 31
	s_add_nc_u64 s[4:5], s[12:13], s[10:11]
	v_add_nc_u32_e32 v31, s19, v29
	v_mad_co_u64_u32 v[3:4], null, s6, v0, 0
	s_wait_alu 0xfffe
	s_add_nc_u64 s[4:5], s[4:5], s[42:43]
	v_lshrrev_b32_e32 v26, 1, v59
	v_sub_nc_u32_e32 v9, v35, v5
	s_wait_alu 0xfffe
	s_add_nc_u64 s[10:11], s[4:5], s[46:47]
	v_mul_hi_u32 v19, v31, s28
	v_or_b32_e32 v60, 7, v18
	v_add_nc_u32_e32 v30, s19, v26
	v_mad_co_u64_u32 v[5:6], null, s6, v9, 0
	s_cmp_eq_u64 s[22:23], 0
	v_lshrrev_b32_e32 v27, 1, v60
	s_delay_alu instid0(VALU_DEP_1) | instskip(SKIP_3) | instid1(VALU_DEP_4)
	v_add_nc_u32_e32 v28, s19, v27
	v_mad_co_u64_u32 v[7:8], null, s7, v0, v[4:5]
	v_mul_lo_u32 v8, v10, s30
	v_mul_hi_u32 v10, v34, s28
	v_mul_hi_u32 v21, v28, s28
	s_delay_alu instid0(VALU_DEP_4) | instskip(SKIP_3) | instid1(VALU_DEP_4)
	v_mov_b32_e32 v4, v7
	v_mad_co_u64_u32 v[6:7], null, s7, v9, v[6:7]
	v_sub_nc_u32_e32 v16, v38, v8
	v_add_nc_u32_e32 v7, v34, v10
	v_lshlrev_b64_e32 v[3:4], 2, v[3:4]
	v_add_nc_u32_e32 v23, v28, v21
	s_delay_alu instid0(VALU_DEP_4) | instskip(NEXT) | instid1(VALU_DEP_4)
	v_mad_co_u64_u32 v[12:13], null, s6, v16, 0
	v_lshrrev_b32_e32 v20, s29, v7
	s_delay_alu instid0(VALU_DEP_4) | instskip(NEXT) | instid1(VALU_DEP_1)
	v_add_co_u32 v8, vcc_lo, s4, v3
	v_add_co_ci_u32_e64 v9, null, s5, v4, vcc_lo
	v_add_co_u32 v10, vcc_lo, s10, v3
	s_wait_alu 0xfffd
	v_add_co_ci_u32_e64 v11, null, s11, v4, vcc_lo
	v_add_co_u32 v3, vcc_lo, v8, v2
	s_wait_alu 0xfffd
	;; [unrolled: 3-line block ×3, first 2 shown]
	v_add_co_ci_u32_e64 v9, null, 0, v11, vcc_lo
	v_lshlrev_b64_e32 v[14:15], 2, v[5:6]
	s_clause 0x1
	global_load_b128 v[4:7], v[3:4], off
	global_load_b128 v[8:11], v[8:9], off
	v_mul_lo_u32 v3, v20, s30
	v_lshrrev_b32_e32 v23, s29, v23
	v_mad_co_u64_u32 v[16:17], null, s7, v16, v[13:14]
	v_add_nc_u32_e32 v13, v31, v19
	v_mul_hi_u32 v19, v30, s28
	v_add_co_u32 v17, vcc_lo, s4, v14
	v_sub_nc_u32_e32 v20, v34, v3
	s_delay_alu instid0(VALU_DEP_4)
	v_lshrrev_b32_e32 v3, s29, v13
	s_wait_alu 0xfffd
	v_add_co_ci_u32_e64 v18, null, s5, v15, vcc_lo
	v_mov_b32_e32 v13, v16
	v_mad_co_u64_u32 v[14:15], null, s6, v20, 0
	v_mul_lo_u32 v3, v3, s30
	v_add_nc_u32_e32 v19, v30, v19
	v_add_co_u32 v16, vcc_lo, v17, v2
	s_wait_alu 0xfffd
	v_add_co_ci_u32_e64 v17, null, 0, v18, vcc_lo
	v_lshlrev_b64_e32 v[12:13], 2, v[12:13]
	v_sub_nc_u32_e32 v22, v31, v3
	v_mov_b32_e32 v3, v15
	v_lshrrev_b32_e32 v15, s29, v19
	s_delay_alu instid0(VALU_DEP_4) | instskip(NEXT) | instid1(VALU_DEP_4)
	v_add_co_u32 v40, vcc_lo, s10, v12
	v_mad_co_u64_u32 v[18:19], null, s6, v22, 0
	s_wait_alu 0xfffd
	v_add_co_ci_u32_e64 v41, null, s11, v13, vcc_lo
	s_wait_loadcnt 0x1
	v_mad_co_u64_u32 v[20:21], null, s7, v20, v[3:4]
	v_mul_lo_u32 v21, v15, s30
	s_delay_alu instid0(VALU_DEP_4) | instskip(SKIP_1) | instid1(VALU_DEP_4)
	v_mov_b32_e32 v3, v19
	v_mul_lo_u32 v19, v23, s30
	v_mov_b32_e32 v15, v20
	s_delay_alu instid0(VALU_DEP_3) | instskip(SKIP_2) | instid1(VALU_DEP_4)
	v_mad_co_u64_u32 v[12:13], null, s7, v22, v[3:4]
	v_sub_nc_u32_e32 v42, v30, v21
	v_add_co_u32 v22, vcc_lo, v40, v2
	v_lshlrev_b64_e32 v[13:14], 2, v[14:15]
	s_wait_alu 0xfffd
	v_add_co_ci_u32_e64 v23, null, 0, v41, vcc_lo
	v_mad_co_u64_u32 v[20:21], null, s6, v42, 0
	s_delay_alu instid0(VALU_DEP_1) | instskip(NEXT) | instid1(VALU_DEP_4)
	v_mov_b32_e32 v3, v21
	v_add_co_u32 v21, vcc_lo, s4, v13
	s_wait_alu 0xfffd
	v_add_co_ci_u32_e64 v41, null, s5, v14, vcc_lo
	s_delay_alu instid0(VALU_DEP_3) | instskip(NEXT) | instid1(VALU_DEP_3)
	v_mad_co_u64_u32 v[14:15], null, s7, v42, v[3:4]
	v_add_co_u32 v40, vcc_lo, v21, v2
	s_wait_alu 0xfffd
	s_delay_alu instid0(VALU_DEP_3) | instskip(NEXT) | instid1(VALU_DEP_3)
	v_add_co_ci_u32_e64 v41, null, 0, v41, vcc_lo
	v_mov_b32_e32 v21, v14
	v_sub_nc_u32_e32 v43, v28, v19
	v_mov_b32_e32 v19, v12
	s_delay_alu instid0(VALU_DEP_3) | instskip(NEXT) | instid1(VALU_DEP_3)
	v_lshlrev_b64_e32 v[20:21], 2, v[20:21]
	v_mad_co_u64_u32 v[48:49], null, s6, v43, 0
	s_delay_alu instid0(VALU_DEP_3) | instskip(NEXT) | instid1(VALU_DEP_2)
	v_lshlrev_b64_e32 v[12:13], 2, v[18:19]
	v_mov_b32_e32 v3, v49
	s_delay_alu instid0(VALU_DEP_1) | instskip(NEXT) | instid1(VALU_DEP_3)
	v_mad_co_u64_u32 v[18:19], null, s7, v43, v[3:4]
	v_add_co_u32 v3, vcc_lo, s10, v12
	s_wait_alu 0xfffd
	s_delay_alu instid0(VALU_DEP_4) | instskip(NEXT) | instid1(VALU_DEP_2)
	v_add_co_ci_u32_e64 v12, null, s11, v13, vcc_lo
	v_add_co_u32 v44, vcc_lo, v3, v2
	s_delay_alu instid0(VALU_DEP_4) | instskip(SKIP_1) | instid1(VALU_DEP_3)
	v_mov_b32_e32 v49, v18
	s_wait_alu 0xfffd
	v_add_co_ci_u32_e64 v45, null, 0, v12, vcc_lo
	s_clause 0x3
	global_load_b128 v[12:15], v[16:17], off
	global_load_b128 v[16:19], v[22:23], off
	;; [unrolled: 1-line block ×4, first 2 shown]
	v_add_co_u32 v3, vcc_lo, s4, v20
	v_lshlrev_b64_e32 v[22:23], 2, v[48:49]
	s_wait_alu 0xfffd
	v_add_co_ci_u32_e64 v21, null, s5, v21, vcc_lo
	s_load_b32 s4, s[0:1], 0x40
	v_add_co_u32 v22, vcc_lo, s10, v22
	s_wait_alu 0xfffd
	v_add_co_ci_u32_e64 v23, null, s11, v23, vcc_lo
	v_add_co_u32 v20, vcc_lo, v3, v2
	s_wait_alu 0xfffd
	v_add_co_ci_u32_e64 v21, null, 0, v21, vcc_lo
	;; [unrolled: 3-line block ×3, first 2 shown]
	s_clause 0x1
	global_load_b128 v[48:51], v[20:21], off
	global_load_b128 v[52:55], v[22:23], off
	v_lshlrev_b32_e32 v3, 3, v39
	v_lshlrev_b32_e32 v20, 11, v1
	s_wait_kmcnt 0x0
	v_fma_mixlo_f16 v4, s4, v4, 0
	v_fma_mixlo_f16 v5, s4, v5, 0
	v_fma_mixlo_f16 v6, s4, v6, 0
	v_fma_mixlo_f16 v7, s4, v7, 0
	s_wait_loadcnt 0x6
	v_fma_mixlo_f16 v8, s4, v8, 0
	v_fma_mixlo_f16 v9, s4, v9, 0
	;; [unrolled: 1-line block ×4, first 2 shown]
	v_lshlrev_b32_e32 v5, 16, v5
	v_and_b32_e32 v4, 0xffff, v4
	v_lshlrev_b32_e32 v7, 16, v7
	v_and_b32_e32 v6, 0xffff, v6
	;; [unrolled: 2-line block ×4, first 2 shown]
	v_or_b32_e32 v4, v5, v4
	v_or3_b32 v5, v7, v6, 0
	v_or_b32_e32 v6, v9, v8
	v_add_nc_u32_e32 v21, v3, v20
	v_or3_b32 v7, v11, v10, 0
	v_or3_b32 v4, 0, 0, v4
	v_lshl_add_u32 v22, v36, 8, v3
	v_or3_b32 v6, 0, 0, v6
	v_lshl_add_u32 v23, v56, 8, v3
	v_lshl_add_u32 v36, v57, 8, v3
	;; [unrolled: 1-line block ×4, first 2 shown]
	ds_store_2addr_b64 v21, v[4:5], v[6:7] offset1:32
	v_lshl_add_u32 v58, v60, 8, v3
	s_wait_loadcnt 0x5
	v_fma_mixlo_f16 v8, s4, v12, 0
	v_fma_mixlo_f16 v9, s4, v13, 0
	s_wait_loadcnt 0x4
	v_fma_mixlo_f16 v12, s4, v16, 0
	v_fma_mixlo_f16 v13, s4, v17, 0
	;; [unrolled: 3-line block ×3, first 2 shown]
	v_fma_mixlo_f16 v10, s4, v14, 0
	v_fma_mixlo_f16 v11, s4, v15, 0
	s_wait_loadcnt 0x2
	v_fma_mixlo_f16 v40, s4, v44, 0
	v_fma_mixlo_f16 v41, s4, v45, 0
	v_fma_mixlo_f16 v14, s4, v18, 0
	v_fma_mixlo_f16 v15, s4, v19, 0
	v_lshlrev_b32_e32 v9, 16, v9
	v_and_b32_e32 v8, 0xffff, v8
	v_lshlrev_b32_e32 v13, 16, v13
	v_and_b32_e32 v12, 0xffff, v12
	v_fma_mixlo_f16 v18, s4, v42, 0
	v_fma_mixlo_f16 v19, s4, v43, 0
	v_lshlrev_b32_e32 v17, 16, v17
	v_and_b32_e32 v16, 0xffff, v16
	v_fma_mixlo_f16 v42, s4, v46, 0
	v_fma_mixlo_f16 v43, s4, v47, 0
	v_lshlrev_b32_e32 v11, 16, v11
	v_and_b32_e32 v10, 0xffff, v10
	v_lshlrev_b32_e32 v41, 16, v41
	s_wait_loadcnt 0x1
	v_fma_mixlo_f16 v44, s4, v48, 0
	v_fma_mixlo_f16 v45, s4, v49, 0
	s_wait_loadcnt 0x0
	v_fma_mixlo_f16 v48, s4, v52, 0
	v_fma_mixlo_f16 v49, s4, v53, 0
	v_and_b32_e32 v40, 0xffff, v40
	v_fma_mixlo_f16 v46, s4, v50, 0
	v_fma_mixlo_f16 v47, s4, v51, 0
	v_lshlrev_b32_e32 v45, 16, v45
	v_and_b32_e32 v44, 0xffff, v44
	v_fma_mixlo_f16 v50, s4, v54, 0
	v_fma_mixlo_f16 v51, s4, v55, 0
	v_lshlrev_b32_e32 v15, 16, v15
	v_and_b32_e32 v14, 0xffff, v14
	v_lshlrev_b32_e32 v49, 16, v49
	v_and_b32_e32 v48, 0xffff, v48
	v_or_b32_e32 v4, v9, v8
	v_or_b32_e32 v6, v13, v12
	v_lshlrev_b32_e32 v19, 16, v19
	v_and_b32_e32 v18, 0xffff, v18
	v_or_b32_e32 v8, v17, v16
	v_lshlrev_b32_e32 v43, 16, v43
	v_and_b32_e32 v42, 0xffff, v42
	v_or3_b32 v5, v11, v10, 0
	v_or_b32_e32 v10, v41, v40
	v_lshlrev_b32_e32 v47, 16, v47
	v_and_b32_e32 v46, 0xffff, v46
	v_or_b32_e32 v12, v45, v44
	v_lshlrev_b32_e32 v51, 16, v51
	v_and_b32_e32 v50, 0xffff, v50
	v_or3_b32 v7, v15, v14, 0
	v_or_b32_e32 v14, v49, v48
	v_or3_b32 v4, 0, 0, v4
	v_or3_b32 v6, 0, 0, v6
	;; [unrolled: 1-line block ×10, first 2 shown]
	ds_store_b64 v22, v[4:5]
	ds_store_b64 v23, v[6:7]
	;; [unrolled: 1-line block ×6, first 2 shown]
	s_wait_dscnt 0x0
	s_barrier_signal -1
	s_barrier_wait -1
	global_inv scope:SCOPE_SE
	s_cbranch_scc1 .LBB33_4
; %bb.3:
	s_load_b32 s4, s[0:1], 0xd0
	s_mov_b32 s5, 0
	s_wait_kmcnt 0x0
	s_mul_i32 s4, s4, s36
	s_wait_alu 0xfffe
	s_add_co_i32 s4, s4, ttmp9
	s_wait_alu 0xfffe
	s_lshl_b64 s[4:5], s[4:5], 2
	s_wait_alu 0xfffe
	s_add_nc_u64 s[4:5], s[22:23], s[4:5]
	s_load_b32 s38, s[4:5], 0x0
.LBB33_4:
	s_and_b32 s18, ttmp7, 0xffff
	v_mbcnt_lo_u32_b32 v23, -1, 0
	s_wait_alu 0xfffe
	s_lshl_b32 s22, s18, 6
	s_wait_kmcnt 0x0
	s_cmp_lt_i32 s22, s38
	s_cbranch_scc1 .LBB33_7
; %bb.5:
	v_mbcnt_lo_u32_b32 v9, -1, 0
	v_mov_b32_e32 v8, 32
	s_delay_alu instid0(VALU_DEP_2)
	v_xor_b32_e32 v43, 16, v9
	v_xor_b32_e32 v41, 8, v9
	;; [unrolled: 1-line block ×5, first 2 shown]
	v_lshlrev_b32_e32 v36, 2, v39
	s_mov_b32 s37, 0
	s_cbranch_execz .LBB33_8
; %bb.6:
	v_dual_mov_b32 v82, 0 :: v_dual_mov_b32 v7, 0xfeffffff
	v_dual_mov_b32 v42, 0 :: v_dual_mov_b32 v5, 0xfeffffff
	v_dual_mov_b32 v6, 0xfeffffff :: v_dual_mov_b32 v3, 0xfeffffff
	v_dual_mov_b32 v4, 0xfeffffff :: v_dual_mov_b32 v1, 0xfeffffff
	v_dual_mov_b32 v2, 0xfeffffff :: v_dual_mov_b32 v45, 0
	v_dual_mov_b32 v0, 0xfeffffff :: v_dual_mov_b32 v47, 0
	v_dual_mov_b32 v44, 0 :: v_dual_mov_b32 v49, 0
	v_dual_mov_b32 v46, 0 :: v_dual_mov_b32 v83, 0
	v_dual_mov_b32 v48, 0 :: v_dual_mov_b32 v81, 0
	v_dual_mov_b32 v50, 0 :: v_dual_mov_b32 v79, 0
	v_dual_mov_b32 v80, 0 :: v_dual_mov_b32 v77, 0
	v_dual_mov_b32 v78, 0 :: v_dual_mov_b32 v75, 0
	v_dual_mov_b32 v76, 0 :: v_dual_mov_b32 v73, 0
	v_dual_mov_b32 v74, 0 :: v_dual_mov_b32 v71, 0
	v_dual_mov_b32 v72, 0 :: v_dual_mov_b32 v69, 0
	v_mov_b32_e32 v70, 0
	v_mov_b32_e32 v68, 0
	s_branch .LBB33_11
.LBB33_7:
                                        ; implicit-def: $vgpr9
                                        ; implicit-def: $vgpr8
                                        ; implicit-def: $vgpr43
                                        ; implicit-def: $vgpr41
                                        ; implicit-def: $vgpr40
                                        ; implicit-def: $vgpr22
                                        ; implicit-def: $vgpr21
	v_lshlrev_b32_e32 v36, 2, v39
	s_mov_b32 s37, 0
.LBB33_8:
	s_mul_f32 s2, s2, 0x4f7ffffe
	s_sub_co_i32 s12, 0, s33
	v_lshrrev_b32_e32 v13, 4, v39
	v_dual_mov_b32 v81, 0 :: v_dual_and_b32 v18, 60, v36
	s_wait_alu 0xfffe
	s_cvt_u32_f32 s8, s2
	s_abs_i32 s2, s34
	s_mov_b32 s13, s3
	v_lshl_add_u32 v13, v1, 1, v13
	s_mul_i32 s12, s12, s8
	v_dual_mov_b32 v83, 0 :: v_dual_lshlrev_b32 v16, 2, v18
	s_mul_hi_u32 s12, s8, s12
	v_dual_mov_b32 v71, 0 :: v_dual_add_nc_u32 v8, 1, v25
	s_add_co_i32 s12, s8, s12
	v_lshrrev_b32_e32 v4, 3, v39
	s_wait_alu 0xfffe
	s_mul_u64 s[12:13], s[2:3], s[12:13]
	s_ashr_i32 s12, s9, 1
	v_dual_mov_b32 v69, 0 :: v_dual_and_b32 v14, 28, v36
	v_add_nc_u32_e32 v9, 2, v25
	v_dual_mov_b32 v75, 0 :: v_dual_add_nc_u32 v10, 3, v25
	v_mul_lo_u32 v54, v0, s12
	v_lshl_or_b32 v0, v13, 8, v16
	v_mul_hi_u32 v6, s28, v8
	v_dual_mov_b32 v73, 0 :: v_dual_add_nc_u32 v4, v4, v24
	v_dual_mov_b32 v68, 0 :: v_dual_lshlrev_b32 v5, 2, v14
	v_mul_hi_u32 v11, s28, v10
	v_dual_mov_b32 v76, 0 :: v_dual_add_nc_u32 v59, 0x4000, v0
	v_dual_mov_b32 v49, 0 :: v_dual_add_nc_u32 v60, 0x5000, v0
	v_mov_b32_e32 v0, 0xfeffffff
	v_mul_hi_u32 v7, s28, v9
	s_clause 0x1
	s_load_b128 s[4:7], s[0:1], 0x98
	s_load_b64 s[10:11], s[0:1], 0x8c
	v_mad_u32_u24 v12, 0x90, v4, v5
	v_dual_mov_b32 v70, 0 :: v_dual_add_nc_u32 v5, v8, v6
	v_mov_b32_e32 v74, 0
	s_ashr_i32 s23, s34, 31
	s_ashr_i32 s3, s35, 31
	v_dual_mov_b32 v77, 0 :: v_dual_add_nc_u32 v6, v9, v7
	v_add_nc_u32_e32 v7, v10, v11
	v_lshrrev_b32_e32 v11, s29, v5
	s_wait_alu 0xfffe
	s_xor_b32 s8, s23, s3
	s_mul_i32 s3, s13, s33
	v_dual_mov_b32 v72, 0 :: v_dual_add_nc_u32 v51, 0x4000, v12
	v_lshrrev_b32_e32 v7, s29, v7
	v_mul_lo_u32 v11, v11, s30
	v_dual_mov_b32 v79, 0 :: v_dual_add_nc_u32 v52, 0x5200, v12
	v_lshrrev_b32_e32 v12, s29, v6
	s_delay_alu instid0(VALU_DEP_4)
	v_mul_lo_u32 v15, v7, s30
	s_load_b64 s[46:47], s[0:1], 0xa8
	s_sub_co_i32 s2, s2, s3
	s_wait_kmcnt 0x0
	s_ashr_i32 s42, s6, 2
	s_ashr_i32 s44, s10, 2
	s_add_co_i32 s9, s13, 1
	s_wait_alu 0xfffe
	s_sub_co_i32 s3, s2, s33
	s_cmp_ge_u32 s2, s33
	v_mul_lo_u32 v4, s44, v4
	v_mul_lo_u32 v12, v12, s30
	v_sub_nc_u32_e32 v11, v8, v11
	v_mul_lo_u32 v8, s42, v13
	s_cselect_b32 s6, s9, s13
	s_wait_alu 0xfffe
	s_cselect_b32 s2, s3, s2
	v_sub_nc_u32_e32 v10, v10, v15
	s_add_co_i32 s9, s6, 1
	s_wait_alu 0xfffe
	s_cmp_ge_u32 s2, s33
	v_lshl_add_u32 v6, s44, 5, v4
	s_cselect_b32 s6, s9, s6
	v_sub_nc_u32_e32 v9, v9, v12
	v_mul_lo_u32 v57, v10, s12
	v_lshl_add_u32 v10, s42, 4, v8
	s_wait_alu 0xfffe
	s_xor_b32 s6, s6, s8
	s_mul_u64 s[2:3], s[4:5], s[36:37]
	s_wait_alu 0xfffe
	s_sub_co_i32 s8, s6, s8
	v_ashrrev_i32_e32 v5, 31, v4
	s_mul_i32 s6, s8, s11
	v_ashrrev_i32_e32 v7, 31, v6
	v_mul_lo_u32 v55, v11, s12
	v_mul_lo_u32 v56, v9, s12
	v_ashrrev_i32_e32 v9, 31, v8
	v_ashrrev_i32_e32 v11, 31, v10
	v_lshl_add_u32 v58, v1, 10, 0x6400
	v_or_b32_e32 v61, 0x4000, v3
	s_add_nc_u64 s[2:3], s[14:15], s[2:3]
	s_mul_i32 s8, s8, s7
	s_wait_alu 0xfffe
	s_ashr_i32 s7, s6, 31
	s_mul_u64 s[4:5], s[46:47], s[36:37]
	s_wait_alu 0xfffe
	s_add_nc_u64 s[46:47], s[2:3], s[6:7]
	s_movk_i32 s2, 0x4000
	v_lshlrev_b64_e32 v[12:13], 2, v[4:5]
	v_dual_mov_b32 v1, 0xfeffffff :: v_dual_lshlrev_b32 v62, 2, v14
	v_lshlrev_b64_e32 v[14:15], 2, v[6:7]
	v_lshlrev_b64_e32 v[16:17], 2, v[8:9]
	v_dual_mov_b32 v3, 0xfeffffff :: v_dual_lshlrev_b32 v64, 2, v18
	v_lshlrev_b64_e32 v[18:19], 2, v[10:11]
	s_wait_alu 0xfffe
	v_mad_u32_u24 v53, 0x90, v39, s2
	v_xor_b32_e32 v43, 16, v23
	v_xor_b32_e32 v41, 8, v23
	;; [unrolled: 1-line block ×5, first 2 shown]
	v_dual_mov_b32 v78, 0 :: v_dual_add_nc_u32 v63, v58, v2
	v_dual_mov_b32 v80, 0 :: v_dual_add_nc_u32 v65, 0x800, v61
	;; [unrolled: 1-line block ×4, first 2 shown]
	v_dual_mov_b32 v2, 0xfeffffff :: v_dual_mov_b32 v5, 0xfeffffff
	v_dual_mov_b32 v4, 0xfeffffff :: v_dual_mov_b32 v7, 0xfeffffff
	;; [unrolled: 1-line block ×3, first 2 shown]
	v_mov_b32_e32 v50, 0
	v_mov_b32_e32 v48, 0
	;; [unrolled: 1-line block ×5, first 2 shown]
	s_add_nc_u64 s[4:5], s[16:17], s[4:5]
	s_ashr_i32 s9, s8, 31
	s_ashr_i32 s45, s44, 31
	s_wait_alu 0xfffe
	s_add_nc_u64 s[48:49], s[4:5], s[8:9]
	s_ashr_i32 s43, s42, 31
	s_add_nc_u64 s[28:29], s[0:1], 0xd0
.LBB33_9:                               ; =>This Inner Loop Header: Depth=1
	s_ashr_i32 s23, s22, 31
	v_mov_b32_e32 v98, 0
	s_wait_alu 0xfffe
	s_mul_u64 s[2:3], s[22:23], s[44:45]
	v_mov_b32_e32 v94, 0
	s_wait_alu 0xfffe
	s_lshl_b64 s[2:3], s[2:3], 2
	v_dual_mov_b32 v92, 0 :: v_dual_mov_b32 v97, 0
	s_wait_alu 0xfffe
	s_add_nc_u64 s[2:3], s[46:47], s[2:3]
	v_dual_mov_b32 v90, 0 :: v_dual_mov_b32 v95, 0
	s_wait_alu 0xfffe
	v_add_co_u32 v8, vcc_lo, s2, v12
	s_wait_alu 0xfffd
	v_add_co_ci_u32_e64 v9, null, s3, v13, vcc_lo
	v_dual_mov_b32 v88, 0 :: v_dual_mov_b32 v93, 0
	s_delay_alu instid0(VALU_DEP_3) | instskip(SKIP_1) | instid1(VALU_DEP_3)
	v_add_co_u32 v8, vcc_lo, v8, v62
	s_wait_alu 0xfffd
	v_add_co_ci_u32_e64 v9, null, 0, v9, vcc_lo
	v_add_co_u32 v10, vcc_lo, s2, v14
	s_wait_alu 0xfffd
	v_add_co_ci_u32_e64 v11, null, s3, v15, vcc_lo
	global_load_b128 v[84:87], v[8:9], off
	v_add_co_u32 v10, vcc_lo, v10, v62
	s_wait_alu 0xfffd
	v_add_co_ci_u32_e64 v11, null, 0, v11, vcc_lo
	v_dual_mov_b32 v96, 0 :: v_dual_mov_b32 v91, 0
	v_mov_b32_e32 v89, 0
	s_wait_loadcnt 0x0
	ds_store_b128 v51, v[84:87]
	global_load_b128 v[84:87], v[10:11], off
	s_wait_loadcnt 0x0
	ds_store_b128 v52, v[84:87]
	s_wait_dscnt 0x0
	s_barrier_signal -1
	s_barrier_wait -1
	global_inv scope:SCOPE_SE
	ds_load_b128 v[99:102], v53
	ds_load_b128 v[103:106], v20
	ds_load_b128 v[107:110], v20 offset:256
	ds_load_b128 v[111:114], v20 offset:512
	;; [unrolled: 1-line block ×8, first 2 shown]
	v_mov_b32_e32 v85, 0
	s_wait_dscnt 0x8
	;;#ASMSTART
	v_dot2_f32_f16 v98, v99, v103, v98
	;;#ASMEND
	;;#ASMSTART
	v_dot2_f32_f16 v98, v100, v104, v98
	;;#ASMEND
	;;#ASMSTART
	v_dot2_f32_f16 v98, v101, v105, v98
	;;#ASMEND
	;;#ASMSTART
	v_dot2_f32_f16 v98, v102, v106, v98
	;;#ASMEND
	s_wait_dscnt 0x7
	;;#ASMSTART
	v_dot2_f32_f16 v94, v99, v107, v94
	;;#ASMEND
	;;#ASMSTART
	v_dot2_f32_f16 v94, v100, v108, v94
	;;#ASMEND
	;;#ASMSTART
	v_dot2_f32_f16 v94, v101, v109, v94
	;;#ASMEND
	;;#ASMSTART
	v_dot2_f32_f16 v94, v102, v110, v94
	;;#ASMEND
	;; [unrolled: 13-line block ×4, first 2 shown]
	s_wait_dscnt 0x3
	;;#ASMSTART
	v_dot2_f32_f16 v88, v99, v123, v88
	;;#ASMEND
	;;#ASMSTART
	v_dot2_f32_f16 v88, v100, v124, v88
	;;#ASMEND
	;; [unrolled: 3-line block ×3, first 2 shown]
	v_mov_b32_e32 v86, 0
	;;#ASMSTART
	v_dot2_f32_f16 v88, v102, v126, v88
	;;#ASMEND
	s_wait_dscnt 0x2
	;;#ASMSTART
	v_dot2_f32_f16 v86, v99, v127, v86
	;;#ASMEND
	;;#ASMSTART
	v_dot2_f32_f16 v86, v100, v128, v86
	;;#ASMEND
	;; [unrolled: 3-line block ×4, first 2 shown]
	s_wait_dscnt 0x1
	;;#ASMSTART
	v_dot2_f32_f16 v85, v99, v131, v85
	;;#ASMEND
	;;#ASMSTART
	v_dot2_f32_f16 v85, v100, v132, v85
	;;#ASMEND
	;; [unrolled: 3-line block ×3, first 2 shown]
	v_mov_b32_e32 v84, 0
	;;#ASMSTART
	v_dot2_f32_f16 v85, v102, v134, v85
	;;#ASMEND
	s_wait_dscnt 0x0
	;;#ASMSTART
	v_dot2_f32_f16 v84, v99, v135, v84
	;;#ASMEND
	;;#ASMSTART
	v_dot2_f32_f16 v84, v100, v136, v84
	;;#ASMEND
	;; [unrolled: 3-line block ×3, first 2 shown]
	v_mov_b32_e32 v99, 0
	;;#ASMSTART
	v_dot2_f32_f16 v84, v102, v138, v84
	;;#ASMEND
	;;#ASMSTART
	v_dot2_f32_f16 v99, v119, v103, v99
	;;#ASMEND
	;; [unrolled: 3-line block ×9, first 2 shown]
	v_mov_b32_e32 v87, 0
	;;#ASMSTART
	v_dot2_f32_f16 v96, v119, v111, v96
	;;#ASMEND
	;;#ASMSTART
	v_dot2_f32_f16 v96, v120, v112, v96
	;;#ASMEND
	;; [unrolled: 3-line block ×24, first 2 shown]
	ds_load_b128 v[100:103], v53 offset:16
	ds_load_b128 v[104:107], v20 offset:16
	;; [unrolled: 1-line block ×10, first 2 shown]
	s_wait_dscnt 0x8
	;;#ASMSTART
	v_dot2_f32_f16 v98, v100, v104, v98
	;;#ASMEND
	;;#ASMSTART
	v_dot2_f32_f16 v98, v101, v105, v98
	;;#ASMEND
	;;#ASMSTART
	v_dot2_f32_f16 v98, v102, v106, v98
	;;#ASMEND
	;;#ASMSTART
	v_dot2_f32_f16 v98, v103, v107, v98
	;;#ASMEND
	s_wait_dscnt 0x7
	;;#ASMSTART
	v_dot2_f32_f16 v94, v100, v108, v94
	;;#ASMEND
	;;#ASMSTART
	v_dot2_f32_f16 v94, v101, v109, v94
	;;#ASMEND
	;;#ASMSTART
	v_dot2_f32_f16 v94, v102, v110, v94
	;;#ASMEND
	;;#ASMSTART
	v_dot2_f32_f16 v94, v103, v111, v94
	;;#ASMEND
	;; [unrolled: 13-line block ×8, first 2 shown]
	;;#ASMSTART
	v_dot2_f32_f16 v99, v120, v104, v99
	;;#ASMEND
	;;#ASMSTART
	v_dot2_f32_f16 v99, v121, v105, v99
	;;#ASMEND
	;; [unrolled: 3-line block ×32, first 2 shown]
	ds_load_b128 v[100:103], v53 offset:32
	ds_load_b128 v[104:107], v20 offset:32
	ds_load_b128 v[108:111], v20 offset:288
	ds_load_b128 v[112:115], v20 offset:544
	ds_load_b128 v[116:119], v20 offset:800
	ds_load_b128 v[120:123], v53 offset:4640
	ds_load_b128 v[124:127], v20 offset:1056
	ds_load_b128 v[128:131], v20 offset:1312
	ds_load_b128 v[132:135], v20 offset:1568
	ds_load_b128 v[136:139], v20 offset:1824
	s_wait_dscnt 0x8
	;;#ASMSTART
	v_dot2_f32_f16 v98, v100, v104, v98
	;;#ASMEND
	;;#ASMSTART
	v_dot2_f32_f16 v98, v101, v105, v98
	;;#ASMEND
	;;#ASMSTART
	v_dot2_f32_f16 v98, v102, v106, v98
	;;#ASMEND
	;;#ASMSTART
	v_dot2_f32_f16 v98, v103, v107, v98
	;;#ASMEND
	s_wait_dscnt 0x7
	;;#ASMSTART
	v_dot2_f32_f16 v94, v100, v108, v94
	;;#ASMEND
	;;#ASMSTART
	v_dot2_f32_f16 v94, v101, v109, v94
	;;#ASMEND
	;;#ASMSTART
	v_dot2_f32_f16 v94, v102, v110, v94
	;;#ASMEND
	;;#ASMSTART
	v_dot2_f32_f16 v94, v103, v111, v94
	;;#ASMEND
	;; [unrolled: 13-line block ×8, first 2 shown]
	;;#ASMSTART
	v_dot2_f32_f16 v99, v120, v104, v99
	;;#ASMEND
	;;#ASMSTART
	v_dot2_f32_f16 v99, v121, v105, v99
	;;#ASMEND
	;;#ASMSTART
	v_dot2_f32_f16 v99, v122, v106, v99
	;;#ASMEND
	;;#ASMSTART
	v_dot2_f32_f16 v99, v123, v107, v99
	;;#ASMEND
	;;#ASMSTART
	v_dot2_f32_f16 v97, v120, v108, v97
	;;#ASMEND
	;;#ASMSTART
	v_dot2_f32_f16 v97, v121, v109, v97
	;;#ASMEND
	;;#ASMSTART
	v_dot2_f32_f16 v97, v122, v110, v97
	;;#ASMEND
	;;#ASMSTART
	v_dot2_f32_f16 v97, v123, v111, v97
	;;#ASMEND
	;;#ASMSTART
	v_dot2_f32_f16 v96, v120, v112, v96
	;;#ASMEND
	;;#ASMSTART
	v_dot2_f32_f16 v96, v121, v113, v96
	;;#ASMEND
	;;#ASMSTART
	v_dot2_f32_f16 v96, v122, v114, v96
	;;#ASMEND
	;;#ASMSTART
	v_dot2_f32_f16 v96, v123, v115, v96
	;;#ASMEND
	;;#ASMSTART
	v_dot2_f32_f16 v95, v120, v116, v95
	;;#ASMEND
	;;#ASMSTART
	v_dot2_f32_f16 v95, v121, v117, v95
	;;#ASMEND
	;;#ASMSTART
	v_dot2_f32_f16 v95, v122, v118, v95
	;;#ASMEND
	;;#ASMSTART
	v_dot2_f32_f16 v95, v123, v119, v95
	;;#ASMEND
	;;#ASMSTART
	v_dot2_f32_f16 v93, v120, v124, v93
	;;#ASMEND
	;;#ASMSTART
	v_dot2_f32_f16 v93, v121, v125, v93
	;;#ASMEND
	;;#ASMSTART
	v_dot2_f32_f16 v93, v122, v126, v93
	;;#ASMEND
	;;#ASMSTART
	v_dot2_f32_f16 v93, v123, v127, v93
	;;#ASMEND
	;;#ASMSTART
	v_dot2_f32_f16 v91, v120, v128, v91
	;;#ASMEND
	;;#ASMSTART
	v_dot2_f32_f16 v91, v121, v129, v91
	;;#ASMEND
	;;#ASMSTART
	v_dot2_f32_f16 v91, v122, v130, v91
	;;#ASMEND
	;;#ASMSTART
	v_dot2_f32_f16 v91, v123, v131, v91
	;;#ASMEND
	;;#ASMSTART
	v_dot2_f32_f16 v89, v120, v132, v89
	;;#ASMEND
	;;#ASMSTART
	v_dot2_f32_f16 v89, v121, v133, v89
	;;#ASMEND
	;;#ASMSTART
	v_dot2_f32_f16 v89, v122, v134, v89
	;;#ASMEND
	;;#ASMSTART
	v_dot2_f32_f16 v89, v123, v135, v89
	;;#ASMEND
	;;#ASMSTART
	v_dot2_f32_f16 v87, v120, v136, v87
	;;#ASMEND
	;;#ASMSTART
	v_dot2_f32_f16 v87, v121, v137, v87
	;;#ASMEND
	;;#ASMSTART
	v_dot2_f32_f16 v87, v122, v138, v87
	;;#ASMEND
	;;#ASMSTART
	v_dot2_f32_f16 v87, v123, v139, v87
	;;#ASMEND
	ds_load_b128 v[100:103], v53 offset:48
	ds_load_b128 v[104:107], v20 offset:48
	;; [unrolled: 1-line block ×10, first 2 shown]
	s_wait_dscnt 0x8
	;;#ASMSTART
	v_dot2_f32_f16 v98, v100, v104, v98
	;;#ASMEND
	;;#ASMSTART
	v_dot2_f32_f16 v98, v101, v105, v98
	;;#ASMEND
	;;#ASMSTART
	v_dot2_f32_f16 v98, v102, v106, v98
	;;#ASMEND
	;;#ASMSTART
	v_dot2_f32_f16 v98, v103, v107, v98
	;;#ASMEND
	s_wait_dscnt 0x7
	;;#ASMSTART
	v_dot2_f32_f16 v94, v100, v108, v94
	;;#ASMEND
	;;#ASMSTART
	v_dot2_f32_f16 v94, v101, v109, v94
	;;#ASMEND
	;;#ASMSTART
	v_dot2_f32_f16 v94, v102, v110, v94
	;;#ASMEND
	;;#ASMSTART
	v_dot2_f32_f16 v94, v103, v111, v94
	;;#ASMEND
	;; [unrolled: 13-line block ×8, first 2 shown]
	;;#ASMSTART
	v_dot2_f32_f16 v99, v120, v104, v99
	;;#ASMEND
	;;#ASMSTART
	v_dot2_f32_f16 v99, v121, v105, v99
	;;#ASMEND
	;; [unrolled: 3-line block ×32, first 2 shown]
	ds_load_b128 v[100:103], v53 offset:64
	ds_load_b128 v[104:107], v20 offset:64
	;; [unrolled: 1-line block ×10, first 2 shown]
	s_wait_dscnt 0x8
	;;#ASMSTART
	v_dot2_f32_f16 v98, v100, v104, v98
	;;#ASMEND
	;;#ASMSTART
	v_dot2_f32_f16 v98, v101, v105, v98
	;;#ASMEND
	;;#ASMSTART
	v_dot2_f32_f16 v98, v102, v106, v98
	;;#ASMEND
	;;#ASMSTART
	v_dot2_f32_f16 v98, v103, v107, v98
	;;#ASMEND
	s_wait_dscnt 0x7
	;;#ASMSTART
	v_dot2_f32_f16 v94, v100, v108, v94
	;;#ASMEND
	;;#ASMSTART
	v_dot2_f32_f16 v94, v101, v109, v94
	;;#ASMEND
	;;#ASMSTART
	v_dot2_f32_f16 v94, v102, v110, v94
	;;#ASMEND
	;;#ASMSTART
	v_dot2_f32_f16 v94, v103, v111, v94
	;;#ASMEND
	s_wait_dscnt 0x6
	;;#ASMSTART
	v_dot2_f32_f16 v92, v100, v112, v92
	;;#ASMEND
	;;#ASMSTART
	v_dot2_f32_f16 v92, v101, v113, v92
	;;#ASMEND
	;;#ASMSTART
	v_dot2_f32_f16 v92, v102, v114, v92
	;;#ASMEND
	;;#ASMSTART
	v_dot2_f32_f16 v92, v103, v115, v92
	;;#ASMEND
	s_wait_dscnt 0x5
	;;#ASMSTART
	v_dot2_f32_f16 v90, v100, v116, v90
	;;#ASMEND
	;;#ASMSTART
	v_dot2_f32_f16 v90, v101, v117, v90
	;;#ASMEND
	;;#ASMSTART
	v_dot2_f32_f16 v90, v102, v118, v90
	;;#ASMEND
	;;#ASMSTART
	v_dot2_f32_f16 v90, v103, v119, v90
	;;#ASMEND
	s_wait_dscnt 0x3
	;;#ASMSTART
	v_dot2_f32_f16 v88, v100, v124, v88
	;;#ASMEND
	;;#ASMSTART
	v_dot2_f32_f16 v88, v101, v125, v88
	;;#ASMEND
	;;#ASMSTART
	v_dot2_f32_f16 v88, v102, v126, v88
	;;#ASMEND
	;;#ASMSTART
	v_dot2_f32_f16 v88, v103, v127, v88
	;;#ASMEND
	s_wait_dscnt 0x2
	;;#ASMSTART
	v_dot2_f32_f16 v86, v100, v128, v86
	;;#ASMEND
	;;#ASMSTART
	v_dot2_f32_f16 v86, v101, v129, v86
	;;#ASMEND
	;;#ASMSTART
	v_dot2_f32_f16 v86, v102, v130, v86
	;;#ASMEND
	;;#ASMSTART
	v_dot2_f32_f16 v86, v103, v131, v86
	;;#ASMEND
	s_wait_dscnt 0x1
	;;#ASMSTART
	v_dot2_f32_f16 v85, v100, v132, v85
	;;#ASMEND
	;;#ASMSTART
	v_dot2_f32_f16 v85, v101, v133, v85
	;;#ASMEND
	;;#ASMSTART
	v_dot2_f32_f16 v85, v102, v134, v85
	;;#ASMEND
	;;#ASMSTART
	v_dot2_f32_f16 v85, v103, v135, v85
	;;#ASMEND
	s_wait_dscnt 0x0
	;;#ASMSTART
	v_dot2_f32_f16 v84, v100, v136, v84
	;;#ASMEND
	;;#ASMSTART
	v_dot2_f32_f16 v84, v101, v137, v84
	;;#ASMEND
	;;#ASMSTART
	v_dot2_f32_f16 v84, v102, v138, v84
	;;#ASMEND
	;;#ASMSTART
	v_dot2_f32_f16 v84, v103, v139, v84
	;;#ASMEND
	;;#ASMSTART
	v_dot2_f32_f16 v99, v120, v104, v99
	;;#ASMEND
	;;#ASMSTART
	v_dot2_f32_f16 v99, v121, v105, v99
	;;#ASMEND
	;; [unrolled: 3-line block ×32, first 2 shown]
	ds_load_b128 v[100:103], v53 offset:80
	ds_load_b128 v[104:107], v20 offset:80
	;; [unrolled: 1-line block ×10, first 2 shown]
	s_wait_dscnt 0x8
	;;#ASMSTART
	v_dot2_f32_f16 v98, v100, v104, v98
	;;#ASMEND
	;;#ASMSTART
	v_dot2_f32_f16 v98, v101, v105, v98
	;;#ASMEND
	;;#ASMSTART
	v_dot2_f32_f16 v98, v102, v106, v98
	;;#ASMEND
	;;#ASMSTART
	v_dot2_f32_f16 v98, v103, v107, v98
	;;#ASMEND
	s_wait_dscnt 0x7
	;;#ASMSTART
	v_dot2_f32_f16 v94, v100, v108, v94
	;;#ASMEND
	;;#ASMSTART
	v_dot2_f32_f16 v94, v101, v109, v94
	;;#ASMEND
	;;#ASMSTART
	v_dot2_f32_f16 v94, v102, v110, v94
	;;#ASMEND
	;;#ASMSTART
	v_dot2_f32_f16 v94, v103, v111, v94
	;;#ASMEND
	;; [unrolled: 13-line block ×8, first 2 shown]
	;;#ASMSTART
	v_dot2_f32_f16 v99, v120, v104, v99
	;;#ASMEND
	;;#ASMSTART
	v_dot2_f32_f16 v99, v121, v105, v99
	;;#ASMEND
	;;#ASMSTART
	v_dot2_f32_f16 v99, v122, v106, v99
	;;#ASMEND
	;;#ASMSTART
	v_dot2_f32_f16 v99, v123, v107, v99
	;;#ASMEND
	;;#ASMSTART
	v_dot2_f32_f16 v97, v120, v108, v97
	;;#ASMEND
	;;#ASMSTART
	v_dot2_f32_f16 v97, v121, v109, v97
	;;#ASMEND
	;;#ASMSTART
	v_dot2_f32_f16 v97, v122, v110, v97
	;;#ASMEND
	;;#ASMSTART
	v_dot2_f32_f16 v97, v123, v111, v97
	;;#ASMEND
	;;#ASMSTART
	v_dot2_f32_f16 v96, v120, v112, v96
	;;#ASMEND
	;;#ASMSTART
	v_dot2_f32_f16 v96, v121, v113, v96
	;;#ASMEND
	;;#ASMSTART
	v_dot2_f32_f16 v96, v122, v114, v96
	;;#ASMEND
	;;#ASMSTART
	v_dot2_f32_f16 v96, v123, v115, v96
	;;#ASMEND
	;;#ASMSTART
	v_dot2_f32_f16 v95, v120, v116, v95
	;;#ASMEND
	;;#ASMSTART
	v_dot2_f32_f16 v95, v121, v117, v95
	;;#ASMEND
	;;#ASMSTART
	v_dot2_f32_f16 v95, v122, v118, v95
	;;#ASMEND
	;;#ASMSTART
	v_dot2_f32_f16 v95, v123, v119, v95
	;;#ASMEND
	;;#ASMSTART
	v_dot2_f32_f16 v93, v120, v124, v93
	;;#ASMEND
	;;#ASMSTART
	v_dot2_f32_f16 v93, v121, v125, v93
	;;#ASMEND
	;;#ASMSTART
	v_dot2_f32_f16 v93, v122, v126, v93
	;;#ASMEND
	;;#ASMSTART
	v_dot2_f32_f16 v93, v123, v127, v93
	;;#ASMEND
	;;#ASMSTART
	v_dot2_f32_f16 v91, v120, v128, v91
	;;#ASMEND
	;;#ASMSTART
	v_dot2_f32_f16 v91, v121, v129, v91
	;;#ASMEND
	;;#ASMSTART
	v_dot2_f32_f16 v91, v122, v130, v91
	;;#ASMEND
	;;#ASMSTART
	v_dot2_f32_f16 v91, v123, v131, v91
	;;#ASMEND
	;;#ASMSTART
	v_dot2_f32_f16 v89, v120, v132, v89
	;;#ASMEND
	;;#ASMSTART
	v_dot2_f32_f16 v89, v121, v133, v89
	;;#ASMEND
	;;#ASMSTART
	v_dot2_f32_f16 v89, v122, v134, v89
	;;#ASMEND
	;;#ASMSTART
	v_dot2_f32_f16 v89, v123, v135, v89
	;;#ASMEND
	;;#ASMSTART
	v_dot2_f32_f16 v87, v120, v136, v87
	;;#ASMEND
	;;#ASMSTART
	v_dot2_f32_f16 v87, v121, v137, v87
	;;#ASMEND
	;;#ASMSTART
	v_dot2_f32_f16 v87, v122, v138, v87
	;;#ASMEND
	;;#ASMSTART
	v_dot2_f32_f16 v87, v123, v139, v87
	;;#ASMEND
	ds_load_b128 v[100:103], v53 offset:96
	ds_load_b128 v[104:107], v20 offset:96
	ds_load_b128 v[108:111], v20 offset:352
	ds_load_b128 v[112:115], v20 offset:608
	ds_load_b128 v[116:119], v20 offset:864
	ds_load_b128 v[120:123], v53 offset:4704
	ds_load_b128 v[124:127], v20 offset:1120
	ds_load_b128 v[128:131], v20 offset:1376
	ds_load_b128 v[132:135], v20 offset:1632
	ds_load_b128 v[136:139], v20 offset:1888
	s_wait_dscnt 0x8
	;;#ASMSTART
	v_dot2_f32_f16 v98, v100, v104, v98
	;;#ASMEND
	;;#ASMSTART
	v_dot2_f32_f16 v98, v101, v105, v98
	;;#ASMEND
	;;#ASMSTART
	v_dot2_f32_f16 v98, v102, v106, v98
	;;#ASMEND
	;;#ASMSTART
	v_dot2_f32_f16 v98, v103, v107, v98
	;;#ASMEND
	s_wait_dscnt 0x7
	;;#ASMSTART
	v_dot2_f32_f16 v94, v100, v108, v94
	;;#ASMEND
	;;#ASMSTART
	v_dot2_f32_f16 v94, v101, v109, v94
	;;#ASMEND
	;;#ASMSTART
	v_dot2_f32_f16 v94, v102, v110, v94
	;;#ASMEND
	;;#ASMSTART
	v_dot2_f32_f16 v94, v103, v111, v94
	;;#ASMEND
	;; [unrolled: 13-line block ×8, first 2 shown]
	;;#ASMSTART
	v_dot2_f32_f16 v99, v120, v104, v99
	;;#ASMEND
	;;#ASMSTART
	v_dot2_f32_f16 v99, v121, v105, v99
	;;#ASMEND
	;; [unrolled: 3-line block ×32, first 2 shown]
	ds_load_b128 v[100:103], v53 offset:112
	ds_load_b128 v[104:107], v20 offset:112
	;; [unrolled: 1-line block ×10, first 2 shown]
	s_wait_dscnt 0x8
	;;#ASMSTART
	v_dot2_f32_f16 v98, v100, v104, v98
	;;#ASMEND
	;;#ASMSTART
	v_dot2_f32_f16 v98, v101, v105, v98
	;;#ASMEND
	;;#ASMSTART
	v_dot2_f32_f16 v98, v102, v106, v98
	;;#ASMEND
	;;#ASMSTART
	v_dot2_f32_f16 v98, v103, v107, v98
	;;#ASMEND
	s_wait_dscnt 0x7
	;;#ASMSTART
	v_dot2_f32_f16 v94, v100, v108, v94
	;;#ASMEND
	;;#ASMSTART
	v_dot2_f32_f16 v94, v101, v109, v94
	;;#ASMEND
	;;#ASMSTART
	v_dot2_f32_f16 v94, v102, v110, v94
	;;#ASMEND
	;;#ASMSTART
	v_dot2_f32_f16 v94, v103, v111, v94
	;;#ASMEND
	;; [unrolled: 13-line block ×8, first 2 shown]
	;;#ASMSTART
	v_dot2_f32_f16 v99, v120, v104, v99
	;;#ASMEND
	;;#ASMSTART
	v_dot2_f32_f16 v99, v121, v105, v99
	;;#ASMEND
	;; [unrolled: 3-line block ×32, first 2 shown]
	s_wait_loadcnt 0x0
	s_barrier_signal -1
	s_barrier_wait -1
	global_inv scope:SCOPE_SE
	s_clause 0x1
	global_load_b128 v[100:103], v[8:9], off offset:128
	global_load_b128 v[8:11], v[10:11], off offset:128
	s_wait_loadcnt 0x1
	ds_store_b128 v51, v[100:103]
	s_wait_loadcnt 0x0
	ds_store_b128 v52, v[8:11]
	s_wait_dscnt 0x0
	s_barrier_signal -1
	s_barrier_wait -1
	global_inv scope:SCOPE_SE
	ds_load_b128 v[8:11], v53
	ds_load_b128 v[100:103], v20 offset:128
	ds_load_b128 v[104:107], v20 offset:384
	;; [unrolled: 1-line block ×9, first 2 shown]
	s_wait_dscnt 0x8
	;;#ASMSTART
	v_dot2_f32_f16 v98, v8, v100, v98
	;;#ASMEND
	;;#ASMSTART
	v_dot2_f32_f16 v98, v9, v101, v98
	;;#ASMEND
	;;#ASMSTART
	v_dot2_f32_f16 v98, v10, v102, v98
	;;#ASMEND
	;;#ASMSTART
	v_dot2_f32_f16 v98, v11, v103, v98
	;;#ASMEND
	s_wait_dscnt 0x7
	;;#ASMSTART
	v_dot2_f32_f16 v94, v8, v104, v94
	;;#ASMEND
	;;#ASMSTART
	v_dot2_f32_f16 v94, v9, v105, v94
	;;#ASMEND
	;;#ASMSTART
	v_dot2_f32_f16 v94, v10, v106, v94
	;;#ASMEND
	;;#ASMSTART
	v_dot2_f32_f16 v94, v11, v107, v94
	;;#ASMEND
	;; [unrolled: 13-line block ×8, first 2 shown]
	;;#ASMSTART
	v_dot2_f32_f16 v99, v116, v100, v99
	;;#ASMEND
	;;#ASMSTART
	v_dot2_f32_f16 v99, v117, v101, v99
	;;#ASMEND
	;; [unrolled: 3-line block ×32, first 2 shown]
	ds_load_b128 v[8:11], v53 offset:16
	ds_load_b128 v[100:103], v20 offset:144
	;; [unrolled: 1-line block ×10, first 2 shown]
	s_wait_dscnt 0x8
	;;#ASMSTART
	v_dot2_f32_f16 v98, v8, v100, v98
	;;#ASMEND
	;;#ASMSTART
	v_dot2_f32_f16 v98, v9, v101, v98
	;;#ASMEND
	;;#ASMSTART
	v_dot2_f32_f16 v98, v10, v102, v98
	;;#ASMEND
	;;#ASMSTART
	v_dot2_f32_f16 v98, v11, v103, v98
	;;#ASMEND
	s_wait_dscnt 0x7
	;;#ASMSTART
	v_dot2_f32_f16 v94, v8, v104, v94
	;;#ASMEND
	;;#ASMSTART
	v_dot2_f32_f16 v94, v9, v105, v94
	;;#ASMEND
	;;#ASMSTART
	v_dot2_f32_f16 v94, v10, v106, v94
	;;#ASMEND
	;;#ASMSTART
	v_dot2_f32_f16 v94, v11, v107, v94
	;;#ASMEND
	;; [unrolled: 13-line block ×8, first 2 shown]
	;;#ASMSTART
	v_dot2_f32_f16 v99, v116, v100, v99
	;;#ASMEND
	;;#ASMSTART
	v_dot2_f32_f16 v99, v117, v101, v99
	;;#ASMEND
	;; [unrolled: 3-line block ×32, first 2 shown]
	ds_load_b128 v[8:11], v53 offset:32
	ds_load_b128 v[100:103], v20 offset:160
	;; [unrolled: 1-line block ×10, first 2 shown]
	s_wait_dscnt 0x8
	;;#ASMSTART
	v_dot2_f32_f16 v98, v8, v100, v98
	;;#ASMEND
	;;#ASMSTART
	v_dot2_f32_f16 v98, v9, v101, v98
	;;#ASMEND
	;;#ASMSTART
	v_dot2_f32_f16 v98, v10, v102, v98
	;;#ASMEND
	;;#ASMSTART
	v_dot2_f32_f16 v98, v11, v103, v98
	;;#ASMEND
	s_wait_dscnt 0x7
	;;#ASMSTART
	v_dot2_f32_f16 v94, v8, v104, v94
	;;#ASMEND
	;;#ASMSTART
	v_dot2_f32_f16 v94, v9, v105, v94
	;;#ASMEND
	;;#ASMSTART
	v_dot2_f32_f16 v94, v10, v106, v94
	;;#ASMEND
	;;#ASMSTART
	v_dot2_f32_f16 v94, v11, v107, v94
	;;#ASMEND
	;; [unrolled: 13-line block ×8, first 2 shown]
	;;#ASMSTART
	v_dot2_f32_f16 v99, v116, v100, v99
	;;#ASMEND
	;;#ASMSTART
	v_dot2_f32_f16 v99, v117, v101, v99
	;;#ASMEND
	;; [unrolled: 3-line block ×32, first 2 shown]
	ds_load_b128 v[8:11], v53 offset:48
	ds_load_b128 v[100:103], v20 offset:176
	;; [unrolled: 1-line block ×10, first 2 shown]
	s_wait_dscnt 0x8
	;;#ASMSTART
	v_dot2_f32_f16 v98, v8, v100, v98
	;;#ASMEND
	;;#ASMSTART
	v_dot2_f32_f16 v98, v9, v101, v98
	;;#ASMEND
	;;#ASMSTART
	v_dot2_f32_f16 v98, v10, v102, v98
	;;#ASMEND
	;;#ASMSTART
	v_dot2_f32_f16 v98, v11, v103, v98
	;;#ASMEND
	s_wait_dscnt 0x7
	;;#ASMSTART
	v_dot2_f32_f16 v94, v8, v104, v94
	;;#ASMEND
	;;#ASMSTART
	v_dot2_f32_f16 v94, v9, v105, v94
	;;#ASMEND
	;;#ASMSTART
	v_dot2_f32_f16 v94, v10, v106, v94
	;;#ASMEND
	;;#ASMSTART
	v_dot2_f32_f16 v94, v11, v107, v94
	;;#ASMEND
	;; [unrolled: 13-line block ×8, first 2 shown]
	;;#ASMSTART
	v_dot2_f32_f16 v99, v116, v100, v99
	;;#ASMEND
	;;#ASMSTART
	v_dot2_f32_f16 v99, v117, v101, v99
	;;#ASMEND
	;; [unrolled: 3-line block ×32, first 2 shown]
	ds_load_b128 v[8:11], v53 offset:64
	ds_load_b128 v[100:103], v20 offset:192
	;; [unrolled: 1-line block ×10, first 2 shown]
	s_wait_dscnt 0x8
	;;#ASMSTART
	v_dot2_f32_f16 v98, v8, v100, v98
	;;#ASMEND
	;;#ASMSTART
	v_dot2_f32_f16 v98, v9, v101, v98
	;;#ASMEND
	;;#ASMSTART
	v_dot2_f32_f16 v98, v10, v102, v98
	;;#ASMEND
	;;#ASMSTART
	v_dot2_f32_f16 v98, v11, v103, v98
	;;#ASMEND
	s_wait_dscnt 0x7
	;;#ASMSTART
	v_dot2_f32_f16 v94, v8, v104, v94
	;;#ASMEND
	;;#ASMSTART
	v_dot2_f32_f16 v94, v9, v105, v94
	;;#ASMEND
	;;#ASMSTART
	v_dot2_f32_f16 v94, v10, v106, v94
	;;#ASMEND
	;;#ASMSTART
	v_dot2_f32_f16 v94, v11, v107, v94
	;;#ASMEND
	;; [unrolled: 13-line block ×8, first 2 shown]
	;;#ASMSTART
	v_dot2_f32_f16 v99, v116, v100, v99
	;;#ASMEND
	;;#ASMSTART
	v_dot2_f32_f16 v99, v117, v101, v99
	;;#ASMEND
	;; [unrolled: 3-line block ×32, first 2 shown]
	ds_load_b128 v[8:11], v53 offset:80
	ds_load_b128 v[100:103], v20 offset:208
	;; [unrolled: 1-line block ×10, first 2 shown]
	s_wait_dscnt 0x8
	;;#ASMSTART
	v_dot2_f32_f16 v98, v8, v100, v98
	;;#ASMEND
	;;#ASMSTART
	v_dot2_f32_f16 v98, v9, v101, v98
	;;#ASMEND
	;;#ASMSTART
	v_dot2_f32_f16 v98, v10, v102, v98
	;;#ASMEND
	;;#ASMSTART
	v_dot2_f32_f16 v98, v11, v103, v98
	;;#ASMEND
	s_wait_dscnt 0x7
	;;#ASMSTART
	v_dot2_f32_f16 v94, v8, v104, v94
	;;#ASMEND
	;;#ASMSTART
	v_dot2_f32_f16 v94, v9, v105, v94
	;;#ASMEND
	;;#ASMSTART
	v_dot2_f32_f16 v94, v10, v106, v94
	;;#ASMEND
	;;#ASMSTART
	v_dot2_f32_f16 v94, v11, v107, v94
	;;#ASMEND
	;; [unrolled: 13-line block ×8, first 2 shown]
	;;#ASMSTART
	v_dot2_f32_f16 v99, v116, v100, v99
	;;#ASMEND
	;;#ASMSTART
	v_dot2_f32_f16 v99, v117, v101, v99
	;;#ASMEND
	;;#ASMSTART
	v_dot2_f32_f16 v99, v118, v102, v99
	;;#ASMEND
	;;#ASMSTART
	v_dot2_f32_f16 v99, v119, v103, v99
	;;#ASMEND
	;;#ASMSTART
	v_dot2_f32_f16 v97, v116, v104, v97
	;;#ASMEND
	;;#ASMSTART
	v_dot2_f32_f16 v97, v117, v105, v97
	;;#ASMEND
	;;#ASMSTART
	v_dot2_f32_f16 v97, v118, v106, v97
	;;#ASMEND
	;;#ASMSTART
	v_dot2_f32_f16 v97, v119, v107, v97
	;;#ASMEND
	;;#ASMSTART
	v_dot2_f32_f16 v96, v116, v108, v96
	;;#ASMEND
	;;#ASMSTART
	v_dot2_f32_f16 v96, v117, v109, v96
	;;#ASMEND
	;;#ASMSTART
	v_dot2_f32_f16 v96, v118, v110, v96
	;;#ASMEND
	;;#ASMSTART
	v_dot2_f32_f16 v96, v119, v111, v96
	;;#ASMEND
	;;#ASMSTART
	v_dot2_f32_f16 v95, v116, v112, v95
	;;#ASMEND
	;;#ASMSTART
	v_dot2_f32_f16 v95, v117, v113, v95
	;;#ASMEND
	;;#ASMSTART
	v_dot2_f32_f16 v95, v118, v114, v95
	;;#ASMEND
	;;#ASMSTART
	v_dot2_f32_f16 v95, v119, v115, v95
	;;#ASMEND
	;;#ASMSTART
	v_dot2_f32_f16 v93, v116, v120, v93
	;;#ASMEND
	;;#ASMSTART
	v_dot2_f32_f16 v93, v117, v121, v93
	;;#ASMEND
	;;#ASMSTART
	v_dot2_f32_f16 v93, v118, v122, v93
	;;#ASMEND
	;;#ASMSTART
	v_dot2_f32_f16 v93, v119, v123, v93
	;;#ASMEND
	;;#ASMSTART
	v_dot2_f32_f16 v91, v116, v124, v91
	;;#ASMEND
	;;#ASMSTART
	v_dot2_f32_f16 v91, v117, v125, v91
	;;#ASMEND
	;;#ASMSTART
	v_dot2_f32_f16 v91, v118, v126, v91
	;;#ASMEND
	;;#ASMSTART
	v_dot2_f32_f16 v91, v119, v127, v91
	;;#ASMEND
	;;#ASMSTART
	v_dot2_f32_f16 v89, v116, v128, v89
	;;#ASMEND
	;;#ASMSTART
	v_dot2_f32_f16 v89, v117, v129, v89
	;;#ASMEND
	;;#ASMSTART
	v_dot2_f32_f16 v89, v118, v130, v89
	;;#ASMEND
	;;#ASMSTART
	v_dot2_f32_f16 v89, v119, v131, v89
	;;#ASMEND
	;;#ASMSTART
	v_dot2_f32_f16 v87, v116, v132, v87
	;;#ASMEND
	;;#ASMSTART
	v_dot2_f32_f16 v87, v117, v133, v87
	;;#ASMEND
	;;#ASMSTART
	v_dot2_f32_f16 v87, v118, v134, v87
	;;#ASMEND
	;;#ASMSTART
	v_dot2_f32_f16 v87, v119, v135, v87
	;;#ASMEND
	ds_load_b128 v[8:11], v53 offset:96
	ds_load_b128 v[100:103], v20 offset:224
	;; [unrolled: 1-line block ×10, first 2 shown]
	s_wait_dscnt 0x8
	;;#ASMSTART
	v_dot2_f32_f16 v98, v8, v100, v98
	;;#ASMEND
	;;#ASMSTART
	v_dot2_f32_f16 v98, v9, v101, v98
	;;#ASMEND
	;;#ASMSTART
	v_dot2_f32_f16 v98, v10, v102, v98
	;;#ASMEND
	;;#ASMSTART
	v_dot2_f32_f16 v98, v11, v103, v98
	;;#ASMEND
	s_wait_dscnt 0x7
	;;#ASMSTART
	v_dot2_f32_f16 v94, v8, v104, v94
	;;#ASMEND
	;;#ASMSTART
	v_dot2_f32_f16 v94, v9, v105, v94
	;;#ASMEND
	;;#ASMSTART
	v_dot2_f32_f16 v94, v10, v106, v94
	;;#ASMEND
	;;#ASMSTART
	v_dot2_f32_f16 v94, v11, v107, v94
	;;#ASMEND
	;; [unrolled: 13-line block ×8, first 2 shown]
	;;#ASMSTART
	v_dot2_f32_f16 v99, v116, v100, v99
	;;#ASMEND
	;;#ASMSTART
	v_dot2_f32_f16 v99, v117, v101, v99
	;;#ASMEND
	;; [unrolled: 3-line block ×32, first 2 shown]
	ds_load_b128 v[8:11], v53 offset:112
	ds_load_b128 v[100:103], v20 offset:240
	;; [unrolled: 1-line block ×10, first 2 shown]
	s_wait_dscnt 0x8
	;;#ASMSTART
	v_dot2_f32_f16 v98, v8, v100, v98
	;;#ASMEND
	;;#ASMSTART
	v_dot2_f32_f16 v98, v9, v101, v98
	;;#ASMEND
	;;#ASMSTART
	v_dot2_f32_f16 v98, v10, v102, v98
	;;#ASMEND
	;;#ASMSTART
	v_dot2_f32_f16 v98, v11, v103, v98
	;;#ASMEND
	s_wait_dscnt 0x7
	;;#ASMSTART
	v_dot2_f32_f16 v94, v8, v104, v94
	;;#ASMEND
	;;#ASMSTART
	v_dot2_f32_f16 v94, v9, v105, v94
	;;#ASMEND
	;;#ASMSTART
	v_dot2_f32_f16 v94, v10, v106, v94
	;;#ASMEND
	;;#ASMSTART
	v_dot2_f32_f16 v94, v11, v107, v94
	;;#ASMEND
	;; [unrolled: 13-line block ×8, first 2 shown]
	;;#ASMSTART
	v_dot2_f32_f16 v99, v116, v100, v99
	;;#ASMEND
	v_add_nc_u32_e32 v100, s22, v39
	;;#ASMSTART
	v_dot2_f32_f16 v99, v117, v101, v99
	;;#ASMEND
	;;#ASMSTART
	v_dot2_f32_f16 v99, v118, v102, v99
	;;#ASMEND
	;;#ASMSTART
	v_dot2_f32_f16 v99, v119, v103, v99
	;;#ASMEND
	;;#ASMSTART
	v_dot2_f32_f16 v97, v116, v104, v97
	;;#ASMEND
	v_add_nc_u32_e32 v8, v100, v54
	v_add_nc_u32_e32 v10, v100, v55
	;;#ASMSTART
	v_dot2_f32_f16 v97, v117, v105, v97
	;;#ASMEND
	;;#ASMSTART
	v_dot2_f32_f16 v97, v118, v106, v97
	;;#ASMEND
	;; [unrolled: 3-line block ×3, first 2 shown]
	v_ashrrev_i32_e32 v9, 31, v8
	v_ashrrev_i32_e32 v11, 31, v10
	;;#ASMSTART
	v_dot2_f32_f16 v96, v116, v108, v96
	;;#ASMEND
	;;#ASMSTART
	v_dot2_f32_f16 v96, v117, v109, v96
	;;#ASMEND
	;; [unrolled: 3-line block ×3, first 2 shown]
	v_lshlrev_b64_e32 v[8:9], 1, v[8:9]
	v_lshlrev_b64_e32 v[10:11], 1, v[10:11]
	;;#ASMSTART
	v_dot2_f32_f16 v96, v119, v111, v96
	;;#ASMEND
	;;#ASMSTART
	v_dot2_f32_f16 v95, v116, v112, v95
	;;#ASMEND
	;; [unrolled: 3-line block ×4, first 2 shown]
	v_add_co_u32 v8, vcc_lo, s40, v8
	s_wait_alu 0xfffd
	v_add_co_ci_u32_e64 v9, null, s41, v9, vcc_lo
	v_add_co_u32 v102, vcc_lo, s40, v10
	v_add_nc_u32_e32 v10, v100, v56
	s_wait_alu 0xfffd
	v_add_co_ci_u32_e64 v103, null, s41, v11, vcc_lo
	;;#ASMSTART
	v_dot2_f32_f16 v95, v119, v115, v95
	;;#ASMEND
	;;#ASMSTART
	v_dot2_f32_f16 v93, v116, v120, v93
	;;#ASMEND
	v_ashrrev_i32_e32 v11, 31, v10
	;;#ASMSTART
	v_dot2_f32_f16 v93, v117, v121, v93
	;;#ASMEND
	;;#ASMSTART
	v_dot2_f32_f16 v93, v118, v122, v93
	;;#ASMEND
	;; [unrolled: 3-line block ×4, first 2 shown]
	v_lshlrev_b64_e32 v[10:11], 1, v[10:11]
	;;#ASMSTART
	v_dot2_f32_f16 v91, v117, v125, v91
	;;#ASMEND
	;;#ASMSTART
	v_dot2_f32_f16 v91, v118, v126, v91
	;;#ASMEND
	;; [unrolled: 3-line block ×5, first 2 shown]
	v_add_co_u32 v104, vcc_lo, s40, v10
	v_add_nc_u32_e32 v10, v100, v57
	s_wait_alu 0xfffd
	v_add_co_ci_u32_e64 v105, null, s41, v11, vcc_lo
	;;#ASMSTART
	v_dot2_f32_f16 v89, v118, v130, v89
	;;#ASMEND
	;;#ASMSTART
	v_dot2_f32_f16 v89, v119, v131, v89
	;;#ASMEND
	v_ashrrev_i32_e32 v11, 31, v10
	;;#ASMSTART
	v_dot2_f32_f16 v87, v116, v132, v87
	;;#ASMEND
	;;#ASMSTART
	v_dot2_f32_f16 v87, v117, v133, v87
	;;#ASMEND
	;; [unrolled: 3-line block ×4, first 2 shown]
	v_lshlrev_b64_e32 v[10:11], 1, v[10:11]
	v_mov_b32_e32 v100, v0
	s_delay_alu instid0(VALU_DEP_2)
	v_add_co_u32 v106, vcc_lo, s40, v10
	s_clause 0x1
	global_load_u16 v10, v[8:9], off
	global_load_u16 v8, v[8:9], off offset:64
	s_wait_alu 0xfffd
	v_add_co_ci_u32_e64 v107, null, s41, v11, vcc_lo
	v_cmp_gt_i32_e32 vcc_lo, 32, v43
	s_wait_loadcnt 0x1
	v_cvt_f32_f16_e32 v10, v10
	s_wait_loadcnt 0x0
	v_cvt_f32_f16_e32 v11, v8
	s_delay_alu instid0(VALU_DEP_1) | instskip(SKIP_1) | instid1(VALU_DEP_2)
	v_dual_add_f32 v9, v98, v10 :: v_dual_add_f32 v8, v99, v11
	v_dual_add_f32 v111, v94, v10 :: v_dual_add_f32 v10, v97, v11
	v_add_f32_e32 v0, 0x40051340, v9
	s_delay_alu instid0(VALU_DEP_2) | instskip(NEXT) | instid1(VALU_DEP_1)
	v_dual_add_f32 v98, 0x40051340, v8 :: v_dual_add_f32 v11, 0x40051340, v10
	v_max3_num_f32 v0, v100, v0, v98
	s_wait_alu 0xfffd
	v_cndmask_b32_e32 v98, v23, v43, vcc_lo
	v_cmp_gt_i32_e32 vcc_lo, 32, v41
	s_delay_alu instid0(VALU_DEP_2) | instskip(SKIP_4) | instid1(VALU_DEP_1)
	v_lshlrev_b32_e32 v98, 2, v98
	ds_bpermute_b32 v99, v98, v0
	s_wait_dscnt 0x0
	v_max_num_f32_e32 v99, v99, v99
	s_wait_alu 0xfffd
	v_dual_max_num_f32 v0, v0, v99 :: v_dual_cndmask_b32 v99, v23, v41
	v_cmp_gt_i32_e32 vcc_lo, 32, v40
	s_delay_alu instid0(VALU_DEP_2) | instskip(SKIP_4) | instid1(VALU_DEP_1)
	v_lshlrev_b32_e32 v99, 2, v99
	ds_bpermute_b32 v101, v99, v0
	s_wait_dscnt 0x0
	v_max_num_f32_e32 v101, v101, v101
	s_wait_alu 0xfffd
	v_dual_max_num_f32 v0, v0, v101 :: v_dual_cndmask_b32 v101, v23, v40
	;; [unrolled: 8-line block ×3, first 2 shown]
	v_cmp_gt_i32_e32 vcc_lo, 32, v21
	s_delay_alu instid0(VALU_DEP_2) | instskip(SKIP_3) | instid1(VALU_DEP_1)
	v_lshlrev_b32_e32 v109, 2, v101
	ds_bpermute_b32 v101, v109, v0
	s_wait_dscnt 0x0
	v_max_num_f32_e32 v101, v101, v101
	v_max_num_f32_e32 v0, v0, v101
	s_wait_alu 0xfffd
	v_cndmask_b32_e32 v101, v23, v21, vcc_lo
	s_delay_alu instid0(VALU_DEP_1) | instskip(SKIP_3) | instid1(VALU_DEP_1)
	v_lshlrev_b32_e32 v110, 2, v101
	ds_bpermute_b32 v101, v110, v0
	s_wait_dscnt 0x0
	v_max_num_f32_e32 v101, v101, v101
	v_dual_max_num_f32 v0, v0, v101 :: v_dual_mov_b32 v101, v1
	v_add_f32_e32 v1, 0x40051340, v111
	s_delay_alu instid0(VALU_DEP_1) | instskip(SKIP_3) | instid1(VALU_DEP_1)
	v_max3_num_f32 v1, v101, v1, v11
	ds_bpermute_b32 v11, v98, v1
	s_wait_dscnt 0x0
	v_max_num_f32_e32 v11, v11, v11
	v_max_num_f32_e32 v1, v1, v11
	v_sub_f32_e32 v9, v9, v0
	v_sub_f32_e32 v8, v8, v0
	ds_bpermute_b32 v11, v99, v1
	s_wait_dscnt 0x0
	v_max_num_f32_e32 v11, v11, v11
	s_delay_alu instid0(VALU_DEP_1) | instskip(SKIP_3) | instid1(VALU_DEP_1)
	v_max_num_f32_e32 v1, v1, v11
	ds_bpermute_b32 v11, v108, v1
	s_wait_dscnt 0x0
	v_max_num_f32_e32 v11, v11, v11
	v_max_num_f32_e32 v1, v1, v11
	ds_bpermute_b32 v11, v109, v1
	s_wait_dscnt 0x0
	v_max_num_f32_e32 v11, v11, v11
	s_delay_alu instid0(VALU_DEP_1) | instskip(SKIP_3) | instid1(VALU_DEP_1)
	v_max_num_f32_e32 v1, v1, v11
	ds_bpermute_b32 v11, v110, v1
	s_wait_dscnt 0x0
	v_max_num_f32_e32 v11, v11, v11
	v_max_num_f32_e32 v1, v1, v11
	s_clause 0x1
	global_load_u16 v11, v[102:103], off
	global_load_u16 v94, v[102:103], off offset:64
	v_dual_mov_b32 v102, v2 :: v_dual_mov_b32 v103, v3
	s_wait_loadcnt 0x1
	v_cvt_f32_f16_e32 v97, v11
	s_wait_loadcnt 0x0
	v_cvt_f32_f16_e32 v94, v94
	s_delay_alu instid0(VALU_DEP_2) | instskip(NEXT) | instid1(VALU_DEP_2)
	v_add_f32_e32 v92, v92, v97
	v_dual_add_f32 v11, v96, v94 :: v_dual_add_f32 v90, v90, v97
	s_delay_alu instid0(VALU_DEP_2) | instskip(NEXT) | instid1(VALU_DEP_2)
	v_add_f32_e32 v2, 0x40051340, v92
	v_dual_add_f32 v96, 0x40051340, v11 :: v_dual_add_f32 v3, 0x40051340, v90
	s_delay_alu instid0(VALU_DEP_1) | instskip(SKIP_3) | instid1(VALU_DEP_1)
	v_max3_num_f32 v2, v102, v2, v96
	ds_bpermute_b32 v96, v98, v2
	s_wait_dscnt 0x0
	v_max_num_f32_e32 v96, v96, v96
	v_max_num_f32_e32 v2, v2, v96
	ds_bpermute_b32 v96, v99, v2
	s_wait_dscnt 0x0
	v_max_num_f32_e32 v96, v96, v96
	s_delay_alu instid0(VALU_DEP_1) | instskip(SKIP_3) | instid1(VALU_DEP_1)
	v_max_num_f32_e32 v2, v2, v96
	ds_bpermute_b32 v96, v108, v2
	s_wait_dscnt 0x0
	v_max_num_f32_e32 v96, v96, v96
	v_max_num_f32_e32 v2, v2, v96
	ds_bpermute_b32 v96, v109, v2
	s_wait_dscnt 0x0
	v_max_num_f32_e32 v96, v96, v96
	s_delay_alu instid0(VALU_DEP_1) | instskip(SKIP_3) | instid1(VALU_DEP_1)
	v_max_num_f32_e32 v2, v2, v96
	ds_bpermute_b32 v96, v110, v2
	s_wait_dscnt 0x0
	v_max_num_f32_e32 v96, v96, v96
	v_max_num_f32_e32 v2, v2, v96
	v_add_f32_e32 v96, v95, v94
	s_delay_alu instid0(VALU_DEP_1) | instskip(NEXT) | instid1(VALU_DEP_1)
	v_add_f32_e32 v94, 0x40051340, v96
	v_max3_num_f32 v3, v103, v3, v94
	ds_bpermute_b32 v94, v98, v3
	s_wait_dscnt 0x0
	v_max_num_f32_e32 v94, v94, v94
	s_delay_alu instid0(VALU_DEP_1) | instskip(SKIP_3) | instid1(VALU_DEP_1)
	v_max_num_f32_e32 v3, v3, v94
	ds_bpermute_b32 v94, v99, v3
	s_wait_dscnt 0x0
	v_max_num_f32_e32 v94, v94, v94
	v_max_num_f32_e32 v3, v3, v94
	ds_bpermute_b32 v94, v108, v3
	s_wait_dscnt 0x0
	v_max_num_f32_e32 v94, v94, v94
	s_delay_alu instid0(VALU_DEP_1) | instskip(SKIP_3) | instid1(VALU_DEP_1)
	v_max_num_f32_e32 v3, v3, v94
	ds_bpermute_b32 v94, v109, v3
	s_wait_dscnt 0x0
	v_max_num_f32_e32 v94, v94, v94
	v_max_num_f32_e32 v3, v3, v94
	ds_bpermute_b32 v94, v110, v3
	s_wait_dscnt 0x0
	v_max_num_f32_e32 v94, v94, v94
	s_delay_alu instid0(VALU_DEP_1)
	v_max_num_f32_e32 v3, v3, v94
	s_clause 0x1
	global_load_u16 v94, v[104:105], off
	global_load_u16 v95, v[104:105], off offset:64
	v_mov_b32_e32 v105, v5
	s_wait_loadcnt 0x1
	v_cvt_f32_f16_e32 v94, v94
	s_wait_loadcnt 0x0
	v_cvt_f32_f16_e32 v95, v95
	s_delay_alu instid0(VALU_DEP_2) | instskip(NEXT) | instid1(VALU_DEP_2)
	v_add_f32_e32 v88, v88, v94
	v_add_f32_e32 v112, v91, v95
	v_dual_add_f32 v86, v86, v94 :: v_dual_add_f32 v97, v93, v95
	s_delay_alu instid0(VALU_DEP_2) | instskip(NEXT) | instid1(VALU_DEP_2)
	v_dual_add_f32 v91, 0x40051340, v112 :: v_dual_mov_b32 v104, v4
	v_add_f32_e32 v5, 0x40051340, v86
	s_delay_alu instid0(VALU_DEP_3) | instskip(NEXT) | instid1(VALU_DEP_2)
	v_add_f32_e32 v93, 0x40051340, v97
	v_max3_num_f32 v5, v105, v5, v91
	ds_bpermute_b32 v91, v98, v5
	s_wait_dscnt 0x0
	v_dual_add_f32 v4, 0x40051340, v88 :: v_dual_max_num_f32 v91, v91, v91
	s_delay_alu instid0(VALU_DEP_1) | instskip(NEXT) | instid1(VALU_DEP_2)
	v_max3_num_f32 v4, v104, v4, v93
	v_max_num_f32_e32 v5, v5, v91
	ds_bpermute_b32 v93, v98, v4
	ds_bpermute_b32 v91, v99, v5
	s_wait_dscnt 0x1
	v_max_num_f32_e32 v93, v93, v93
	s_wait_dscnt 0x0
	s_delay_alu instid0(VALU_DEP_1) | instskip(NEXT) | instid1(VALU_DEP_1)
	v_dual_max_num_f32 v91, v91, v91 :: v_dual_max_num_f32 v4, v4, v93
	v_max_num_f32_e32 v5, v5, v91
	ds_bpermute_b32 v93, v99, v4
	ds_bpermute_b32 v91, v108, v5
	s_wait_dscnt 0x1
	v_max_num_f32_e32 v93, v93, v93
	s_wait_dscnt 0x0
	s_delay_alu instid0(VALU_DEP_1) | instskip(NEXT) | instid1(VALU_DEP_1)
	v_dual_max_num_f32 v91, v91, v91 :: v_dual_max_num_f32 v4, v4, v93
	;; [unrolled: 8-line block ×4, first 2 shown]
	v_max_num_f32_e32 v5, v5, v91
	ds_bpermute_b32 v93, v110, v4
	s_wait_dscnt 0x0
	v_max_num_f32_e32 v93, v93, v93
	s_delay_alu instid0(VALU_DEP_1)
	v_max_num_f32_e32 v4, v4, v93
	s_clause 0x1
	global_load_u16 v91, v[106:107], off
	global_load_u16 v93, v[106:107], off offset:64
	v_dual_mov_b32 v107, v7 :: v_dual_mov_b32 v106, v6
	s_wait_loadcnt 0x0
	s_barrier_signal -1
	s_barrier_wait -1
	global_inv scope:SCOPE_SE
	v_cvt_f32_f16_e32 v91, v91
	v_cvt_f32_f16_e32 v93, v93
	s_delay_alu instid0(VALU_DEP_1) | instskip(SKIP_1) | instid1(VALU_DEP_2)
	v_dual_add_f32 v84, v84, v91 :: v_dual_add_f32 v113, v89, v93
	v_dual_add_f32 v114, v87, v93 :: v_dual_add_f32 v85, v85, v91
	v_add_f32_e32 v7, 0x40051340, v84
	s_delay_alu instid0(VALU_DEP_3) | instskip(NEXT) | instid1(VALU_DEP_3)
	v_add_f32_e32 v89, 0x40051340, v113
	v_dual_add_f32 v87, 0x40051340, v114 :: v_dual_add_f32 v6, 0x40051340, v85
	s_delay_alu instid0(VALU_DEP_1) | instskip(NEXT) | instid1(VALU_DEP_2)
	v_max3_num_f32 v7, v107, v7, v87
	v_max3_num_f32 v6, v106, v6, v89
	ds_bpermute_b32 v87, v98, v7
	ds_bpermute_b32 v89, v98, v6
	s_wait_dscnt 0x1
	v_max_num_f32_e32 v87, v87, v87
	s_delay_alu instid0(VALU_DEP_1) | instskip(SKIP_3) | instid1(VALU_DEP_1)
	v_max_num_f32_e32 v7, v7, v87
	ds_bpermute_b32 v87, v99, v7
	s_wait_dscnt 0x0
	v_max_num_f32_e32 v87, v87, v87
	v_max_num_f32_e32 v7, v7, v87
	ds_bpermute_b32 v87, v108, v7
	s_wait_dscnt 0x0
	v_max_num_f32_e32 v87, v87, v87
	s_delay_alu instid0(VALU_DEP_1) | instskip(SKIP_3) | instid1(VALU_DEP_1)
	v_max_num_f32_e32 v7, v7, v87
	ds_bpermute_b32 v87, v109, v7
	s_wait_dscnt 0x0
	v_max_num_f32_e32 v87, v87, v87
	v_max_num_f32_e32 v7, v7, v87
	ds_bpermute_b32 v87, v110, v7
	s_wait_dscnt 0x0
	v_max_num_f32_e32 v87, v87, v87
	s_delay_alu instid0(VALU_DEP_1) | instskip(SKIP_1) | instid1(VALU_DEP_2)
	v_max_num_f32_e32 v7, v7, v87
	v_sub_f32_e32 v87, v88, v4
	v_dual_max_num_f32 v89, v89, v89 :: v_dual_sub_f32 v84, v84, v7
	s_delay_alu instid0(VALU_DEP_2) | instskip(NEXT) | instid1(VALU_DEP_2)
	v_mul_f32_e32 v88, 0x3fb8aa3b, v87
	v_max_num_f32_e32 v6, v6, v89
	v_cmp_ngt_f32_e32 vcc_lo, 0xc2ce8ed0, v87
	v_cmp_nlt_f32_e64 s2, 0x42b17218, v87
	v_cmp_ngt_f32_e64 s7, 0xc2ce8ed0, v84
	v_cmp_nlt_f32_e64 s8, 0x42b17218, v84
	ds_bpermute_b32 v89, v99, v6
	s_wait_dscnt 0x0
	v_max_num_f32_e32 v89, v89, v89
	s_delay_alu instid0(VALU_DEP_1)
	v_max_num_f32_e32 v6, v6, v89
	v_sub_f32_e32 v86, v86, v5
	ds_bpermute_b32 v89, v108, v6
	v_cmp_ngt_f32_e64 s3, 0xc2ce8ed0, v86
	v_cmp_nlt_f32_e64 s4, 0x42b17218, v86
	s_wait_dscnt 0x0
	v_max_num_f32_e32 v89, v89, v89
	s_delay_alu instid0(VALU_DEP_1) | instskip(SKIP_3) | instid1(VALU_DEP_1)
	v_max_num_f32_e32 v6, v6, v89
	ds_bpermute_b32 v89, v109, v6
	s_wait_dscnt 0x0
	v_max_num_f32_e32 v89, v89, v89
	v_max_num_f32_e32 v6, v6, v89
	ds_bpermute_b32 v89, v110, v6
	s_wait_dscnt 0x0
	v_max_num_f32_e32 v89, v89, v89
	s_delay_alu instid0(VALU_DEP_1) | instskip(SKIP_1) | instid1(VALU_DEP_1)
	v_max_num_f32_e32 v6, v6, v89
	v_fma_f32 v89, 0x3fb8aa3b, v87, -v88
	v_fmac_f32_e32 v89, 0x32a5705f, v87
	v_mul_f32_e32 v87, 0x3fb8aa3b, v86
	s_delay_alu instid0(VALU_DEP_4) | instskip(NEXT) | instid1(VALU_DEP_2)
	v_sub_f32_e32 v85, v85, v6
	v_fma_f32 v91, 0x3fb8aa3b, v86, -v87
	s_delay_alu instid0(VALU_DEP_2) | instskip(SKIP_1) | instid1(VALU_DEP_3)
	v_cmp_ngt_f32_e64 s5, 0xc2ce8ed0, v85
	v_cmp_nlt_f32_e64 s6, 0x42b17218, v85
	v_fmac_f32_e32 v91, 0x32a5705f, v86
	v_mul_f32_e32 v86, 0x3fb8aa3b, v85
	s_delay_alu instid0(VALU_DEP_1) | instskip(NEXT) | instid1(VALU_DEP_1)
	v_fma_f32 v93, 0x3fb8aa3b, v85, -v86
	v_fmac_f32_e32 v93, 0x32a5705f, v85
	v_mul_f32_e32 v85, 0x3fb8aa3b, v84
	s_delay_alu instid0(VALU_DEP_1) | instskip(NEXT) | instid1(VALU_DEP_1)
	v_fma_f32 v94, 0x3fb8aa3b, v84, -v85
	v_fmac_f32_e32 v94, 0x32a5705f, v84
	v_rndne_f32_e32 v84, v88
	s_delay_alu instid0(VALU_DEP_1) | instskip(SKIP_1) | instid1(VALU_DEP_2)
	v_sub_f32_e32 v88, v88, v84
	v_cvt_i32_f32_e32 v84, v84
	v_add_f32_e32 v88, v88, v89
	v_rndne_f32_e32 v89, v87
	s_delay_alu instid0(VALU_DEP_2) | instskip(NEXT) | instid1(VALU_DEP_1)
	v_exp_f32_e32 v88, v88
	v_sub_f32_e32 v87, v87, v89
	s_delay_alu instid0(VALU_DEP_1) | instskip(SKIP_1) | instid1(TRANS32_DEP_1)
	v_add_f32_e32 v87, v87, v91
	v_rndne_f32_e32 v91, v86
	v_ldexp_f32 v84, v88, v84
	s_delay_alu instid0(VALU_DEP_3) | instskip(NEXT) | instid1(VALU_DEP_2)
	v_exp_f32_e32 v87, v87
	v_sub_f32_e32 v86, v86, v91
	v_cvt_i32_f32_e32 v88, v91
	s_wait_alu 0xfffd
	v_cndmask_b32_e32 v84, 0, v84, vcc_lo
	s_delay_alu instid0(VALU_DEP_3) | instskip(SKIP_1) | instid1(VALU_DEP_2)
	v_add_f32_e32 v86, v86, v93
	v_rndne_f32_e32 v93, v85
	v_exp_f32_e32 v86, v86
	s_delay_alu instid0(VALU_DEP_1) | instskip(NEXT) | instid1(VALU_DEP_1)
	v_sub_f32_e32 v85, v85, v93
	v_add_f32_e32 v85, v85, v94
	s_delay_alu instid0(TRANS32_DEP_1) | instskip(NEXT) | instid1(VALU_DEP_2)
	v_ldexp_f32 v86, v86, v88
	v_exp_f32_e32 v85, v85
	v_cvt_i32_f32_e32 v88, v93
	s_delay_alu instid0(TRANS32_DEP_1) | instid1(VALU_DEP_1)
	v_ldexp_f32 v85, v85, v88
	v_cvt_i32_f32_e32 v88, v89
	s_wait_alu 0xf1ff
	s_delay_alu instid0(VALU_DEP_2) | instskip(NEXT) | instid1(VALU_DEP_2)
	v_cndmask_b32_e64 v85, 0, v85, s7
	v_ldexp_f32 v87, v87, v88
	v_cndmask_b32_e64 v88, 0, v86, s5
	v_cndmask_b32_e64 v86, 0x7f800000, v84, s2
	s_delay_alu instid0(VALU_DEP_4) | instskip(NEXT) | instid1(VALU_DEP_4)
	v_cndmask_b32_e64 v85, 0x7f800000, v85, s8
	v_cndmask_b32_e64 v87, 0, v87, s3
	s_delay_alu instid0(VALU_DEP_4) | instskip(NEXT) | instid1(VALU_DEP_4)
	v_cndmask_b32_e64 v84, 0x7f800000, v88, s6
	v_cvt_f16_f32_e32 v88, v86
	s_delay_alu instid0(VALU_DEP_4) | instskip(NEXT) | instid1(VALU_DEP_4)
	v_cvt_f16_f32_e32 v91, v85
	v_cndmask_b32_e64 v87, 0x7f800000, v87, s4
	s_delay_alu instid0(VALU_DEP_4) | instskip(NEXT) | instid1(VALU_DEP_2)
	v_cvt_f16_f32_e32 v89, v84
	v_cvt_f16_f32_e32 v93, v87
	s_delay_alu instid0(VALU_DEP_2) | instskip(NEXT) | instid1(VALU_DEP_2)
	v_pack_b32_f16 v95, v89, v91
	v_pack_b32_f16 v94, v88, v93
	v_sub_f32_e32 v88, v92, v2
	s_delay_alu instid0(VALU_DEP_1) | instskip(SKIP_2) | instid1(VALU_DEP_3)
	v_mul_f32_e32 v89, 0x3fb8aa3b, v88
	v_cmp_ngt_f32_e32 vcc_lo, 0xc2ce8ed0, v88
	v_cmp_nlt_f32_e64 s2, 0x42b17218, v88
	v_fma_f32 v91, 0x3fb8aa3b, v88, -v89
	s_delay_alu instid0(VALU_DEP_1) | instskip(NEXT) | instid1(VALU_DEP_1)
	v_dual_fmac_f32 v91, 0x32a5705f, v88 :: v_dual_sub_f32 v88, v90, v3
	v_mul_f32_e32 v90, 0x3fb8aa3b, v88
	v_cmp_ngt_f32_e64 s3, 0xc2ce8ed0, v88
	v_cmp_nlt_f32_e64 s4, 0x42b17218, v88
	s_delay_alu instid0(VALU_DEP_3) | instskip(NEXT) | instid1(VALU_DEP_1)
	v_fma_f32 v92, 0x3fb8aa3b, v88, -v90
	v_fmac_f32_e32 v92, 0x32a5705f, v88
	v_rndne_f32_e32 v88, v89
	s_delay_alu instid0(VALU_DEP_1) | instskip(SKIP_1) | instid1(VALU_DEP_2)
	v_sub_f32_e32 v89, v89, v88
	v_cvt_i32_f32_e32 v88, v88
	v_add_f32_e32 v89, v89, v91
	v_rndne_f32_e32 v91, v90
	s_delay_alu instid0(VALU_DEP_2) | instskip(NEXT) | instid1(VALU_DEP_1)
	v_exp_f32_e32 v89, v89
	v_sub_f32_e32 v90, v90, v91
	s_delay_alu instid0(VALU_DEP_1) | instskip(NEXT) | instid1(TRANS32_DEP_1)
	v_add_f32_e32 v90, v90, v92
	v_ldexp_f32 v88, v89, v88
	s_delay_alu instid0(VALU_DEP_2) | instskip(SKIP_2) | instid1(VALU_DEP_2)
	v_exp_f32_e32 v90, v90
	v_cvt_i32_f32_e32 v89, v91
	s_wait_alu 0xfffd
	v_cndmask_b32_e32 v88, 0, v88, vcc_lo
	v_cmp_ngt_f32_e32 vcc_lo, 0xc2ce8ed0, v9
	s_delay_alu instid0(TRANS32_DEP_1) | instid1(VALU_DEP_3)
	v_ldexp_f32 v89, v90, v89
	s_wait_alu 0xf1ff
	s_delay_alu instid0(VALU_DEP_1) | instskip(SKIP_2) | instid1(VALU_DEP_3)
	v_cndmask_b32_e64 v90, 0, v89, s3
	v_cndmask_b32_e64 v89, 0x7f800000, v88, s2
	v_cmp_nlt_f32_e64 s2, 0x42b17218, v9
	v_cndmask_b32_e64 v88, 0x7f800000, v90, s4
	s_delay_alu instid0(VALU_DEP_3) | instskip(NEXT) | instid1(VALU_DEP_2)
	v_cvt_f16_f32_e32 v90, v89
	v_cvt_f16_f32_e32 v91, v88
	s_delay_alu instid0(VALU_DEP_1) | instskip(SKIP_1) | instid1(VALU_DEP_1)
	v_pack_b32_f16 v93, v90, v91
	v_mul_f32_e32 v90, 0x3fb8aa3b, v9
	v_fma_f32 v91, 0x3fb8aa3b, v9, -v90
	s_delay_alu instid0(VALU_DEP_1) | instskip(SKIP_1) | instid1(VALU_DEP_1)
	v_fmac_f32_e32 v91, 0x32a5705f, v9
	v_sub_f32_e32 v9, v111, v1
	v_mul_f32_e32 v92, 0x3fb8aa3b, v9
	v_cmp_ngt_f32_e64 s3, 0xc2ce8ed0, v9
	v_cmp_nlt_f32_e64 s4, 0x42b17218, v9
	s_delay_alu instid0(VALU_DEP_3) | instskip(NEXT) | instid1(VALU_DEP_1)
	v_fma_f32 v98, 0x3fb8aa3b, v9, -v92
	v_fmac_f32_e32 v98, 0x32a5705f, v9
	v_rndne_f32_e32 v9, v90
	s_delay_alu instid0(VALU_DEP_1) | instskip(SKIP_1) | instid1(VALU_DEP_2)
	v_sub_f32_e32 v90, v90, v9
	v_cvt_i32_f32_e32 v9, v9
	v_add_f32_e32 v90, v90, v91
	v_rndne_f32_e32 v91, v92
	s_delay_alu instid0(VALU_DEP_2) | instskip(NEXT) | instid1(VALU_DEP_1)
	v_exp_f32_e32 v90, v90
	v_sub_f32_e32 v92, v92, v91
	s_delay_alu instid0(VALU_DEP_1) | instskip(NEXT) | instid1(TRANS32_DEP_1)
	v_add_f32_e32 v92, v92, v98
	v_ldexp_f32 v9, v90, v9
	v_cvt_i32_f32_e32 v90, v91
	s_delay_alu instid0(VALU_DEP_3) | instskip(SKIP_1) | instid1(VALU_DEP_2)
	v_exp_f32_e32 v91, v92
	s_wait_alu 0xfffd
	v_cndmask_b32_e32 v9, 0, v9, vcc_lo
	s_delay_alu instid0(TRANS32_DEP_1) | instskip(SKIP_1) | instid1(VALU_DEP_2)
	v_ldexp_f32 v90, v91, v90
	s_wait_alu 0xf1ff
	v_cndmask_b32_e64 v91, 0x7f800000, v9, s2
	s_delay_alu instid0(VALU_DEP_2) | instskip(NEXT) | instid1(VALU_DEP_2)
	v_cndmask_b32_e64 v90, 0, v90, s3
	v_cvt_f16_f32_e32 v9, v91
	s_delay_alu instid0(VALU_DEP_2) | instskip(NEXT) | instid1(VALU_DEP_1)
	v_cndmask_b32_e64 v90, 0x7f800000, v90, s4
	v_cvt_f16_f32_e32 v92, v90
	s_delay_alu instid0(VALU_DEP_1)
	v_pack_b32_f16 v92, v9, v92
	v_sub_f32_e32 v9, v97, v4
	ds_store_b128 v63, v[92:95]
	v_mul_f32_e32 v92, 0x3fb8aa3b, v9
	v_cmp_ngt_f32_e32 vcc_lo, 0xc2ce8ed0, v9
	v_cmp_nlt_f32_e64 s2, 0x42b17218, v9
	s_delay_alu instid0(VALU_DEP_3) | instskip(NEXT) | instid1(VALU_DEP_1)
	v_fma_f32 v93, 0x3fb8aa3b, v9, -v92
	v_fmac_f32_e32 v93, 0x32a5705f, v9
	v_sub_f32_e32 v9, v112, v5
	s_delay_alu instid0(VALU_DEP_1) | instskip(SKIP_2) | instid1(VALU_DEP_3)
	v_mul_f32_e32 v94, 0x3fb8aa3b, v9
	v_cmp_ngt_f32_e64 s3, 0xc2ce8ed0, v9
	v_cmp_nlt_f32_e64 s4, 0x42b17218, v9
	v_fma_f32 v95, 0x3fb8aa3b, v9, -v94
	s_delay_alu instid0(VALU_DEP_1) | instskip(SKIP_1) | instid1(VALU_DEP_1)
	v_fmac_f32_e32 v95, 0x32a5705f, v9
	v_sub_f32_e32 v9, v113, v6
	v_mul_f32_e32 v97, 0x3fb8aa3b, v9
	v_cmp_ngt_f32_e64 s5, 0xc2ce8ed0, v9
	v_cmp_nlt_f32_e64 s6, 0x42b17218, v9
	s_delay_alu instid0(VALU_DEP_3) | instskip(NEXT) | instid1(VALU_DEP_1)
	v_fma_f32 v98, 0x3fb8aa3b, v9, -v97
	v_dual_fmac_f32 v98, 0x32a5705f, v9 :: v_dual_sub_f32 v9, v114, v7
	s_delay_alu instid0(VALU_DEP_1) | instskip(SKIP_2) | instid1(VALU_DEP_3)
	v_mul_f32_e32 v99, 0x3fb8aa3b, v9
	v_cmp_ngt_f32_e64 s7, 0xc2ce8ed0, v9
	v_cmp_nlt_f32_e64 s8, 0x42b17218, v9
	v_fma_f32 v108, 0x3fb8aa3b, v9, -v99
	s_delay_alu instid0(VALU_DEP_1) | instskip(SKIP_1) | instid1(VALU_DEP_1)
	v_fmac_f32_e32 v108, 0x32a5705f, v9
	v_rndne_f32_e32 v9, v92
	v_sub_f32_e32 v92, v92, v9
	v_cvt_i32_f32_e32 v9, v9
	s_delay_alu instid0(VALU_DEP_2) | instskip(SKIP_1) | instid1(VALU_DEP_2)
	v_add_f32_e32 v92, v92, v93
	v_rndne_f32_e32 v93, v94
	v_exp_f32_e32 v92, v92
	s_delay_alu instid0(VALU_DEP_1) | instskip(SKIP_1) | instid1(VALU_DEP_2)
	v_sub_f32_e32 v94, v94, v93
	v_cvt_i32_f32_e32 v93, v93
	v_add_f32_e32 v94, v94, v95
	v_rndne_f32_e32 v95, v97
	s_delay_alu instid0(TRANS32_DEP_1) | instskip(NEXT) | instid1(VALU_DEP_3)
	v_ldexp_f32 v9, v92, v9
	v_exp_f32_e32 v94, v94
	s_delay_alu instid0(VALU_DEP_2) | instskip(SKIP_3) | instid1(VALU_DEP_3)
	v_sub_f32_e32 v97, v97, v95
	v_cvt_i32_f32_e32 v92, v95
	s_wait_alu 0xfffd
	v_cndmask_b32_e32 v9, 0, v9, vcc_lo
	v_add_f32_e32 v97, v97, v98
	v_rndne_f32_e32 v98, v99
	s_delay_alu instid0(TRANS32_DEP_1) | instskip(NEXT) | instid1(VALU_DEP_3)
	v_ldexp_f32 v93, v94, v93
	v_exp_f32_e32 v95, v97
	s_delay_alu instid0(VALU_DEP_2) | instskip(SKIP_2) | instid1(VALU_DEP_2)
	v_sub_f32_e32 v99, v99, v98
	s_wait_alu 0xf1ff
	v_cndmask_b32_e64 v94, 0x7f800000, v9, s2
	v_add_f32_e32 v99, v99, v108
	s_delay_alu instid0(VALU_DEP_2) | instskip(NEXT) | instid1(TRANS32_DEP_1)
	v_cvt_f16_f32_e32 v9, v94
	v_ldexp_f32 v92, v95, v92
	s_delay_alu instid0(VALU_DEP_3) | instskip(SKIP_1) | instid1(VALU_DEP_2)
	v_exp_f32_e32 v97, v99
	v_cvt_i32_f32_e32 v95, v98
	v_cndmask_b32_e64 v92, 0, v92, s5
	s_delay_alu instid0(TRANS32_DEP_1) | instid1(VALU_DEP_2)
	v_ldexp_f32 v95, v97, v95
	v_cndmask_b32_e64 v97, 0, v93, s3
	s_delay_alu instid0(VALU_DEP_3) | instskip(NEXT) | instid1(VALU_DEP_3)
	v_cndmask_b32_e64 v93, 0x7f800000, v92, s6
	v_cndmask_b32_e64 v95, 0, v95, s7
	s_delay_alu instid0(VALU_DEP_1) | instskip(NEXT) | instid1(VALU_DEP_4)
	v_cndmask_b32_e64 v92, 0x7f800000, v95, s8
	v_cndmask_b32_e64 v95, 0x7f800000, v97, s4
	s_delay_alu instid0(VALU_DEP_4) | instskip(NEXT) | instid1(VALU_DEP_3)
	v_cvt_f16_f32_e32 v97, v93
	v_cvt_f16_f32_e32 v98, v92
	s_delay_alu instid0(VALU_DEP_3) | instskip(NEXT) | instid1(VALU_DEP_2)
	v_cvt_f16_f32_e32 v99, v95
	v_pack_b32_f16 v111, v97, v98
	s_delay_alu instid0(VALU_DEP_2) | instskip(SKIP_1) | instid1(VALU_DEP_1)
	v_pack_b32_f16 v110, v9, v99
	v_sub_f32_e32 v9, v11, v2
	v_mul_f32_e32 v11, 0x3fb8aa3b, v9
	v_cmp_ngt_f32_e32 vcc_lo, 0xc2ce8ed0, v9
	v_cmp_nlt_f32_e64 s2, 0x42b17218, v9
	s_delay_alu instid0(VALU_DEP_3) | instskip(NEXT) | instid1(VALU_DEP_1)
	v_fma_f32 v97, 0x3fb8aa3b, v9, -v11
	v_fmac_f32_e32 v97, 0x32a5705f, v9
	v_sub_f32_e32 v9, v96, v3
	s_delay_alu instid0(VALU_DEP_1) | instskip(SKIP_2) | instid1(VALU_DEP_3)
	v_mul_f32_e32 v96, 0x3fb8aa3b, v9
	v_cmp_ngt_f32_e64 s3, 0xc2ce8ed0, v9
	v_cmp_nlt_f32_e64 s4, 0x42b17218, v9
	v_fma_f32 v98, 0x3fb8aa3b, v9, -v96
	s_delay_alu instid0(VALU_DEP_1) | instskip(SKIP_1) | instid1(VALU_DEP_1)
	v_fmac_f32_e32 v98, 0x32a5705f, v9
	v_rndne_f32_e32 v9, v11
	v_sub_f32_e32 v11, v11, v9
	v_cvt_i32_f32_e32 v9, v9
	s_delay_alu instid0(VALU_DEP_2) | instskip(SKIP_1) | instid1(VALU_DEP_2)
	v_add_f32_e32 v11, v11, v97
	v_rndne_f32_e32 v97, v96
	v_exp_f32_e32 v11, v11
	s_delay_alu instid0(VALU_DEP_1) | instskip(NEXT) | instid1(VALU_DEP_1)
	v_sub_f32_e32 v96, v96, v97
	v_add_f32_e32 v96, v96, v98
	s_delay_alu instid0(TRANS32_DEP_1) | instskip(NEXT) | instid1(VALU_DEP_2)
	v_ldexp_f32 v9, v11, v9
	v_exp_f32_e32 v96, v96
	v_cvt_i32_f32_e32 v11, v97
	s_wait_alu 0xfffd
	s_delay_alu instid0(VALU_DEP_2) | instskip(SKIP_2) | instid1(VALU_DEP_2)
	v_cndmask_b32_e32 v9, 0, v9, vcc_lo
	v_cmp_ngt_f32_e32 vcc_lo, 0xc2ce8ed0, v8
	s_wait_alu 0xf1ff
	v_cndmask_b32_e64 v97, 0x7f800000, v9, s2
	s_delay_alu instid0(TRANS32_DEP_1) | instskip(SKIP_1) | instid1(VALU_DEP_3)
	v_ldexp_f32 v11, v96, v11
	v_cmp_nlt_f32_e64 s2, 0x42b17218, v8
	v_cvt_f16_f32_e32 v9, v97
	s_delay_alu instid0(VALU_DEP_3) | instskip(NEXT) | instid1(VALU_DEP_1)
	v_cndmask_b32_e64 v11, 0, v11, s3
	v_cndmask_b32_e64 v96, 0x7f800000, v11, s4
	s_delay_alu instid0(VALU_DEP_1) | instskip(NEXT) | instid1(VALU_DEP_1)
	v_cvt_f16_f32_e32 v11, v96
	v_pack_b32_f16 v109, v9, v11
	v_mul_f32_e32 v9, 0x3fb8aa3b, v8
	s_delay_alu instid0(VALU_DEP_1) | instskip(NEXT) | instid1(VALU_DEP_1)
	v_fma_f32 v11, 0x3fb8aa3b, v8, -v9
	v_dual_fmac_f32 v11, 0x32a5705f, v8 :: v_dual_sub_f32 v8, v10, v1
	s_delay_alu instid0(VALU_DEP_1) | instskip(SKIP_2) | instid1(VALU_DEP_3)
	v_mul_f32_e32 v10, 0x3fb8aa3b, v8
	v_cmp_ngt_f32_e64 s3, 0xc2ce8ed0, v8
	v_cmp_nlt_f32_e64 s4, 0x42b17218, v8
	v_fma_f32 v98, 0x3fb8aa3b, v8, -v10
	s_delay_alu instid0(VALU_DEP_1) | instskip(SKIP_1) | instid1(VALU_DEP_1)
	v_fmac_f32_e32 v98, 0x32a5705f, v8
	v_rndne_f32_e32 v8, v9
	v_sub_f32_e32 v9, v9, v8
	v_cvt_i32_f32_e32 v8, v8
	s_delay_alu instid0(VALU_DEP_2) | instskip(SKIP_1) | instid1(VALU_DEP_2)
	v_add_f32_e32 v9, v9, v11
	v_rndne_f32_e32 v11, v10
	v_exp_f32_e32 v9, v9
	s_delay_alu instid0(VALU_DEP_1) | instskip(NEXT) | instid1(VALU_DEP_1)
	v_sub_f32_e32 v10, v10, v11
	v_add_f32_e32 v10, v10, v98
	s_delay_alu instid0(TRANS32_DEP_1) | instskip(NEXT) | instid1(VALU_DEP_2)
	v_ldexp_f32 v8, v9, v8
	v_exp_f32_e32 v10, v10
	v_cvt_i32_f32_e32 v9, v11
	s_wait_alu 0xfffd
	s_delay_alu instid0(VALU_DEP_2) | instskip(SKIP_1) | instid1(VALU_DEP_1)
	v_cndmask_b32_e32 v8, 0, v8, vcc_lo
	s_wait_alu 0xf1ff
	v_cndmask_b32_e64 v99, 0x7f800000, v8, s2
	s_delay_alu instid0(TRANS32_DEP_1) | instskip(NEXT) | instid1(VALU_DEP_2)
	v_ldexp_f32 v9, v10, v9
	v_cvt_f16_f32_e32 v8, v99
	s_delay_alu instid0(VALU_DEP_2) | instskip(SKIP_3) | instid1(VALU_DEP_1)
	v_cndmask_b32_e64 v9, 0, v9, s3
	s_mul_u64 s[2:3], s[22:23], s[42:43]
	s_wait_alu 0xfffe
	s_lshl_b64 s[2:3], s[2:3], 2
	v_cndmask_b32_e64 v98, 0x7f800000, v9, s4
	s_wait_alu 0xfffe
	s_add_nc_u64 s[2:3], s[48:49], s[2:3]
	s_delay_alu instid0(VALU_DEP_1) | instskip(NEXT) | instid1(VALU_DEP_1)
	v_cvt_f16_f32_e32 v9, v98
	v_pack_b32_f16 v108, v8, v9
	s_wait_alu 0xfffe
	v_add_co_u32 v8, vcc_lo, s2, v16
	s_wait_alu 0xfffd
	v_add_co_ci_u32_e64 v9, null, s3, v17, vcc_lo
	ds_store_b128 v63, v[108:111] offset:512
	v_add_co_u32 v8, vcc_lo, v8, v64
	s_wait_alu 0xfffd
	v_add_co_ci_u32_e64 v9, null, 0, v9, vcc_lo
	global_load_b128 v[8:11], v[8:9], off
	s_wait_loadcnt 0x0
	ds_store_b128 v59, v[8:11]
	v_add_co_u32 v8, vcc_lo, s2, v18
	s_wait_alu 0xfffd
	v_add_co_ci_u32_e64 v9, null, s3, v19, vcc_lo
	s_delay_alu instid0(VALU_DEP_2) | instskip(SKIP_1) | instid1(VALU_DEP_2)
	v_add_co_u32 v8, vcc_lo, v8, v64
	s_wait_alu 0xfffd
	v_add_co_ci_u32_e64 v9, null, 0, v9, vcc_lo
	global_load_b128 v[8:11], v[8:9], off
	s_wait_loadcnt 0x0
	ds_store_b128 v60, v[8:11]
	s_wait_dscnt 0x0
	s_barrier_signal -1
	s_barrier_wait -1
	global_inv scope:SCOPE_SE
	ds_load_b128 v[8:11], v58
	s_wait_dscnt 0x0
	v_lshrrev_b32_e32 v108, 16, v8
	v_lshrrev_b32_e32 v109, 16, v9
	;; [unrolled: 1-line block ×4, first 2 shown]
	v_and_b32_e32 v112, 0xffff, v8
	v_and_b32_e32 v113, 0xffff, v9
	;; [unrolled: 1-line block ×4, first 2 shown]
	ds_load_b128 v[8:11], v58 offset:16
	v_mul_u32_u24_e32 v108, 0x10001, v108
	v_mul_u32_u24_e32 v112, 0x10001, v112
	s_wait_dscnt 0x0
	v_lshrrev_b32_e32 v116, 16, v8
	v_and_b32_e32 v120, 0xffff, v8
	v_sub_f32_e32 v8, v100, v0
	v_lshrrev_b32_e32 v117, 16, v9
	v_and_b32_e32 v121, 0xffff, v9
	v_lshrrev_b32_e32 v118, 16, v10
	v_and_b32_e32 v122, 0xffff, v10
	v_mul_f32_e32 v9, 0x3fb8aa3b, v8
	v_cmp_ngt_f32_e32 vcc_lo, 0xc2ce8ed0, v8
	v_cmp_nlt_f32_e64 s2, 0x42b17218, v8
	v_lshrrev_b32_e32 v119, 16, v11
	v_and_b32_e32 v123, 0xffff, v11
	v_fma_f32 v10, 0x3fb8aa3b, v8, -v9
	s_delay_alu instid0(VALU_DEP_1) | instskip(SKIP_1) | instid1(VALU_DEP_1)
	v_fmac_f32_e32 v10, 0x32a5705f, v8
	v_sub_f32_e32 v8, v101, v1
	v_mul_f32_e32 v11, 0x3fb8aa3b, v8
	v_cmp_ngt_f32_e64 s3, 0xc2ce8ed0, v8
	v_cmp_nlt_f32_e64 s4, 0x42b17218, v8
	s_delay_alu instid0(VALU_DEP_3) | instskip(NEXT) | instid1(VALU_DEP_1)
	v_fma_f32 v100, 0x3fb8aa3b, v8, -v11
	v_fmac_f32_e32 v100, 0x32a5705f, v8
	v_sub_f32_e32 v8, v102, v2
	s_delay_alu instid0(VALU_DEP_1) | instskip(SKIP_2) | instid1(VALU_DEP_3)
	v_mul_f32_e32 v101, 0x3fb8aa3b, v8
	v_cmp_ngt_f32_e64 s5, 0xc2ce8ed0, v8
	v_cmp_nlt_f32_e64 s6, 0x42b17218, v8
	v_fma_f32 v102, 0x3fb8aa3b, v8, -v101
	s_delay_alu instid0(VALU_DEP_1) | instskip(SKIP_1) | instid1(VALU_DEP_1)
	v_fmac_f32_e32 v102, 0x32a5705f, v8
	v_sub_f32_e32 v8, v103, v3
	v_mul_f32_e32 v103, 0x3fb8aa3b, v8
	v_cmp_ngt_f32_e64 s7, 0xc2ce8ed0, v8
	v_cmp_nlt_f32_e64 s8, 0x42b17218, v8
	s_delay_alu instid0(VALU_DEP_3) | instskip(NEXT) | instid1(VALU_DEP_1)
	v_fma_f32 v124, 0x3fb8aa3b, v8, -v103
	v_fmac_f32_e32 v124, 0x32a5705f, v8
	v_sub_f32_e32 v8, v104, v4
	s_delay_alu instid0(VALU_DEP_1) | instskip(SKIP_2) | instid1(VALU_DEP_3)
	v_mul_f32_e32 v104, 0x3fb8aa3b, v8
	v_cmp_ngt_f32_e64 s9, 0xc2ce8ed0, v8
	v_cmp_nlt_f32_e64 s10, 0x42b17218, v8
	v_fma_f32 v125, 0x3fb8aa3b, v8, -v104
	s_delay_alu instid0(VALU_DEP_1) | instskip(NEXT) | instid1(VALU_DEP_1)
	v_dual_fmac_f32 v125, 0x32a5705f, v8 :: v_dual_sub_f32 v8, v105, v5
	v_mul_f32_e32 v105, 0x3fb8aa3b, v8
	v_cmp_ngt_f32_e64 s11, 0xc2ce8ed0, v8
	v_cmp_nlt_f32_e64 s12, 0x42b17218, v8
	s_delay_alu instid0(VALU_DEP_3) | instskip(NEXT) | instid1(VALU_DEP_1)
	v_fma_f32 v126, 0x3fb8aa3b, v8, -v105
	v_fmac_f32_e32 v126, 0x32a5705f, v8
	v_sub_f32_e32 v8, v106, v6
	s_delay_alu instid0(VALU_DEP_1) | instskip(SKIP_2) | instid1(VALU_DEP_3)
	v_mul_f32_e32 v106, 0x3fb8aa3b, v8
	v_cmp_ngt_f32_e64 s13, 0xc2ce8ed0, v8
	v_cmp_nlt_f32_e64 s14, 0x42b17218, v8
	v_fma_f32 v127, 0x3fb8aa3b, v8, -v106
	s_delay_alu instid0(VALU_DEP_1) | instskip(NEXT) | instid1(VALU_DEP_1)
	v_dual_fmac_f32 v127, 0x32a5705f, v8 :: v_dual_sub_f32 v8, v107, v7
	v_mul_f32_e32 v107, 0x3fb8aa3b, v8
	v_cmp_ngt_f32_e64 s15, 0xc2ce8ed0, v8
	v_cmp_nlt_f32_e64 s16, 0x42b17218, v8
	s_delay_alu instid0(VALU_DEP_3) | instskip(NEXT) | instid1(VALU_DEP_1)
	v_fma_f32 v128, 0x3fb8aa3b, v8, -v107
	v_fmac_f32_e32 v128, 0x32a5705f, v8
	v_rndne_f32_e32 v8, v9
	s_delay_alu instid0(VALU_DEP_1) | instskip(SKIP_1) | instid1(VALU_DEP_2)
	v_sub_f32_e32 v9, v9, v8
	v_cvt_i32_f32_e32 v8, v8
	v_add_f32_e32 v9, v9, v10
	v_rndne_f32_e32 v10, v11
	s_delay_alu instid0(VALU_DEP_2) | instskip(NEXT) | instid1(VALU_DEP_1)
	v_exp_f32_e32 v9, v9
	v_sub_f32_e32 v11, v11, v10
	s_delay_alu instid0(VALU_DEP_1) | instskip(SKIP_1) | instid1(TRANS32_DEP_1)
	v_add_f32_e32 v11, v11, v100
	v_rndne_f32_e32 v100, v101
	v_ldexp_f32 v8, v9, v8
	v_cvt_i32_f32_e32 v9, v10
	s_delay_alu instid0(VALU_DEP_3) | instskip(SKIP_2) | instid1(VALU_DEP_1)
	v_sub_f32_e32 v101, v101, v100
	v_exp_f32_e32 v10, v11
	s_wait_alu 0xfffd
	v_dual_cndmask_b32 v8, 0, v8 :: v_dual_add_f32 v101, v101, v102
	v_rndne_f32_e32 v102, v103
	s_delay_alu instid0(VALU_DEP_2) | instskip(NEXT) | instid1(VALU_DEP_1)
	v_exp_f32_e32 v11, v101
	v_sub_f32_e32 v103, v103, v102
	s_delay_alu instid0(TRANS32_DEP_2) | instskip(SKIP_1) | instid1(VALU_DEP_3)
	v_ldexp_f32 v9, v10, v9
	v_cvt_i32_f32_e32 v10, v100
	v_add_f32_e32 v103, v103, v124
	v_rndne_f32_e32 v124, v104
	s_delay_alu instid0(TRANS32_DEP_1) | instid1(VALU_DEP_3)
	v_ldexp_f32 v10, v11, v10
	s_delay_alu instid0(VALU_DEP_3) | instskip(NEXT) | instid1(VALU_DEP_2)
	v_exp_f32_e32 v100, v103
	v_sub_f32_e32 v104, v104, v124
	v_cvt_i32_f32_e32 v11, v102
	s_delay_alu instid0(VALU_DEP_2)
	v_add_f32_e32 v104, v104, v125
	v_rndne_f32_e32 v125, v105
	s_delay_alu instid0(TRANS32_DEP_1) | instid1(VALU_DEP_3)
	v_ldexp_f32 v11, v100, v11
	s_delay_alu instid0(VALU_DEP_3) | instskip(NEXT) | instid1(VALU_DEP_2)
	v_exp_f32_e32 v101, v104
	v_sub_f32_e32 v105, v105, v125
	v_cvt_i32_f32_e32 v100, v124
	s_delay_alu instid0(VALU_DEP_2)
	;; [unrolled: 9-line block ×4, first 2 shown]
	v_add_f32_e32 v107, v107, v128
	s_delay_alu instid0(TRANS32_DEP_1) | instid1(VALU_DEP_2)
	v_ldexp_f32 v106, v101, v100
	s_delay_alu instid0(VALU_DEP_2)
	v_exp_f32_e32 v101, v107
	v_cvt_i32_f32_e32 v100, v127
	s_delay_alu instid0(TRANS32_DEP_1) | instid1(VALU_DEP_1)
	v_ldexp_f32 v107, v101, v100
	s_wait_alu 0xf1ff
	v_cndmask_b32_e64 v100, 0x7f800000, v8, s2
	s_or_b32 s2, s22, 32
	s_delay_alu instid0(VALU_DEP_1) | instskip(NEXT) | instid1(VALU_DEP_1)
	v_cvt_f16_f32_e32 v8, v100
	v_and_b32_e32 v8, 0xffff, v8
	s_delay_alu instid0(VALU_DEP_1) | instskip(NEXT) | instid1(VALU_DEP_1)
	v_mul_u32_u24_e32 v8, 0x10001, v8
	v_pk_mul_f16 v82, v82, v8
	v_pk_mul_f16 v83, v83, v8
	v_cndmask_b32_e64 v8, 0, v9, s3
	s_wait_alu 0xfffe
	s_ashr_i32 s3, s2, 31
	s_wait_alu 0xfffe
	s_mul_u64 s[2:3], s[2:3], s[42:43]
	v_cndmask_b32_e64 v101, 0x7f800000, v8, s4
	s_wait_alu 0xfffe
	s_lshl_b64 s[2:3], s[2:3], 2
	s_wait_alu 0xfffe
	s_add_nc_u64 s[2:3], s[48:49], s[2:3]
	v_cvt_f16_f32_e32 v8, v101
	s_delay_alu instid0(VALU_DEP_1) | instskip(NEXT) | instid1(VALU_DEP_1)
	v_and_b32_e32 v8, 0xffff, v8
	v_mul_u32_u24_e32 v8, 0x10001, v8
	s_delay_alu instid0(VALU_DEP_1) | instskip(SKIP_2) | instid1(VALU_DEP_1)
	v_pk_mul_f16 v81, v81, v8
	v_pk_mul_f16 v80, v80, v8
	v_cndmask_b32_e64 v8, 0, v10, s5
	v_cndmask_b32_e64 v102, 0x7f800000, v8, s6
	s_delay_alu instid0(VALU_DEP_1) | instskip(NEXT) | instid1(VALU_DEP_1)
	v_cvt_f16_f32_e32 v8, v102
	v_and_b32_e32 v8, 0xffff, v8
	s_delay_alu instid0(VALU_DEP_1) | instskip(NEXT) | instid1(VALU_DEP_1)
	v_mul_u32_u24_e32 v8, 0x10001, v8
	v_pk_mul_f16 v79, v79, v8
	v_pk_mul_f16 v78, v78, v8
	v_cndmask_b32_e64 v8, 0, v11, s7
	s_delay_alu instid0(VALU_DEP_1) | instskip(NEXT) | instid1(VALU_DEP_1)
	v_cndmask_b32_e64 v103, 0x7f800000, v8, s8
	v_cvt_f16_f32_e32 v8, v103
	s_delay_alu instid0(VALU_DEP_1) | instskip(NEXT) | instid1(VALU_DEP_1)
	v_and_b32_e32 v8, 0xffff, v8
	v_mul_u32_u24_e32 v8, 0x10001, v8
	s_delay_alu instid0(VALU_DEP_1) | instskip(SKIP_2) | instid1(VALU_DEP_1)
	v_pk_mul_f16 v77, v77, v8
	v_pk_mul_f16 v76, v76, v8
	v_cndmask_b32_e64 v8, 0, v104, s9
	v_cndmask_b32_e64 v104, 0x7f800000, v8, s10
	s_delay_alu instid0(VALU_DEP_1) | instskip(NEXT) | instid1(VALU_DEP_1)
	v_cvt_f16_f32_e32 v8, v104
	v_and_b32_e32 v8, 0xffff, v8
	s_delay_alu instid0(VALU_DEP_1) | instskip(NEXT) | instid1(VALU_DEP_1)
	v_mul_u32_u24_e32 v8, 0x10001, v8
	v_pk_mul_f16 v75, v75, v8
	v_pk_mul_f16 v74, v74, v8
	v_cndmask_b32_e64 v8, 0, v105, s11
	s_delay_alu instid0(VALU_DEP_1) | instskip(NEXT) | instid1(VALU_DEP_1)
	v_cndmask_b32_e64 v105, 0x7f800000, v8, s12
	;; [unrolled: 19-line block ×3, first 2 shown]
	v_cvt_f16_f32_e32 v8, v107
	s_delay_alu instid0(VALU_DEP_1) | instskip(NEXT) | instid1(VALU_DEP_1)
	v_and_b32_e32 v8, 0xffff, v8
	v_mul_u32_u24_e32 v8, 0x10001, v8
	s_delay_alu instid0(VALU_DEP_1)
	v_pk_mul_f16 v69, v69, v8
	v_pk_mul_f16 v68, v68, v8
	ds_load_2addr_b64 v[8:11], v61 offset1:32
	s_wait_dscnt 0x0
	v_pk_fma_f16 v81, v8, v108, v81
	v_pk_fma_f16 v80, v9, v108, v80
	v_mul_u32_u24_e32 v108, 0x10001, v113
	v_pk_fma_f16 v82, v8, v112, v82
	v_pk_fma_f16 v83, v9, v112, v83
	s_delay_alu instid0(VALU_DEP_3) | instskip(SKIP_2) | instid1(VALU_DEP_1)
	v_pk_fma_f16 v79, v8, v108, v79
	v_pk_fma_f16 v78, v9, v108, v78
	v_mul_u32_u24_e32 v108, 0x10001, v109
	v_pk_fma_f16 v77, v8, v108, v77
	v_pk_fma_f16 v76, v9, v108, v76
	v_mul_u32_u24_e32 v108, 0x10001, v114
	s_delay_alu instid0(VALU_DEP_1) | instskip(SKIP_2) | instid1(VALU_DEP_1)
	v_pk_fma_f16 v75, v8, v108, v75
	v_pk_fma_f16 v74, v9, v108, v74
	v_mul_u32_u24_e32 v108, 0x10001, v110
	v_pk_fma_f16 v73, v8, v108, v73
	v_pk_fma_f16 v72, v9, v108, v72
	v_mul_u32_u24_e32 v108, 0x10001, v115
	s_delay_alu instid0(VALU_DEP_1) | instskip(SKIP_2) | instid1(VALU_DEP_1)
	v_pk_fma_f16 v71, v8, v108, v71
	v_pk_fma_f16 v70, v9, v108, v70
	v_mul_u32_u24_e32 v108, 0x10001, v111
	v_pk_fma_f16 v9, v9, v108, v68
	v_mul_u32_u24_e32 v68, 0x10001, v120
	v_pk_fma_f16 v8, v8, v108, v69
	s_delay_alu instid0(VALU_DEP_2) | instskip(SKIP_2) | instid1(VALU_DEP_2)
	v_pk_fma_f16 v69, v10, v68, v82
	v_mul_u32_u24_e32 v82, 0x10001, v116
	v_pk_fma_f16 v68, v11, v68, v83
	v_pk_fma_f16 v81, v10, v82, v81
	;; [unrolled: 1-line block ×3, first 2 shown]
	v_mul_u32_u24_e32 v82, 0x10001, v121
	s_delay_alu instid0(VALU_DEP_1) | instskip(SKIP_2) | instid1(VALU_DEP_1)
	v_pk_fma_f16 v79, v10, v82, v79
	v_pk_fma_f16 v78, v11, v82, v78
	v_mul_u32_u24_e32 v82, 0x10001, v117
	v_pk_fma_f16 v77, v10, v82, v77
	v_pk_fma_f16 v76, v11, v82, v76
	v_mul_u32_u24_e32 v82, 0x10001, v122
	s_delay_alu instid0(VALU_DEP_1) | instskip(SKIP_2) | instid1(VALU_DEP_1)
	v_pk_fma_f16 v75, v10, v82, v75
	v_pk_fma_f16 v74, v11, v82, v74
	v_mul_u32_u24_e32 v82, 0x10001, v118
	v_pk_fma_f16 v73, v10, v82, v73
	v_pk_fma_f16 v72, v11, v82, v72
	;; [unrolled: 7-line block ×3, first 2 shown]
	ds_load_b128 v[8:11], v58 offset:32
	s_wait_dscnt 0x0
	v_lshrrev_b32_e32 v108, 16, v8
	v_lshrrev_b32_e32 v109, 16, v9
	;; [unrolled: 1-line block ×4, first 2 shown]
	v_and_b32_e32 v112, 0xffff, v8
	v_and_b32_e32 v113, 0xffff, v9
	;; [unrolled: 1-line block ×4, first 2 shown]
	ds_load_b128 v[8:11], v58 offset:48
	v_mul_u32_u24_e32 v108, 0x10001, v108
	v_mul_u32_u24_e32 v112, 0x10001, v112
	s_wait_dscnt 0x0
	v_lshrrev_b32_e32 v116, 16, v8
	v_lshrrev_b32_e32 v117, 16, v9
	;; [unrolled: 1-line block ×4, first 2 shown]
	v_and_b32_e32 v120, 0xffff, v8
	v_and_b32_e32 v121, 0xffff, v9
	;; [unrolled: 1-line block ×4, first 2 shown]
	ds_load_2addr_b64 v[8:11], v61 offset0:64 offset1:96
	s_wait_dscnt 0x0
	v_pk_fma_f16 v81, v8, v108, v81
	v_pk_fma_f16 v80, v9, v108, v80
	v_mul_u32_u24_e32 v108, 0x10001, v113
	v_pk_fma_f16 v69, v8, v112, v69
	v_pk_fma_f16 v68, v9, v112, v68
	s_delay_alu instid0(VALU_DEP_3) | instskip(SKIP_2) | instid1(VALU_DEP_1)
	v_pk_fma_f16 v79, v8, v108, v79
	v_pk_fma_f16 v78, v9, v108, v78
	v_mul_u32_u24_e32 v108, 0x10001, v109
	v_pk_fma_f16 v77, v8, v108, v77
	v_pk_fma_f16 v76, v9, v108, v76
	v_mul_u32_u24_e32 v108, 0x10001, v114
	s_delay_alu instid0(VALU_DEP_1) | instskip(SKIP_2) | instid1(VALU_DEP_1)
	v_pk_fma_f16 v75, v8, v108, v75
	v_pk_fma_f16 v74, v9, v108, v74
	v_mul_u32_u24_e32 v108, 0x10001, v110
	v_pk_fma_f16 v73, v8, v108, v73
	v_pk_fma_f16 v72, v9, v108, v72
	v_mul_u32_u24_e32 v108, 0x10001, v115
	s_delay_alu instid0(VALU_DEP_1) | instskip(SKIP_2) | instid1(VALU_DEP_1)
	v_pk_fma_f16 v71, v8, v108, v71
	v_pk_fma_f16 v70, v9, v108, v70
	v_mul_u32_u24_e32 v108, 0x10001, v111
	v_pk_fma_f16 v9, v9, v108, v82
	v_mul_u32_u24_e32 v82, 0x10001, v120
	v_pk_fma_f16 v8, v8, v108, v83
	s_delay_alu instid0(VALU_DEP_2) | instskip(SKIP_2) | instid1(VALU_DEP_1)
	v_pk_fma_f16 v69, v10, v82, v69
	v_pk_fma_f16 v68, v11, v82, v68
	v_mul_u32_u24_e32 v82, 0x10001, v116
	v_pk_fma_f16 v81, v10, v82, v81
	v_pk_fma_f16 v80, v11, v82, v80
	v_mul_u32_u24_e32 v82, 0x10001, v121
	s_delay_alu instid0(VALU_DEP_1) | instskip(SKIP_2) | instid1(VALU_DEP_1)
	v_pk_fma_f16 v79, v10, v82, v79
	v_pk_fma_f16 v78, v11, v82, v78
	v_mul_u32_u24_e32 v82, 0x10001, v117
	v_pk_fma_f16 v77, v10, v82, v77
	v_pk_fma_f16 v76, v11, v82, v76
	v_mul_u32_u24_e32 v82, 0x10001, v122
	s_delay_alu instid0(VALU_DEP_1) | instskip(SKIP_2) | instid1(VALU_DEP_1)
	;; [unrolled: 7-line block ×3, first 2 shown]
	v_pk_fma_f16 v71, v10, v82, v71
	v_pk_fma_f16 v70, v11, v82, v70
	v_mul_u32_u24_e32 v82, 0x10001, v119
	v_pk_fma_f16 v83, v10, v82, v8
	v_pk_fma_f16 v82, v11, v82, v9
	ds_load_b128 v[8:11], v58 offset:64
	s_wait_dscnt 0x0
	v_lshrrev_b32_e32 v108, 16, v8
	v_lshrrev_b32_e32 v109, 16, v9
	;; [unrolled: 1-line block ×4, first 2 shown]
	v_and_b32_e32 v112, 0xffff, v8
	v_and_b32_e32 v113, 0xffff, v9
	;; [unrolled: 1-line block ×4, first 2 shown]
	ds_load_b128 v[8:11], v58 offset:80
	v_mul_u32_u24_e32 v108, 0x10001, v108
	v_mul_u32_u24_e32 v112, 0x10001, v112
	s_wait_dscnt 0x0
	v_lshrrev_b32_e32 v116, 16, v8
	v_lshrrev_b32_e32 v117, 16, v9
	;; [unrolled: 1-line block ×4, first 2 shown]
	v_and_b32_e32 v120, 0xffff, v8
	v_and_b32_e32 v121, 0xffff, v9
	;; [unrolled: 1-line block ×4, first 2 shown]
	ds_load_2addr_b64 v[8:11], v61 offset0:128 offset1:160
	s_wait_dscnt 0x0
	v_pk_fma_f16 v81, v8, v108, v81
	v_pk_fma_f16 v80, v9, v108, v80
	v_mul_u32_u24_e32 v108, 0x10001, v113
	v_pk_fma_f16 v69, v8, v112, v69
	v_pk_fma_f16 v68, v9, v112, v68
	s_delay_alu instid0(VALU_DEP_3) | instskip(SKIP_2) | instid1(VALU_DEP_1)
	v_pk_fma_f16 v79, v8, v108, v79
	v_pk_fma_f16 v78, v9, v108, v78
	v_mul_u32_u24_e32 v108, 0x10001, v109
	v_pk_fma_f16 v77, v8, v108, v77
	v_pk_fma_f16 v76, v9, v108, v76
	v_mul_u32_u24_e32 v108, 0x10001, v114
	s_delay_alu instid0(VALU_DEP_1) | instskip(SKIP_2) | instid1(VALU_DEP_1)
	v_pk_fma_f16 v75, v8, v108, v75
	v_pk_fma_f16 v74, v9, v108, v74
	v_mul_u32_u24_e32 v108, 0x10001, v110
	v_pk_fma_f16 v73, v8, v108, v73
	v_pk_fma_f16 v72, v9, v108, v72
	v_mul_u32_u24_e32 v108, 0x10001, v115
	s_delay_alu instid0(VALU_DEP_1) | instskip(SKIP_2) | instid1(VALU_DEP_1)
	v_pk_fma_f16 v71, v8, v108, v71
	v_pk_fma_f16 v70, v9, v108, v70
	v_mul_u32_u24_e32 v108, 0x10001, v111
	v_pk_fma_f16 v9, v9, v108, v82
	v_mul_u32_u24_e32 v82, 0x10001, v120
	v_pk_fma_f16 v8, v8, v108, v83
	s_delay_alu instid0(VALU_DEP_2) | instskip(SKIP_2) | instid1(VALU_DEP_1)
	v_pk_fma_f16 v69, v10, v82, v69
	v_pk_fma_f16 v68, v11, v82, v68
	v_mul_u32_u24_e32 v82, 0x10001, v116
	v_pk_fma_f16 v81, v10, v82, v81
	v_pk_fma_f16 v80, v11, v82, v80
	v_mul_u32_u24_e32 v82, 0x10001, v121
	s_delay_alu instid0(VALU_DEP_1) | instskip(SKIP_2) | instid1(VALU_DEP_1)
	v_pk_fma_f16 v79, v10, v82, v79
	v_pk_fma_f16 v78, v11, v82, v78
	v_mul_u32_u24_e32 v82, 0x10001, v117
	v_pk_fma_f16 v77, v10, v82, v77
	v_pk_fma_f16 v76, v11, v82, v76
	v_mul_u32_u24_e32 v82, 0x10001, v122
	s_delay_alu instid0(VALU_DEP_1) | instskip(SKIP_2) | instid1(VALU_DEP_1)
	v_pk_fma_f16 v75, v10, v82, v75
	v_pk_fma_f16 v74, v11, v82, v74
	v_mul_u32_u24_e32 v82, 0x10001, v118
	v_pk_fma_f16 v73, v10, v82, v73
	v_pk_fma_f16 v72, v11, v82, v72
	v_mul_u32_u24_e32 v82, 0x10001, v123
	s_delay_alu instid0(VALU_DEP_1) | instskip(SKIP_2) | instid1(VALU_DEP_1)
	v_pk_fma_f16 v71, v10, v82, v71
	v_pk_fma_f16 v70, v11, v82, v70
	v_mul_u32_u24_e32 v82, 0x10001, v119
	v_pk_fma_f16 v83, v10, v82, v8
	v_pk_fma_f16 v82, v11, v82, v9
	ds_load_b128 v[8:11], v58 offset:96
	s_wait_dscnt 0x0
	v_lshrrev_b32_e32 v108, 16, v8
	v_lshrrev_b32_e32 v109, 16, v9
	;; [unrolled: 1-line block ×4, first 2 shown]
	v_and_b32_e32 v112, 0xffff, v8
	v_and_b32_e32 v113, 0xffff, v9
	;; [unrolled: 1-line block ×4, first 2 shown]
	ds_load_b128 v[8:11], v58 offset:112
	v_mul_u32_u24_e32 v108, 0x10001, v108
	v_mul_u32_u24_e32 v112, 0x10001, v112
	s_wait_dscnt 0x0
	v_lshrrev_b32_e32 v116, 16, v8
	v_lshrrev_b32_e32 v117, 16, v9
	;; [unrolled: 1-line block ×4, first 2 shown]
	v_and_b32_e32 v120, 0xffff, v8
	v_and_b32_e32 v121, 0xffff, v9
	;; [unrolled: 1-line block ×4, first 2 shown]
	ds_load_2addr_b64 v[8:11], v61 offset0:192 offset1:224
	s_wait_dscnt 0x0
	v_pk_fma_f16 v81, v8, v108, v81
	v_pk_fma_f16 v80, v9, v108, v80
	v_mul_u32_u24_e32 v108, 0x10001, v113
	v_pk_fma_f16 v69, v8, v112, v69
	v_pk_fma_f16 v68, v9, v112, v68
	s_delay_alu instid0(VALU_DEP_3) | instskip(SKIP_2) | instid1(VALU_DEP_1)
	v_pk_fma_f16 v79, v8, v108, v79
	v_pk_fma_f16 v78, v9, v108, v78
	v_mul_u32_u24_e32 v108, 0x10001, v109
	v_pk_fma_f16 v77, v8, v108, v77
	v_pk_fma_f16 v76, v9, v108, v76
	v_mul_u32_u24_e32 v108, 0x10001, v114
	s_delay_alu instid0(VALU_DEP_1) | instskip(SKIP_2) | instid1(VALU_DEP_1)
	v_pk_fma_f16 v75, v8, v108, v75
	v_pk_fma_f16 v74, v9, v108, v74
	v_mul_u32_u24_e32 v108, 0x10001, v110
	v_pk_fma_f16 v73, v8, v108, v73
	v_pk_fma_f16 v72, v9, v108, v72
	v_mul_u32_u24_e32 v108, 0x10001, v115
	s_delay_alu instid0(VALU_DEP_1) | instskip(SKIP_2) | instid1(VALU_DEP_1)
	v_pk_fma_f16 v71, v8, v108, v71
	v_pk_fma_f16 v70, v9, v108, v70
	v_mul_u32_u24_e32 v108, 0x10001, v111
	v_pk_fma_f16 v9, v9, v108, v82
	v_mul_u32_u24_e32 v82, 0x10001, v120
	v_pk_fma_f16 v8, v8, v108, v83
	s_delay_alu instid0(VALU_DEP_2) | instskip(SKIP_2) | instid1(VALU_DEP_1)
	v_pk_fma_f16 v69, v10, v82, v69
	v_pk_fma_f16 v68, v11, v82, v68
	v_mul_u32_u24_e32 v82, 0x10001, v116
	v_pk_fma_f16 v81, v10, v82, v81
	v_pk_fma_f16 v80, v11, v82, v80
	v_mul_u32_u24_e32 v82, 0x10001, v121
	s_delay_alu instid0(VALU_DEP_1) | instskip(SKIP_2) | instid1(VALU_DEP_1)
	v_pk_fma_f16 v79, v10, v82, v79
	v_pk_fma_f16 v78, v11, v82, v78
	v_mul_u32_u24_e32 v82, 0x10001, v117
	v_pk_fma_f16 v77, v10, v82, v77
	v_pk_fma_f16 v76, v11, v82, v76
	v_mul_u32_u24_e32 v82, 0x10001, v122
	s_delay_alu instid0(VALU_DEP_1) | instskip(SKIP_2) | instid1(VALU_DEP_1)
	;; [unrolled: 7-line block ×3, first 2 shown]
	v_pk_fma_f16 v71, v10, v82, v71
	v_pk_fma_f16 v70, v11, v82, v70
	v_mul_u32_u24_e32 v82, 0x10001, v119
	v_pk_fma_f16 v83, v10, v82, v8
	v_pk_fma_f16 v82, v11, v82, v9
	ds_load_b128 v[8:11], v58 offset:128
	s_wait_dscnt 0x0
	v_lshrrev_b32_e32 v108, 16, v8
	v_lshrrev_b32_e32 v109, 16, v9
	;; [unrolled: 1-line block ×4, first 2 shown]
	v_and_b32_e32 v112, 0xffff, v8
	v_and_b32_e32 v113, 0xffff, v9
	;; [unrolled: 1-line block ×4, first 2 shown]
	ds_load_b128 v[8:11], v58 offset:144
	v_mul_u32_u24_e32 v108, 0x10001, v108
	v_mul_u32_u24_e32 v112, 0x10001, v112
	s_wait_dscnt 0x0
	v_lshrrev_b32_e32 v116, 16, v8
	v_lshrrev_b32_e32 v117, 16, v9
	;; [unrolled: 1-line block ×4, first 2 shown]
	v_and_b32_e32 v120, 0xffff, v8
	v_and_b32_e32 v121, 0xffff, v9
	;; [unrolled: 1-line block ×4, first 2 shown]
	ds_load_2addr_b64 v[8:11], v65 offset1:32
	s_wait_dscnt 0x0
	v_pk_fma_f16 v81, v8, v108, v81
	v_pk_fma_f16 v80, v9, v108, v80
	v_mul_u32_u24_e32 v108, 0x10001, v113
	v_pk_fma_f16 v69, v8, v112, v69
	v_pk_fma_f16 v68, v9, v112, v68
	s_delay_alu instid0(VALU_DEP_3) | instskip(SKIP_2) | instid1(VALU_DEP_1)
	v_pk_fma_f16 v79, v8, v108, v79
	v_pk_fma_f16 v78, v9, v108, v78
	v_mul_u32_u24_e32 v108, 0x10001, v109
	v_pk_fma_f16 v77, v8, v108, v77
	v_pk_fma_f16 v76, v9, v108, v76
	v_mul_u32_u24_e32 v108, 0x10001, v114
	s_delay_alu instid0(VALU_DEP_1) | instskip(SKIP_2) | instid1(VALU_DEP_1)
	v_pk_fma_f16 v75, v8, v108, v75
	v_pk_fma_f16 v74, v9, v108, v74
	v_mul_u32_u24_e32 v108, 0x10001, v110
	v_pk_fma_f16 v73, v8, v108, v73
	v_pk_fma_f16 v72, v9, v108, v72
	v_mul_u32_u24_e32 v108, 0x10001, v115
	s_delay_alu instid0(VALU_DEP_1) | instskip(SKIP_2) | instid1(VALU_DEP_1)
	v_pk_fma_f16 v71, v8, v108, v71
	v_pk_fma_f16 v70, v9, v108, v70
	v_mul_u32_u24_e32 v108, 0x10001, v111
	v_pk_fma_f16 v9, v9, v108, v82
	v_mul_u32_u24_e32 v82, 0x10001, v120
	v_pk_fma_f16 v8, v8, v108, v83
	s_delay_alu instid0(VALU_DEP_2) | instskip(SKIP_2) | instid1(VALU_DEP_1)
	v_pk_fma_f16 v69, v10, v82, v69
	v_pk_fma_f16 v68, v11, v82, v68
	v_mul_u32_u24_e32 v82, 0x10001, v116
	v_pk_fma_f16 v81, v10, v82, v81
	v_pk_fma_f16 v80, v11, v82, v80
	v_mul_u32_u24_e32 v82, 0x10001, v121
	s_delay_alu instid0(VALU_DEP_1) | instskip(SKIP_2) | instid1(VALU_DEP_1)
	v_pk_fma_f16 v79, v10, v82, v79
	v_pk_fma_f16 v78, v11, v82, v78
	v_mul_u32_u24_e32 v82, 0x10001, v117
	v_pk_fma_f16 v77, v10, v82, v77
	v_pk_fma_f16 v76, v11, v82, v76
	v_mul_u32_u24_e32 v82, 0x10001, v122
	s_delay_alu instid0(VALU_DEP_1) | instskip(SKIP_2) | instid1(VALU_DEP_1)
	;; [unrolled: 7-line block ×3, first 2 shown]
	v_pk_fma_f16 v71, v10, v82, v71
	v_pk_fma_f16 v70, v11, v82, v70
	v_mul_u32_u24_e32 v82, 0x10001, v119
	v_pk_fma_f16 v83, v10, v82, v8
	v_pk_fma_f16 v82, v11, v82, v9
	ds_load_b128 v[8:11], v58 offset:160
	s_wait_dscnt 0x0
	v_lshrrev_b32_e32 v108, 16, v8
	v_lshrrev_b32_e32 v109, 16, v9
	;; [unrolled: 1-line block ×4, first 2 shown]
	v_and_b32_e32 v112, 0xffff, v8
	v_and_b32_e32 v113, 0xffff, v9
	;; [unrolled: 1-line block ×4, first 2 shown]
	ds_load_b128 v[8:11], v58 offset:176
	v_mul_u32_u24_e32 v108, 0x10001, v108
	v_mul_u32_u24_e32 v112, 0x10001, v112
	s_wait_dscnt 0x0
	v_lshrrev_b32_e32 v116, 16, v8
	v_lshrrev_b32_e32 v117, 16, v9
	;; [unrolled: 1-line block ×4, first 2 shown]
	v_and_b32_e32 v120, 0xffff, v8
	v_and_b32_e32 v121, 0xffff, v9
	;; [unrolled: 1-line block ×4, first 2 shown]
	ds_load_2addr_b64 v[8:11], v65 offset0:64 offset1:96
	s_wait_dscnt 0x0
	v_pk_fma_f16 v81, v8, v108, v81
	v_pk_fma_f16 v80, v9, v108, v80
	v_mul_u32_u24_e32 v108, 0x10001, v113
	v_pk_fma_f16 v69, v8, v112, v69
	v_pk_fma_f16 v68, v9, v112, v68
	s_delay_alu instid0(VALU_DEP_3) | instskip(SKIP_2) | instid1(VALU_DEP_1)
	v_pk_fma_f16 v79, v8, v108, v79
	v_pk_fma_f16 v78, v9, v108, v78
	v_mul_u32_u24_e32 v108, 0x10001, v109
	v_pk_fma_f16 v77, v8, v108, v77
	v_pk_fma_f16 v76, v9, v108, v76
	v_mul_u32_u24_e32 v108, 0x10001, v114
	s_delay_alu instid0(VALU_DEP_1) | instskip(SKIP_2) | instid1(VALU_DEP_1)
	v_pk_fma_f16 v75, v8, v108, v75
	v_pk_fma_f16 v74, v9, v108, v74
	v_mul_u32_u24_e32 v108, 0x10001, v110
	v_pk_fma_f16 v73, v8, v108, v73
	v_pk_fma_f16 v72, v9, v108, v72
	v_mul_u32_u24_e32 v108, 0x10001, v115
	s_delay_alu instid0(VALU_DEP_1) | instskip(SKIP_2) | instid1(VALU_DEP_1)
	v_pk_fma_f16 v71, v8, v108, v71
	v_pk_fma_f16 v70, v9, v108, v70
	v_mul_u32_u24_e32 v108, 0x10001, v111
	v_pk_fma_f16 v9, v9, v108, v82
	v_mul_u32_u24_e32 v82, 0x10001, v120
	v_pk_fma_f16 v8, v8, v108, v83
	s_delay_alu instid0(VALU_DEP_2) | instskip(SKIP_2) | instid1(VALU_DEP_1)
	v_pk_fma_f16 v69, v10, v82, v69
	v_pk_fma_f16 v68, v11, v82, v68
	v_mul_u32_u24_e32 v82, 0x10001, v116
	v_pk_fma_f16 v81, v10, v82, v81
	v_pk_fma_f16 v80, v11, v82, v80
	v_mul_u32_u24_e32 v82, 0x10001, v121
	s_delay_alu instid0(VALU_DEP_1) | instskip(SKIP_2) | instid1(VALU_DEP_1)
	v_pk_fma_f16 v79, v10, v82, v79
	v_pk_fma_f16 v78, v11, v82, v78
	v_mul_u32_u24_e32 v82, 0x10001, v117
	v_pk_fma_f16 v77, v10, v82, v77
	v_pk_fma_f16 v76, v11, v82, v76
	v_mul_u32_u24_e32 v82, 0x10001, v122
	s_delay_alu instid0(VALU_DEP_1) | instskip(SKIP_2) | instid1(VALU_DEP_1)
	;; [unrolled: 7-line block ×3, first 2 shown]
	v_pk_fma_f16 v71, v10, v82, v71
	v_pk_fma_f16 v70, v11, v82, v70
	v_mul_u32_u24_e32 v82, 0x10001, v119
	v_pk_fma_f16 v83, v10, v82, v8
	v_pk_fma_f16 v82, v11, v82, v9
	ds_load_b128 v[8:11], v58 offset:192
	s_wait_dscnt 0x0
	v_lshrrev_b32_e32 v108, 16, v8
	v_lshrrev_b32_e32 v109, 16, v9
	;; [unrolled: 1-line block ×4, first 2 shown]
	v_and_b32_e32 v112, 0xffff, v8
	v_and_b32_e32 v113, 0xffff, v9
	;; [unrolled: 1-line block ×4, first 2 shown]
	ds_load_b128 v[8:11], v58 offset:208
	v_mul_u32_u24_e32 v108, 0x10001, v108
	v_mul_u32_u24_e32 v112, 0x10001, v112
	s_wait_dscnt 0x0
	v_lshrrev_b32_e32 v116, 16, v8
	v_lshrrev_b32_e32 v117, 16, v9
	;; [unrolled: 1-line block ×4, first 2 shown]
	v_and_b32_e32 v120, 0xffff, v8
	v_and_b32_e32 v121, 0xffff, v9
	;; [unrolled: 1-line block ×4, first 2 shown]
	ds_load_2addr_b64 v[8:11], v65 offset0:128 offset1:160
	s_wait_dscnt 0x0
	v_pk_fma_f16 v81, v8, v108, v81
	v_pk_fma_f16 v80, v9, v108, v80
	v_mul_u32_u24_e32 v108, 0x10001, v113
	v_pk_fma_f16 v69, v8, v112, v69
	v_pk_fma_f16 v68, v9, v112, v68
	s_delay_alu instid0(VALU_DEP_3) | instskip(SKIP_2) | instid1(VALU_DEP_1)
	v_pk_fma_f16 v79, v8, v108, v79
	v_pk_fma_f16 v78, v9, v108, v78
	v_mul_u32_u24_e32 v108, 0x10001, v109
	v_pk_fma_f16 v77, v8, v108, v77
	v_pk_fma_f16 v76, v9, v108, v76
	v_mul_u32_u24_e32 v108, 0x10001, v114
	s_delay_alu instid0(VALU_DEP_1) | instskip(SKIP_2) | instid1(VALU_DEP_1)
	v_pk_fma_f16 v75, v8, v108, v75
	v_pk_fma_f16 v74, v9, v108, v74
	v_mul_u32_u24_e32 v108, 0x10001, v110
	v_pk_fma_f16 v73, v8, v108, v73
	v_pk_fma_f16 v72, v9, v108, v72
	v_mul_u32_u24_e32 v108, 0x10001, v115
	s_delay_alu instid0(VALU_DEP_1) | instskip(SKIP_2) | instid1(VALU_DEP_1)
	v_pk_fma_f16 v71, v8, v108, v71
	v_pk_fma_f16 v70, v9, v108, v70
	v_mul_u32_u24_e32 v108, 0x10001, v111
	v_pk_fma_f16 v9, v9, v108, v82
	v_mul_u32_u24_e32 v82, 0x10001, v120
	v_pk_fma_f16 v8, v8, v108, v83
	s_delay_alu instid0(VALU_DEP_2) | instskip(SKIP_2) | instid1(VALU_DEP_1)
	v_pk_fma_f16 v69, v10, v82, v69
	v_pk_fma_f16 v68, v11, v82, v68
	v_mul_u32_u24_e32 v82, 0x10001, v116
	v_pk_fma_f16 v81, v10, v82, v81
	v_pk_fma_f16 v80, v11, v82, v80
	v_mul_u32_u24_e32 v82, 0x10001, v121
	s_delay_alu instid0(VALU_DEP_1) | instskip(SKIP_2) | instid1(VALU_DEP_1)
	v_pk_fma_f16 v79, v10, v82, v79
	v_pk_fma_f16 v78, v11, v82, v78
	v_mul_u32_u24_e32 v82, 0x10001, v117
	v_pk_fma_f16 v77, v10, v82, v77
	v_pk_fma_f16 v76, v11, v82, v76
	v_mul_u32_u24_e32 v82, 0x10001, v122
	s_delay_alu instid0(VALU_DEP_1) | instskip(SKIP_2) | instid1(VALU_DEP_1)
	;; [unrolled: 7-line block ×3, first 2 shown]
	v_pk_fma_f16 v71, v10, v82, v71
	v_pk_fma_f16 v70, v11, v82, v70
	v_mul_u32_u24_e32 v82, 0x10001, v119
	v_pk_fma_f16 v83, v10, v82, v8
	v_pk_fma_f16 v82, v11, v82, v9
	ds_load_b128 v[8:11], v58 offset:224
	s_wait_dscnt 0x0
	v_lshrrev_b32_e32 v108, 16, v8
	v_lshrrev_b32_e32 v109, 16, v9
	;; [unrolled: 1-line block ×4, first 2 shown]
	v_and_b32_e32 v112, 0xffff, v8
	v_and_b32_e32 v113, 0xffff, v9
	;; [unrolled: 1-line block ×4, first 2 shown]
	ds_load_b128 v[8:11], v58 offset:240
	v_mul_u32_u24_e32 v108, 0x10001, v108
	v_mul_u32_u24_e32 v112, 0x10001, v112
	s_wait_dscnt 0x0
	v_lshrrev_b32_e32 v116, 16, v8
	v_lshrrev_b32_e32 v117, 16, v9
	;; [unrolled: 1-line block ×4, first 2 shown]
	v_and_b32_e32 v120, 0xffff, v8
	v_and_b32_e32 v121, 0xffff, v9
	;; [unrolled: 1-line block ×4, first 2 shown]
	ds_load_2addr_b64 v[8:11], v65 offset0:192 offset1:224
	s_wait_dscnt 0x0
	v_pk_fma_f16 v81, v8, v108, v81
	v_pk_fma_f16 v80, v9, v108, v80
	v_mul_u32_u24_e32 v108, 0x10001, v113
	v_pk_fma_f16 v69, v8, v112, v69
	v_pk_fma_f16 v68, v9, v112, v68
	s_delay_alu instid0(VALU_DEP_3) | instskip(SKIP_2) | instid1(VALU_DEP_1)
	v_pk_fma_f16 v79, v8, v108, v79
	v_pk_fma_f16 v78, v9, v108, v78
	v_mul_u32_u24_e32 v108, 0x10001, v109
	v_pk_fma_f16 v77, v8, v108, v77
	v_pk_fma_f16 v76, v9, v108, v76
	v_mul_u32_u24_e32 v108, 0x10001, v114
	s_delay_alu instid0(VALU_DEP_1) | instskip(SKIP_2) | instid1(VALU_DEP_1)
	v_pk_fma_f16 v75, v8, v108, v75
	v_pk_fma_f16 v74, v9, v108, v74
	v_mul_u32_u24_e32 v108, 0x10001, v110
	v_pk_fma_f16 v73, v8, v108, v73
	v_pk_fma_f16 v72, v9, v108, v72
	v_mul_u32_u24_e32 v108, 0x10001, v115
	s_delay_alu instid0(VALU_DEP_1) | instskip(SKIP_2) | instid1(VALU_DEP_1)
	v_pk_fma_f16 v71, v8, v108, v71
	v_pk_fma_f16 v70, v9, v108, v70
	v_mul_u32_u24_e32 v108, 0x10001, v111
	v_pk_fma_f16 v9, v9, v108, v82
	v_mul_u32_u24_e32 v82, 0x10001, v120
	v_pk_fma_f16 v8, v8, v108, v83
	s_delay_alu instid0(VALU_DEP_2) | instskip(SKIP_2) | instid1(VALU_DEP_1)
	v_pk_fma_f16 v69, v10, v82, v69
	v_pk_fma_f16 v68, v11, v82, v68
	v_mul_u32_u24_e32 v82, 0x10001, v116
	v_pk_fma_f16 v81, v10, v82, v81
	v_pk_fma_f16 v80, v11, v82, v80
	v_mul_u32_u24_e32 v82, 0x10001, v121
	s_delay_alu instid0(VALU_DEP_1) | instskip(SKIP_2) | instid1(VALU_DEP_1)
	v_pk_fma_f16 v79, v10, v82, v79
	v_pk_fma_f16 v78, v11, v82, v78
	v_mul_u32_u24_e32 v82, 0x10001, v117
	v_pk_fma_f16 v77, v10, v82, v77
	v_pk_fma_f16 v76, v11, v82, v76
	v_mul_u32_u24_e32 v82, 0x10001, v122
	s_delay_alu instid0(VALU_DEP_1) | instskip(SKIP_2) | instid1(VALU_DEP_1)
	v_pk_fma_f16 v75, v10, v82, v75
	v_pk_fma_f16 v74, v11, v82, v74
	v_mul_u32_u24_e32 v82, 0x10001, v118
	v_pk_fma_f16 v73, v10, v82, v73
	v_pk_fma_f16 v72, v11, v82, v72
	v_mul_u32_u24_e32 v82, 0x10001, v123
	s_delay_alu instid0(VALU_DEP_1) | instskip(SKIP_2) | instid1(VALU_DEP_1)
	v_pk_fma_f16 v71, v10, v82, v71
	v_pk_fma_f16 v70, v11, v82, v70
	v_mul_u32_u24_e32 v82, 0x10001, v119
	v_pk_fma_f16 v83, v10, v82, v8
	v_pk_fma_f16 v82, v11, v82, v9
	ds_load_b128 v[8:11], v58 offset:256
	s_wait_dscnt 0x0
	v_lshrrev_b32_e32 v108, 16, v8
	v_lshrrev_b32_e32 v109, 16, v9
	;; [unrolled: 1-line block ×4, first 2 shown]
	v_and_b32_e32 v112, 0xffff, v8
	v_and_b32_e32 v113, 0xffff, v9
	v_and_b32_e32 v114, 0xffff, v10
	v_and_b32_e32 v115, 0xffff, v11
	ds_load_b128 v[8:11], v58 offset:272
	v_mul_u32_u24_e32 v108, 0x10001, v108
	v_mul_u32_u24_e32 v112, 0x10001, v112
	s_wait_dscnt 0x0
	v_lshrrev_b32_e32 v116, 16, v8
	v_lshrrev_b32_e32 v117, 16, v9
	;; [unrolled: 1-line block ×4, first 2 shown]
	v_and_b32_e32 v120, 0xffff, v8
	v_and_b32_e32 v121, 0xffff, v9
	;; [unrolled: 1-line block ×4, first 2 shown]
	ds_load_2addr_b64 v[8:11], v66 offset1:32
	s_wait_dscnt 0x0
	v_pk_fma_f16 v81, v8, v108, v81
	v_pk_fma_f16 v80, v9, v108, v80
	v_mul_u32_u24_e32 v108, 0x10001, v113
	v_pk_fma_f16 v69, v8, v112, v69
	v_pk_fma_f16 v68, v9, v112, v68
	s_delay_alu instid0(VALU_DEP_3) | instskip(SKIP_2) | instid1(VALU_DEP_1)
	v_pk_fma_f16 v79, v8, v108, v79
	v_pk_fma_f16 v78, v9, v108, v78
	v_mul_u32_u24_e32 v108, 0x10001, v109
	v_pk_fma_f16 v77, v8, v108, v77
	v_pk_fma_f16 v76, v9, v108, v76
	v_mul_u32_u24_e32 v108, 0x10001, v114
	s_delay_alu instid0(VALU_DEP_1) | instskip(SKIP_2) | instid1(VALU_DEP_1)
	v_pk_fma_f16 v75, v8, v108, v75
	v_pk_fma_f16 v74, v9, v108, v74
	v_mul_u32_u24_e32 v108, 0x10001, v110
	v_pk_fma_f16 v73, v8, v108, v73
	v_pk_fma_f16 v72, v9, v108, v72
	v_mul_u32_u24_e32 v108, 0x10001, v115
	s_delay_alu instid0(VALU_DEP_1) | instskip(SKIP_2) | instid1(VALU_DEP_1)
	v_pk_fma_f16 v71, v8, v108, v71
	v_pk_fma_f16 v70, v9, v108, v70
	v_mul_u32_u24_e32 v108, 0x10001, v111
	v_pk_fma_f16 v9, v9, v108, v82
	v_mul_u32_u24_e32 v82, 0x10001, v120
	v_pk_fma_f16 v8, v8, v108, v83
	s_delay_alu instid0(VALU_DEP_2) | instskip(SKIP_2) | instid1(VALU_DEP_1)
	v_pk_fma_f16 v69, v10, v82, v69
	v_pk_fma_f16 v68, v11, v82, v68
	v_mul_u32_u24_e32 v82, 0x10001, v116
	v_pk_fma_f16 v81, v10, v82, v81
	v_pk_fma_f16 v80, v11, v82, v80
	v_mul_u32_u24_e32 v82, 0x10001, v121
	s_delay_alu instid0(VALU_DEP_1) | instskip(SKIP_2) | instid1(VALU_DEP_1)
	v_pk_fma_f16 v79, v10, v82, v79
	v_pk_fma_f16 v78, v11, v82, v78
	v_mul_u32_u24_e32 v82, 0x10001, v117
	v_pk_fma_f16 v77, v10, v82, v77
	v_pk_fma_f16 v76, v11, v82, v76
	v_mul_u32_u24_e32 v82, 0x10001, v122
	s_delay_alu instid0(VALU_DEP_1) | instskip(SKIP_2) | instid1(VALU_DEP_1)
	;; [unrolled: 7-line block ×3, first 2 shown]
	v_pk_fma_f16 v71, v10, v82, v71
	v_pk_fma_f16 v70, v11, v82, v70
	v_mul_u32_u24_e32 v82, 0x10001, v119
	v_pk_fma_f16 v83, v10, v82, v8
	v_pk_fma_f16 v82, v11, v82, v9
	ds_load_b128 v[8:11], v58 offset:288
	s_wait_dscnt 0x0
	v_lshrrev_b32_e32 v108, 16, v8
	v_lshrrev_b32_e32 v109, 16, v9
	v_lshrrev_b32_e32 v110, 16, v10
	v_lshrrev_b32_e32 v111, 16, v11
	v_and_b32_e32 v112, 0xffff, v8
	v_and_b32_e32 v113, 0xffff, v9
	;; [unrolled: 1-line block ×4, first 2 shown]
	ds_load_b128 v[8:11], v58 offset:304
	v_mul_u32_u24_e32 v108, 0x10001, v108
	v_mul_u32_u24_e32 v112, 0x10001, v112
	s_wait_dscnt 0x0
	v_lshrrev_b32_e32 v116, 16, v8
	v_lshrrev_b32_e32 v117, 16, v9
	;; [unrolled: 1-line block ×4, first 2 shown]
	v_and_b32_e32 v120, 0xffff, v8
	v_and_b32_e32 v121, 0xffff, v9
	;; [unrolled: 1-line block ×4, first 2 shown]
	ds_load_2addr_b64 v[8:11], v66 offset0:64 offset1:96
	s_wait_dscnt 0x0
	v_pk_fma_f16 v81, v8, v108, v81
	v_pk_fma_f16 v80, v9, v108, v80
	v_mul_u32_u24_e32 v108, 0x10001, v113
	v_pk_fma_f16 v69, v8, v112, v69
	v_pk_fma_f16 v68, v9, v112, v68
	s_delay_alu instid0(VALU_DEP_3) | instskip(SKIP_2) | instid1(VALU_DEP_1)
	v_pk_fma_f16 v79, v8, v108, v79
	v_pk_fma_f16 v78, v9, v108, v78
	v_mul_u32_u24_e32 v108, 0x10001, v109
	v_pk_fma_f16 v77, v8, v108, v77
	v_pk_fma_f16 v76, v9, v108, v76
	v_mul_u32_u24_e32 v108, 0x10001, v114
	s_delay_alu instid0(VALU_DEP_1) | instskip(SKIP_2) | instid1(VALU_DEP_1)
	v_pk_fma_f16 v75, v8, v108, v75
	v_pk_fma_f16 v74, v9, v108, v74
	v_mul_u32_u24_e32 v108, 0x10001, v110
	v_pk_fma_f16 v73, v8, v108, v73
	v_pk_fma_f16 v72, v9, v108, v72
	v_mul_u32_u24_e32 v108, 0x10001, v115
	s_delay_alu instid0(VALU_DEP_1) | instskip(SKIP_2) | instid1(VALU_DEP_1)
	v_pk_fma_f16 v71, v8, v108, v71
	v_pk_fma_f16 v70, v9, v108, v70
	v_mul_u32_u24_e32 v108, 0x10001, v111
	v_pk_fma_f16 v9, v9, v108, v82
	v_mul_u32_u24_e32 v82, 0x10001, v120
	v_pk_fma_f16 v8, v8, v108, v83
	s_delay_alu instid0(VALU_DEP_2) | instskip(SKIP_2) | instid1(VALU_DEP_1)
	v_pk_fma_f16 v69, v10, v82, v69
	v_pk_fma_f16 v68, v11, v82, v68
	v_mul_u32_u24_e32 v82, 0x10001, v116
	v_pk_fma_f16 v81, v10, v82, v81
	v_pk_fma_f16 v80, v11, v82, v80
	v_mul_u32_u24_e32 v82, 0x10001, v121
	s_delay_alu instid0(VALU_DEP_1) | instskip(SKIP_2) | instid1(VALU_DEP_1)
	v_pk_fma_f16 v79, v10, v82, v79
	v_pk_fma_f16 v78, v11, v82, v78
	v_mul_u32_u24_e32 v82, 0x10001, v117
	v_pk_fma_f16 v77, v10, v82, v77
	v_pk_fma_f16 v76, v11, v82, v76
	v_mul_u32_u24_e32 v82, 0x10001, v122
	s_delay_alu instid0(VALU_DEP_1) | instskip(SKIP_2) | instid1(VALU_DEP_1)
	;; [unrolled: 7-line block ×3, first 2 shown]
	v_pk_fma_f16 v71, v10, v82, v71
	v_pk_fma_f16 v70, v11, v82, v70
	v_mul_u32_u24_e32 v82, 0x10001, v119
	v_pk_fma_f16 v83, v10, v82, v8
	v_pk_fma_f16 v82, v11, v82, v9
	ds_load_b128 v[8:11], v58 offset:320
	s_wait_dscnt 0x0
	v_lshrrev_b32_e32 v108, 16, v8
	v_lshrrev_b32_e32 v109, 16, v9
	;; [unrolled: 1-line block ×4, first 2 shown]
	v_and_b32_e32 v112, 0xffff, v8
	v_and_b32_e32 v113, 0xffff, v9
	;; [unrolled: 1-line block ×4, first 2 shown]
	ds_load_b128 v[8:11], v58 offset:336
	v_mul_u32_u24_e32 v108, 0x10001, v108
	v_mul_u32_u24_e32 v112, 0x10001, v112
	s_wait_dscnt 0x0
	v_lshrrev_b32_e32 v116, 16, v8
	v_lshrrev_b32_e32 v117, 16, v9
	;; [unrolled: 1-line block ×4, first 2 shown]
	v_and_b32_e32 v120, 0xffff, v8
	v_and_b32_e32 v121, 0xffff, v9
	;; [unrolled: 1-line block ×4, first 2 shown]
	ds_load_2addr_b64 v[8:11], v66 offset0:128 offset1:160
	s_wait_dscnt 0x0
	v_pk_fma_f16 v81, v8, v108, v81
	v_pk_fma_f16 v80, v9, v108, v80
	v_mul_u32_u24_e32 v108, 0x10001, v113
	v_pk_fma_f16 v69, v8, v112, v69
	v_pk_fma_f16 v68, v9, v112, v68
	s_delay_alu instid0(VALU_DEP_3) | instskip(SKIP_2) | instid1(VALU_DEP_1)
	v_pk_fma_f16 v79, v8, v108, v79
	v_pk_fma_f16 v78, v9, v108, v78
	v_mul_u32_u24_e32 v108, 0x10001, v109
	v_pk_fma_f16 v77, v8, v108, v77
	v_pk_fma_f16 v76, v9, v108, v76
	v_mul_u32_u24_e32 v108, 0x10001, v114
	s_delay_alu instid0(VALU_DEP_1) | instskip(SKIP_2) | instid1(VALU_DEP_1)
	v_pk_fma_f16 v75, v8, v108, v75
	v_pk_fma_f16 v74, v9, v108, v74
	v_mul_u32_u24_e32 v108, 0x10001, v110
	v_pk_fma_f16 v73, v8, v108, v73
	v_pk_fma_f16 v72, v9, v108, v72
	v_mul_u32_u24_e32 v108, 0x10001, v115
	s_delay_alu instid0(VALU_DEP_1) | instskip(SKIP_2) | instid1(VALU_DEP_1)
	v_pk_fma_f16 v71, v8, v108, v71
	v_pk_fma_f16 v70, v9, v108, v70
	v_mul_u32_u24_e32 v108, 0x10001, v111
	v_pk_fma_f16 v9, v9, v108, v82
	v_mul_u32_u24_e32 v82, 0x10001, v120
	v_pk_fma_f16 v8, v8, v108, v83
	s_delay_alu instid0(VALU_DEP_2) | instskip(SKIP_2) | instid1(VALU_DEP_1)
	v_pk_fma_f16 v69, v10, v82, v69
	v_pk_fma_f16 v68, v11, v82, v68
	v_mul_u32_u24_e32 v82, 0x10001, v116
	v_pk_fma_f16 v81, v10, v82, v81
	v_pk_fma_f16 v80, v11, v82, v80
	v_mul_u32_u24_e32 v82, 0x10001, v121
	s_delay_alu instid0(VALU_DEP_1) | instskip(SKIP_2) | instid1(VALU_DEP_1)
	v_pk_fma_f16 v79, v10, v82, v79
	v_pk_fma_f16 v78, v11, v82, v78
	v_mul_u32_u24_e32 v82, 0x10001, v117
	v_pk_fma_f16 v77, v10, v82, v77
	v_pk_fma_f16 v76, v11, v82, v76
	v_mul_u32_u24_e32 v82, 0x10001, v122
	s_delay_alu instid0(VALU_DEP_1) | instskip(SKIP_2) | instid1(VALU_DEP_1)
	;; [unrolled: 7-line block ×3, first 2 shown]
	v_pk_fma_f16 v71, v10, v82, v71
	v_pk_fma_f16 v70, v11, v82, v70
	v_mul_u32_u24_e32 v82, 0x10001, v119
	v_pk_fma_f16 v83, v10, v82, v8
	v_pk_fma_f16 v82, v11, v82, v9
	ds_load_b128 v[8:11], v58 offset:352
	s_wait_dscnt 0x0
	v_lshrrev_b32_e32 v108, 16, v8
	v_lshrrev_b32_e32 v109, 16, v9
	;; [unrolled: 1-line block ×4, first 2 shown]
	v_and_b32_e32 v112, 0xffff, v8
	v_and_b32_e32 v113, 0xffff, v9
	;; [unrolled: 1-line block ×4, first 2 shown]
	ds_load_b128 v[8:11], v58 offset:368
	v_mul_u32_u24_e32 v108, 0x10001, v108
	v_mul_u32_u24_e32 v112, 0x10001, v112
	s_wait_dscnt 0x0
	v_lshrrev_b32_e32 v116, 16, v8
	v_lshrrev_b32_e32 v117, 16, v9
	;; [unrolled: 1-line block ×4, first 2 shown]
	v_and_b32_e32 v120, 0xffff, v8
	v_and_b32_e32 v121, 0xffff, v9
	;; [unrolled: 1-line block ×4, first 2 shown]
	ds_load_2addr_b64 v[8:11], v66 offset0:192 offset1:224
	s_wait_dscnt 0x0
	v_pk_fma_f16 v81, v8, v108, v81
	v_pk_fma_f16 v80, v9, v108, v80
	v_mul_u32_u24_e32 v108, 0x10001, v113
	v_pk_fma_f16 v69, v8, v112, v69
	v_pk_fma_f16 v68, v9, v112, v68
	s_delay_alu instid0(VALU_DEP_3) | instskip(SKIP_2) | instid1(VALU_DEP_1)
	v_pk_fma_f16 v79, v8, v108, v79
	v_pk_fma_f16 v78, v9, v108, v78
	v_mul_u32_u24_e32 v108, 0x10001, v109
	v_pk_fma_f16 v77, v8, v108, v77
	v_pk_fma_f16 v76, v9, v108, v76
	v_mul_u32_u24_e32 v108, 0x10001, v114
	s_delay_alu instid0(VALU_DEP_1) | instskip(SKIP_2) | instid1(VALU_DEP_1)
	v_pk_fma_f16 v75, v8, v108, v75
	v_pk_fma_f16 v74, v9, v108, v74
	v_mul_u32_u24_e32 v108, 0x10001, v110
	v_pk_fma_f16 v73, v8, v108, v73
	v_pk_fma_f16 v72, v9, v108, v72
	v_mul_u32_u24_e32 v108, 0x10001, v115
	s_delay_alu instid0(VALU_DEP_1) | instskip(SKIP_2) | instid1(VALU_DEP_1)
	v_pk_fma_f16 v71, v8, v108, v71
	v_pk_fma_f16 v70, v9, v108, v70
	v_mul_u32_u24_e32 v108, 0x10001, v111
	v_pk_fma_f16 v9, v9, v108, v82
	v_mul_u32_u24_e32 v82, 0x10001, v120
	v_pk_fma_f16 v8, v8, v108, v83
	s_delay_alu instid0(VALU_DEP_2) | instskip(SKIP_2) | instid1(VALU_DEP_1)
	v_pk_fma_f16 v69, v10, v82, v69
	v_pk_fma_f16 v68, v11, v82, v68
	v_mul_u32_u24_e32 v82, 0x10001, v116
	v_pk_fma_f16 v81, v10, v82, v81
	v_pk_fma_f16 v80, v11, v82, v80
	v_mul_u32_u24_e32 v82, 0x10001, v121
	s_delay_alu instid0(VALU_DEP_1) | instskip(SKIP_2) | instid1(VALU_DEP_1)
	v_pk_fma_f16 v79, v10, v82, v79
	v_pk_fma_f16 v78, v11, v82, v78
	v_mul_u32_u24_e32 v82, 0x10001, v117
	v_pk_fma_f16 v77, v10, v82, v77
	v_pk_fma_f16 v76, v11, v82, v76
	v_mul_u32_u24_e32 v82, 0x10001, v122
	s_delay_alu instid0(VALU_DEP_1) | instskip(SKIP_2) | instid1(VALU_DEP_1)
	;; [unrolled: 7-line block ×3, first 2 shown]
	v_pk_fma_f16 v71, v10, v82, v71
	v_pk_fma_f16 v70, v11, v82, v70
	v_mul_u32_u24_e32 v82, 0x10001, v119
	v_pk_fma_f16 v83, v10, v82, v8
	v_pk_fma_f16 v82, v11, v82, v9
	ds_load_b128 v[8:11], v58 offset:384
	s_wait_dscnt 0x0
	v_lshrrev_b32_e32 v108, 16, v8
	v_lshrrev_b32_e32 v109, 16, v9
	;; [unrolled: 1-line block ×4, first 2 shown]
	v_and_b32_e32 v112, 0xffff, v8
	v_and_b32_e32 v113, 0xffff, v9
	;; [unrolled: 1-line block ×4, first 2 shown]
	ds_load_b128 v[8:11], v58 offset:400
	v_mul_u32_u24_e32 v108, 0x10001, v108
	v_mul_u32_u24_e32 v112, 0x10001, v112
	s_wait_dscnt 0x0
	v_lshrrev_b32_e32 v116, 16, v8
	v_lshrrev_b32_e32 v117, 16, v9
	;; [unrolled: 1-line block ×4, first 2 shown]
	v_and_b32_e32 v120, 0xffff, v8
	v_and_b32_e32 v121, 0xffff, v9
	;; [unrolled: 1-line block ×4, first 2 shown]
	ds_load_2addr_b64 v[8:11], v67 offset1:32
	s_wait_dscnt 0x0
	v_pk_fma_f16 v81, v8, v108, v81
	v_pk_fma_f16 v80, v9, v108, v80
	v_mul_u32_u24_e32 v108, 0x10001, v113
	v_pk_fma_f16 v69, v8, v112, v69
	v_pk_fma_f16 v68, v9, v112, v68
	s_delay_alu instid0(VALU_DEP_3) | instskip(SKIP_2) | instid1(VALU_DEP_1)
	v_pk_fma_f16 v79, v8, v108, v79
	v_pk_fma_f16 v78, v9, v108, v78
	v_mul_u32_u24_e32 v108, 0x10001, v109
	v_pk_fma_f16 v77, v8, v108, v77
	v_pk_fma_f16 v76, v9, v108, v76
	v_mul_u32_u24_e32 v108, 0x10001, v114
	s_delay_alu instid0(VALU_DEP_1) | instskip(SKIP_2) | instid1(VALU_DEP_1)
	v_pk_fma_f16 v75, v8, v108, v75
	v_pk_fma_f16 v74, v9, v108, v74
	v_mul_u32_u24_e32 v108, 0x10001, v110
	v_pk_fma_f16 v73, v8, v108, v73
	v_pk_fma_f16 v72, v9, v108, v72
	v_mul_u32_u24_e32 v108, 0x10001, v115
	s_delay_alu instid0(VALU_DEP_1) | instskip(SKIP_2) | instid1(VALU_DEP_1)
	v_pk_fma_f16 v71, v8, v108, v71
	v_pk_fma_f16 v70, v9, v108, v70
	v_mul_u32_u24_e32 v108, 0x10001, v111
	v_pk_fma_f16 v9, v9, v108, v82
	v_mul_u32_u24_e32 v82, 0x10001, v120
	v_pk_fma_f16 v8, v8, v108, v83
	s_delay_alu instid0(VALU_DEP_2) | instskip(SKIP_2) | instid1(VALU_DEP_1)
	v_pk_fma_f16 v69, v10, v82, v69
	v_pk_fma_f16 v68, v11, v82, v68
	v_mul_u32_u24_e32 v82, 0x10001, v116
	v_pk_fma_f16 v81, v10, v82, v81
	v_pk_fma_f16 v80, v11, v82, v80
	v_mul_u32_u24_e32 v82, 0x10001, v121
	s_delay_alu instid0(VALU_DEP_1) | instskip(SKIP_2) | instid1(VALU_DEP_1)
	v_pk_fma_f16 v79, v10, v82, v79
	v_pk_fma_f16 v78, v11, v82, v78
	v_mul_u32_u24_e32 v82, 0x10001, v117
	v_pk_fma_f16 v77, v10, v82, v77
	v_pk_fma_f16 v76, v11, v82, v76
	v_mul_u32_u24_e32 v82, 0x10001, v122
	s_delay_alu instid0(VALU_DEP_1) | instskip(SKIP_2) | instid1(VALU_DEP_1)
	;; [unrolled: 7-line block ×3, first 2 shown]
	v_pk_fma_f16 v71, v10, v82, v71
	v_pk_fma_f16 v70, v11, v82, v70
	v_mul_u32_u24_e32 v82, 0x10001, v119
	v_pk_fma_f16 v83, v10, v82, v8
	v_pk_fma_f16 v82, v11, v82, v9
	ds_load_b128 v[8:11], v58 offset:416
	s_wait_dscnt 0x0
	v_lshrrev_b32_e32 v108, 16, v8
	v_lshrrev_b32_e32 v109, 16, v9
	;; [unrolled: 1-line block ×4, first 2 shown]
	v_and_b32_e32 v112, 0xffff, v8
	v_and_b32_e32 v113, 0xffff, v9
	;; [unrolled: 1-line block ×4, first 2 shown]
	ds_load_b128 v[8:11], v58 offset:432
	v_mul_u32_u24_e32 v108, 0x10001, v108
	v_mul_u32_u24_e32 v112, 0x10001, v112
	s_wait_dscnt 0x0
	v_lshrrev_b32_e32 v116, 16, v8
	v_lshrrev_b32_e32 v117, 16, v9
	v_lshrrev_b32_e32 v118, 16, v10
	v_lshrrev_b32_e32 v119, 16, v11
	v_and_b32_e32 v120, 0xffff, v8
	v_and_b32_e32 v121, 0xffff, v9
	;; [unrolled: 1-line block ×4, first 2 shown]
	ds_load_2addr_b64 v[8:11], v67 offset0:64 offset1:96
	s_wait_dscnt 0x0
	v_pk_fma_f16 v81, v8, v108, v81
	v_pk_fma_f16 v80, v9, v108, v80
	v_mul_u32_u24_e32 v108, 0x10001, v113
	v_pk_fma_f16 v69, v8, v112, v69
	v_pk_fma_f16 v68, v9, v112, v68
	s_delay_alu instid0(VALU_DEP_3) | instskip(SKIP_2) | instid1(VALU_DEP_1)
	v_pk_fma_f16 v79, v8, v108, v79
	v_pk_fma_f16 v78, v9, v108, v78
	v_mul_u32_u24_e32 v108, 0x10001, v109
	v_pk_fma_f16 v77, v8, v108, v77
	v_pk_fma_f16 v76, v9, v108, v76
	v_mul_u32_u24_e32 v108, 0x10001, v114
	s_delay_alu instid0(VALU_DEP_1) | instskip(SKIP_2) | instid1(VALU_DEP_1)
	v_pk_fma_f16 v75, v8, v108, v75
	v_pk_fma_f16 v74, v9, v108, v74
	v_mul_u32_u24_e32 v108, 0x10001, v110
	v_pk_fma_f16 v73, v8, v108, v73
	v_pk_fma_f16 v72, v9, v108, v72
	v_mul_u32_u24_e32 v108, 0x10001, v115
	s_delay_alu instid0(VALU_DEP_1) | instskip(SKIP_2) | instid1(VALU_DEP_1)
	v_pk_fma_f16 v71, v8, v108, v71
	v_pk_fma_f16 v70, v9, v108, v70
	v_mul_u32_u24_e32 v108, 0x10001, v111
	v_pk_fma_f16 v9, v9, v108, v82
	v_mul_u32_u24_e32 v82, 0x10001, v120
	v_pk_fma_f16 v8, v8, v108, v83
	s_delay_alu instid0(VALU_DEP_2) | instskip(SKIP_2) | instid1(VALU_DEP_1)
	v_pk_fma_f16 v69, v10, v82, v69
	v_pk_fma_f16 v68, v11, v82, v68
	v_mul_u32_u24_e32 v82, 0x10001, v116
	v_pk_fma_f16 v81, v10, v82, v81
	v_pk_fma_f16 v80, v11, v82, v80
	v_mul_u32_u24_e32 v82, 0x10001, v121
	s_delay_alu instid0(VALU_DEP_1) | instskip(SKIP_2) | instid1(VALU_DEP_1)
	v_pk_fma_f16 v79, v10, v82, v79
	v_pk_fma_f16 v78, v11, v82, v78
	v_mul_u32_u24_e32 v82, 0x10001, v117
	v_pk_fma_f16 v77, v10, v82, v77
	v_pk_fma_f16 v76, v11, v82, v76
	v_mul_u32_u24_e32 v82, 0x10001, v122
	s_delay_alu instid0(VALU_DEP_1) | instskip(SKIP_2) | instid1(VALU_DEP_1)
	;; [unrolled: 7-line block ×3, first 2 shown]
	v_pk_fma_f16 v71, v10, v82, v71
	v_pk_fma_f16 v70, v11, v82, v70
	v_mul_u32_u24_e32 v82, 0x10001, v119
	v_pk_fma_f16 v83, v10, v82, v8
	v_pk_fma_f16 v82, v11, v82, v9
	ds_load_b128 v[8:11], v58 offset:448
	s_wait_dscnt 0x0
	v_lshrrev_b32_e32 v108, 16, v8
	v_lshrrev_b32_e32 v109, 16, v9
	;; [unrolled: 1-line block ×4, first 2 shown]
	v_and_b32_e32 v112, 0xffff, v8
	v_and_b32_e32 v113, 0xffff, v9
	;; [unrolled: 1-line block ×4, first 2 shown]
	ds_load_b128 v[8:11], v58 offset:464
	v_mul_u32_u24_e32 v108, 0x10001, v108
	v_mul_u32_u24_e32 v112, 0x10001, v112
	s_wait_dscnt 0x0
	v_lshrrev_b32_e32 v116, 16, v8
	v_lshrrev_b32_e32 v117, 16, v9
	;; [unrolled: 1-line block ×4, first 2 shown]
	v_and_b32_e32 v120, 0xffff, v8
	v_and_b32_e32 v121, 0xffff, v9
	;; [unrolled: 1-line block ×4, first 2 shown]
	ds_load_2addr_b64 v[8:11], v67 offset0:128 offset1:160
	s_wait_dscnt 0x0
	v_pk_fma_f16 v81, v8, v108, v81
	v_pk_fma_f16 v80, v9, v108, v80
	v_mul_u32_u24_e32 v108, 0x10001, v113
	v_pk_fma_f16 v69, v8, v112, v69
	v_pk_fma_f16 v68, v9, v112, v68
	s_delay_alu instid0(VALU_DEP_3) | instskip(SKIP_2) | instid1(VALU_DEP_1)
	v_pk_fma_f16 v79, v8, v108, v79
	v_pk_fma_f16 v78, v9, v108, v78
	v_mul_u32_u24_e32 v108, 0x10001, v109
	v_pk_fma_f16 v77, v8, v108, v77
	v_pk_fma_f16 v76, v9, v108, v76
	v_mul_u32_u24_e32 v108, 0x10001, v114
	s_delay_alu instid0(VALU_DEP_1) | instskip(SKIP_2) | instid1(VALU_DEP_1)
	v_pk_fma_f16 v75, v8, v108, v75
	v_pk_fma_f16 v74, v9, v108, v74
	v_mul_u32_u24_e32 v108, 0x10001, v110
	v_pk_fma_f16 v73, v8, v108, v73
	v_pk_fma_f16 v72, v9, v108, v72
	v_mul_u32_u24_e32 v108, 0x10001, v115
	s_delay_alu instid0(VALU_DEP_1) | instskip(SKIP_2) | instid1(VALU_DEP_1)
	v_pk_fma_f16 v71, v8, v108, v71
	v_pk_fma_f16 v70, v9, v108, v70
	v_mul_u32_u24_e32 v108, 0x10001, v111
	v_pk_fma_f16 v9, v9, v108, v82
	v_mul_u32_u24_e32 v82, 0x10001, v120
	v_pk_fma_f16 v8, v8, v108, v83
	s_delay_alu instid0(VALU_DEP_2) | instskip(SKIP_2) | instid1(VALU_DEP_1)
	v_pk_fma_f16 v69, v10, v82, v69
	v_pk_fma_f16 v68, v11, v82, v68
	v_mul_u32_u24_e32 v82, 0x10001, v116
	v_pk_fma_f16 v81, v10, v82, v81
	v_pk_fma_f16 v80, v11, v82, v80
	v_mul_u32_u24_e32 v82, 0x10001, v121
	s_delay_alu instid0(VALU_DEP_1) | instskip(SKIP_2) | instid1(VALU_DEP_1)
	v_pk_fma_f16 v79, v10, v82, v79
	v_pk_fma_f16 v78, v11, v82, v78
	v_mul_u32_u24_e32 v82, 0x10001, v117
	v_pk_fma_f16 v77, v10, v82, v77
	v_pk_fma_f16 v76, v11, v82, v76
	v_mul_u32_u24_e32 v82, 0x10001, v122
	s_delay_alu instid0(VALU_DEP_1) | instskip(SKIP_2) | instid1(VALU_DEP_1)
	;; [unrolled: 7-line block ×3, first 2 shown]
	v_pk_fma_f16 v71, v10, v82, v71
	v_pk_fma_f16 v70, v11, v82, v70
	v_mul_u32_u24_e32 v82, 0x10001, v119
	v_pk_fma_f16 v83, v10, v82, v8
	v_pk_fma_f16 v82, v11, v82, v9
	ds_load_b128 v[8:11], v58 offset:480
	s_wait_dscnt 0x0
	v_lshrrev_b32_e32 v108, 16, v8
	v_lshrrev_b32_e32 v109, 16, v9
	;; [unrolled: 1-line block ×4, first 2 shown]
	v_and_b32_e32 v112, 0xffff, v8
	v_and_b32_e32 v113, 0xffff, v9
	;; [unrolled: 1-line block ×4, first 2 shown]
	ds_load_b128 v[8:11], v58 offset:496
	v_mul_u32_u24_e32 v112, 0x10001, v112
	s_wait_dscnt 0x0
	v_lshrrev_b32_e32 v116, 16, v8
	v_lshrrev_b32_e32 v117, 16, v9
	;; [unrolled: 1-line block ×4, first 2 shown]
	v_and_b32_e32 v120, 0xffff, v8
	v_and_b32_e32 v121, 0xffff, v9
	;; [unrolled: 1-line block ×4, first 2 shown]
	ds_load_2addr_b64 v[8:11], v67 offset0:192 offset1:224
	s_wait_loadcnt_dscnt 0x0
	s_barrier_signal -1
	s_barrier_wait -1
	global_inv scope:SCOPE_SE
	v_pk_fma_f16 v69, v8, v112, v69
	v_pk_fma_f16 v112, v9, v112, v68
	v_mul_u32_u24_e32 v68, 0x10001, v108
	s_delay_alu instid0(VALU_DEP_1) | instskip(SKIP_2) | instid1(VALU_DEP_1)
	v_pk_fma_f16 v81, v8, v68, v81
	v_pk_fma_f16 v80, v9, v68, v80
	v_mul_u32_u24_e32 v68, 0x10001, v113
	v_pk_fma_f16 v79, v8, v68, v79
	v_pk_fma_f16 v78, v9, v68, v78
	v_mul_u32_u24_e32 v68, 0x10001, v109
	s_delay_alu instid0(VALU_DEP_1) | instskip(SKIP_2) | instid1(VALU_DEP_1)
	v_pk_fma_f16 v108, v8, v68, v77
	v_pk_fma_f16 v109, v9, v68, v76
	v_mul_u32_u24_e32 v68, 0x10001, v114
	v_pk_fma_f16 v75, v8, v68, v75
	v_pk_fma_f16 v74, v9, v68, v74
	v_mul_u32_u24_e32 v68, 0x10001, v110
	s_delay_alu instid0(VALU_DEP_1) | instskip(SKIP_3) | instid1(VALU_DEP_2)
	v_pk_fma_f16 v73, v8, v68, v73
	v_pk_fma_f16 v110, v9, v68, v72
	v_mul_u32_u24_e32 v68, 0x10001, v115
	v_mul_u32_u24_e32 v72, 0x10001, v117
	v_pk_fma_f16 v113, v8, v68, v71
	v_pk_fma_f16 v114, v9, v68, v70
	v_mul_u32_u24_e32 v68, 0x10001, v111
	v_mul_u32_u24_e32 v70, 0x10001, v120
	;; [unrolled: 1-line block ×3, first 2 shown]
	s_delay_alu instid0(VALU_DEP_3) | instskip(SKIP_1) | instid1(VALU_DEP_4)
	v_pk_fma_f16 v8, v8, v68, v83
	v_pk_fma_f16 v9, v9, v68, v82
	;; [unrolled: 1-line block ×4, first 2 shown]
	v_mul_u32_u24_e32 v70, 0x10001, v116
	v_pk_fma_f16 v78, v11, v71, v78
	v_mul_u32_u24_e32 v83, 0x10001, v119
	s_delay_alu instid0(VALU_DEP_3)
	v_pk_fma_f16 v77, v11, v70, v80
	v_mul_u32_u24_e32 v80, 0x10001, v122
	v_pk_fma_f16 v69, v10, v70, v81
	v_pk_fma_f16 v70, v10, v71, v79
	;; [unrolled: 1-line block ×6, first 2 shown]
	v_mul_u32_u24_e32 v74, 0x10001, v118
	v_mul_u32_u24_e32 v75, 0x10001, v123
	s_delay_alu instid0(VALU_DEP_2) | instskip(SKIP_1) | instid1(VALU_DEP_3)
	v_pk_fma_f16 v73, v10, v74, v73
	v_pk_fma_f16 v81, v11, v74, v110
	;; [unrolled: 1-line block ×5, first 2 shown]
	s_wait_alu 0xfffe
	v_add_co_u32 v8, vcc_lo, s2, v16
	v_pk_fma_f16 v83, v11, v83, v9
	s_wait_alu 0xfffd
	v_add_co_ci_u32_e64 v9, null, s3, v17, vcc_lo
	s_delay_alu instid0(VALU_DEP_3) | instskip(SKIP_1) | instid1(VALU_DEP_2)
	v_add_co_u32 v8, vcc_lo, v8, v64
	s_wait_alu 0xfffd
	v_add_co_ci_u32_e64 v9, null, 0, v9, vcc_lo
	global_load_b128 v[8:11], v[8:9], off
	s_wait_loadcnt 0x0
	ds_store_b128 v59, v[8:11]
	v_add_co_u32 v8, vcc_lo, s2, v18
	s_wait_alu 0xfffd
	v_add_co_ci_u32_e64 v9, null, s3, v19, vcc_lo
	s_delay_alu instid0(VALU_DEP_2) | instskip(SKIP_1) | instid1(VALU_DEP_2)
	v_add_co_u32 v8, vcc_lo, v8, v64
	s_wait_alu 0xfffd
	v_add_co_ci_u32_e64 v9, null, 0, v9, vcc_lo
	global_load_b128 v[8:11], v[8:9], off
	s_wait_loadcnt 0x0
	ds_store_b128 v60, v[8:11]
	s_wait_dscnt 0x0
	s_barrier_signal -1
	s_barrier_wait -1
	global_inv scope:SCOPE_SE
	ds_load_b128 v[8:11], v58 offset:512
	s_wait_dscnt 0x0
	v_lshrrev_b32_e32 v108, 16, v8
	v_lshrrev_b32_e32 v109, 16, v9
	;; [unrolled: 1-line block ×4, first 2 shown]
	v_and_b32_e32 v112, 0xffff, v8
	v_and_b32_e32 v113, 0xffff, v9
	;; [unrolled: 1-line block ×4, first 2 shown]
	ds_load_b128 v[8:11], v58 offset:528
	v_mul_u32_u24_e32 v108, 0x10001, v108
	v_mul_u32_u24_e32 v112, 0x10001, v112
	s_wait_dscnt 0x0
	v_lshrrev_b32_e32 v116, 16, v8
	v_lshrrev_b32_e32 v117, 16, v9
	;; [unrolled: 1-line block ×4, first 2 shown]
	v_and_b32_e32 v120, 0xffff, v8
	v_and_b32_e32 v121, 0xffff, v9
	;; [unrolled: 1-line block ×4, first 2 shown]
	ds_load_2addr_b64 v[8:11], v61 offset1:32
	s_wait_dscnt 0x0
	v_pk_fma_f16 v69, v8, v108, v69
	v_pk_fma_f16 v77, v9, v108, v77
	v_mul_u32_u24_e32 v108, 0x10001, v113
	v_pk_fma_f16 v68, v8, v112, v68
	v_pk_fma_f16 v76, v9, v112, v76
	s_delay_alu instid0(VALU_DEP_3) | instskip(SKIP_2) | instid1(VALU_DEP_1)
	v_pk_fma_f16 v70, v8, v108, v70
	v_pk_fma_f16 v78, v9, v108, v78
	v_mul_u32_u24_e32 v108, 0x10001, v109
	v_pk_fma_f16 v71, v8, v108, v71
	v_pk_fma_f16 v79, v9, v108, v79
	v_mul_u32_u24_e32 v108, 0x10001, v114
	s_delay_alu instid0(VALU_DEP_1) | instskip(SKIP_2) | instid1(VALU_DEP_1)
	v_pk_fma_f16 v72, v8, v108, v72
	v_pk_fma_f16 v80, v9, v108, v80
	v_mul_u32_u24_e32 v108, 0x10001, v110
	v_pk_fma_f16 v73, v8, v108, v73
	v_pk_fma_f16 v81, v9, v108, v81
	v_mul_u32_u24_e32 v108, 0x10001, v115
	s_delay_alu instid0(VALU_DEP_1) | instskip(SKIP_2) | instid1(VALU_DEP_1)
	v_pk_fma_f16 v74, v8, v108, v74
	v_pk_fma_f16 v82, v9, v108, v82
	v_mul_u32_u24_e32 v108, 0x10001, v111
	v_pk_fma_f16 v8, v8, v108, v75
	v_mul_u32_u24_e32 v75, 0x10001, v120
	v_pk_fma_f16 v9, v9, v108, v83
	s_delay_alu instid0(VALU_DEP_2) | instskip(SKIP_2) | instid1(VALU_DEP_1)
	v_pk_fma_f16 v68, v10, v75, v68
	v_pk_fma_f16 v75, v11, v75, v76
	v_mul_u32_u24_e32 v76, 0x10001, v116
	v_pk_fma_f16 v69, v10, v76, v69
	v_pk_fma_f16 v76, v11, v76, v77
	v_mul_u32_u24_e32 v77, 0x10001, v121
	s_delay_alu instid0(VALU_DEP_1) | instskip(SKIP_2) | instid1(VALU_DEP_1)
	v_pk_fma_f16 v70, v10, v77, v70
	v_pk_fma_f16 v77, v11, v77, v78
	v_mul_u32_u24_e32 v78, 0x10001, v117
	v_pk_fma_f16 v71, v10, v78, v71
	v_pk_fma_f16 v78, v11, v78, v79
	v_mul_u32_u24_e32 v79, 0x10001, v122
	s_delay_alu instid0(VALU_DEP_1) | instskip(SKIP_2) | instid1(VALU_DEP_1)
	v_pk_fma_f16 v72, v10, v79, v72
	v_pk_fma_f16 v79, v11, v79, v80
	v_mul_u32_u24_e32 v80, 0x10001, v118
	v_pk_fma_f16 v73, v10, v80, v73
	v_pk_fma_f16 v80, v11, v80, v81
	v_mul_u32_u24_e32 v81, 0x10001, v123
	s_delay_alu instid0(VALU_DEP_1) | instskip(SKIP_2) | instid1(VALU_DEP_1)
	v_pk_fma_f16 v74, v10, v81, v74
	v_pk_fma_f16 v81, v11, v81, v82
	v_mul_u32_u24_e32 v82, 0x10001, v119
	v_pk_fma_f16 v83, v10, v82, v8
	v_pk_fma_f16 v82, v11, v82, v9
	ds_load_b128 v[8:11], v58 offset:544
	s_wait_dscnt 0x0
	v_lshrrev_b32_e32 v108, 16, v8
	v_lshrrev_b32_e32 v109, 16, v9
	;; [unrolled: 1-line block ×4, first 2 shown]
	v_and_b32_e32 v112, 0xffff, v8
	v_and_b32_e32 v113, 0xffff, v9
	;; [unrolled: 1-line block ×4, first 2 shown]
	ds_load_b128 v[8:11], v58 offset:560
	v_mul_u32_u24_e32 v108, 0x10001, v108
	v_mul_u32_u24_e32 v112, 0x10001, v112
	s_wait_dscnt 0x0
	v_lshrrev_b32_e32 v116, 16, v8
	v_lshrrev_b32_e32 v117, 16, v9
	;; [unrolled: 1-line block ×4, first 2 shown]
	v_and_b32_e32 v120, 0xffff, v8
	v_and_b32_e32 v121, 0xffff, v9
	;; [unrolled: 1-line block ×4, first 2 shown]
	ds_load_2addr_b64 v[8:11], v61 offset0:64 offset1:96
	s_wait_dscnt 0x0
	v_pk_fma_f16 v69, v8, v108, v69
	v_pk_fma_f16 v76, v9, v108, v76
	v_mul_u32_u24_e32 v108, 0x10001, v113
	v_pk_fma_f16 v68, v8, v112, v68
	v_pk_fma_f16 v75, v9, v112, v75
	s_delay_alu instid0(VALU_DEP_3) | instskip(SKIP_2) | instid1(VALU_DEP_1)
	v_pk_fma_f16 v70, v8, v108, v70
	v_pk_fma_f16 v77, v9, v108, v77
	v_mul_u32_u24_e32 v108, 0x10001, v109
	v_pk_fma_f16 v71, v8, v108, v71
	v_pk_fma_f16 v78, v9, v108, v78
	v_mul_u32_u24_e32 v108, 0x10001, v114
	s_delay_alu instid0(VALU_DEP_1) | instskip(SKIP_2) | instid1(VALU_DEP_1)
	v_pk_fma_f16 v72, v8, v108, v72
	v_pk_fma_f16 v79, v9, v108, v79
	v_mul_u32_u24_e32 v108, 0x10001, v110
	v_pk_fma_f16 v73, v8, v108, v73
	v_pk_fma_f16 v80, v9, v108, v80
	v_mul_u32_u24_e32 v108, 0x10001, v115
	s_delay_alu instid0(VALU_DEP_1) | instskip(SKIP_2) | instid1(VALU_DEP_1)
	v_pk_fma_f16 v74, v8, v108, v74
	v_pk_fma_f16 v81, v9, v108, v81
	v_mul_u32_u24_e32 v108, 0x10001, v111
	v_pk_fma_f16 v9, v9, v108, v82
	v_mul_u32_u24_e32 v82, 0x10001, v120
	v_pk_fma_f16 v8, v8, v108, v83
	s_delay_alu instid0(VALU_DEP_2) | instskip(SKIP_2) | instid1(VALU_DEP_1)
	v_pk_fma_f16 v68, v10, v82, v68
	v_pk_fma_f16 v75, v11, v82, v75
	v_mul_u32_u24_e32 v82, 0x10001, v116
	v_pk_fma_f16 v69, v10, v82, v69
	v_pk_fma_f16 v76, v11, v82, v76
	v_mul_u32_u24_e32 v82, 0x10001, v121
	s_delay_alu instid0(VALU_DEP_1) | instskip(SKIP_2) | instid1(VALU_DEP_1)
	v_pk_fma_f16 v70, v10, v82, v70
	v_pk_fma_f16 v77, v11, v82, v77
	v_mul_u32_u24_e32 v82, 0x10001, v117
	v_pk_fma_f16 v71, v10, v82, v71
	v_pk_fma_f16 v78, v11, v82, v78
	v_mul_u32_u24_e32 v82, 0x10001, v122
	s_delay_alu instid0(VALU_DEP_1) | instskip(SKIP_2) | instid1(VALU_DEP_1)
	;; [unrolled: 7-line block ×3, first 2 shown]
	v_pk_fma_f16 v74, v10, v82, v74
	v_pk_fma_f16 v81, v11, v82, v81
	v_mul_u32_u24_e32 v82, 0x10001, v119
	v_pk_fma_f16 v83, v10, v82, v8
	v_pk_fma_f16 v82, v11, v82, v9
	ds_load_b128 v[8:11], v58 offset:576
	s_wait_dscnt 0x0
	v_lshrrev_b32_e32 v108, 16, v8
	v_lshrrev_b32_e32 v109, 16, v9
	;; [unrolled: 1-line block ×4, first 2 shown]
	v_and_b32_e32 v112, 0xffff, v8
	v_and_b32_e32 v113, 0xffff, v9
	;; [unrolled: 1-line block ×4, first 2 shown]
	ds_load_b128 v[8:11], v58 offset:592
	v_mul_u32_u24_e32 v108, 0x10001, v108
	v_mul_u32_u24_e32 v112, 0x10001, v112
	s_wait_dscnt 0x0
	v_lshrrev_b32_e32 v116, 16, v8
	v_lshrrev_b32_e32 v117, 16, v9
	;; [unrolled: 1-line block ×4, first 2 shown]
	v_and_b32_e32 v120, 0xffff, v8
	v_and_b32_e32 v121, 0xffff, v9
	;; [unrolled: 1-line block ×4, first 2 shown]
	ds_load_2addr_b64 v[8:11], v61 offset0:128 offset1:160
	s_wait_dscnt 0x0
	v_pk_fma_f16 v69, v8, v108, v69
	v_pk_fma_f16 v76, v9, v108, v76
	v_mul_u32_u24_e32 v108, 0x10001, v113
	v_pk_fma_f16 v68, v8, v112, v68
	v_pk_fma_f16 v75, v9, v112, v75
	s_delay_alu instid0(VALU_DEP_3) | instskip(SKIP_2) | instid1(VALU_DEP_1)
	v_pk_fma_f16 v70, v8, v108, v70
	v_pk_fma_f16 v77, v9, v108, v77
	v_mul_u32_u24_e32 v108, 0x10001, v109
	v_pk_fma_f16 v71, v8, v108, v71
	v_pk_fma_f16 v78, v9, v108, v78
	v_mul_u32_u24_e32 v108, 0x10001, v114
	s_delay_alu instid0(VALU_DEP_1) | instskip(SKIP_2) | instid1(VALU_DEP_1)
	v_pk_fma_f16 v72, v8, v108, v72
	v_pk_fma_f16 v79, v9, v108, v79
	v_mul_u32_u24_e32 v108, 0x10001, v110
	v_pk_fma_f16 v73, v8, v108, v73
	v_pk_fma_f16 v80, v9, v108, v80
	v_mul_u32_u24_e32 v108, 0x10001, v115
	s_delay_alu instid0(VALU_DEP_1) | instskip(SKIP_2) | instid1(VALU_DEP_1)
	v_pk_fma_f16 v74, v8, v108, v74
	v_pk_fma_f16 v81, v9, v108, v81
	v_mul_u32_u24_e32 v108, 0x10001, v111
	v_pk_fma_f16 v9, v9, v108, v82
	v_mul_u32_u24_e32 v82, 0x10001, v120
	v_pk_fma_f16 v8, v8, v108, v83
	s_delay_alu instid0(VALU_DEP_2) | instskip(SKIP_2) | instid1(VALU_DEP_1)
	v_pk_fma_f16 v68, v10, v82, v68
	v_pk_fma_f16 v75, v11, v82, v75
	v_mul_u32_u24_e32 v82, 0x10001, v116
	v_pk_fma_f16 v69, v10, v82, v69
	v_pk_fma_f16 v76, v11, v82, v76
	v_mul_u32_u24_e32 v82, 0x10001, v121
	s_delay_alu instid0(VALU_DEP_1) | instskip(SKIP_2) | instid1(VALU_DEP_1)
	v_pk_fma_f16 v70, v10, v82, v70
	v_pk_fma_f16 v77, v11, v82, v77
	v_mul_u32_u24_e32 v82, 0x10001, v117
	v_pk_fma_f16 v71, v10, v82, v71
	v_pk_fma_f16 v78, v11, v82, v78
	v_mul_u32_u24_e32 v82, 0x10001, v122
	s_delay_alu instid0(VALU_DEP_1) | instskip(SKIP_2) | instid1(VALU_DEP_1)
	;; [unrolled: 7-line block ×3, first 2 shown]
	v_pk_fma_f16 v74, v10, v82, v74
	v_pk_fma_f16 v81, v11, v82, v81
	v_mul_u32_u24_e32 v82, 0x10001, v119
	v_pk_fma_f16 v83, v10, v82, v8
	v_pk_fma_f16 v82, v11, v82, v9
	ds_load_b128 v[8:11], v58 offset:608
	s_wait_dscnt 0x0
	v_lshrrev_b32_e32 v108, 16, v8
	v_lshrrev_b32_e32 v109, 16, v9
	;; [unrolled: 1-line block ×4, first 2 shown]
	v_and_b32_e32 v112, 0xffff, v8
	v_and_b32_e32 v113, 0xffff, v9
	;; [unrolled: 1-line block ×4, first 2 shown]
	ds_load_b128 v[8:11], v58 offset:624
	v_mul_u32_u24_e32 v108, 0x10001, v108
	v_mul_u32_u24_e32 v112, 0x10001, v112
	s_wait_dscnt 0x0
	v_lshrrev_b32_e32 v116, 16, v8
	v_lshrrev_b32_e32 v117, 16, v9
	;; [unrolled: 1-line block ×4, first 2 shown]
	v_and_b32_e32 v120, 0xffff, v8
	v_and_b32_e32 v121, 0xffff, v9
	;; [unrolled: 1-line block ×4, first 2 shown]
	ds_load_2addr_b64 v[8:11], v61 offset0:192 offset1:224
	s_wait_dscnt 0x0
	v_pk_fma_f16 v69, v8, v108, v69
	v_pk_fma_f16 v76, v9, v108, v76
	v_mul_u32_u24_e32 v108, 0x10001, v113
	v_pk_fma_f16 v68, v8, v112, v68
	v_pk_fma_f16 v75, v9, v112, v75
	s_delay_alu instid0(VALU_DEP_3) | instskip(SKIP_2) | instid1(VALU_DEP_1)
	v_pk_fma_f16 v70, v8, v108, v70
	v_pk_fma_f16 v77, v9, v108, v77
	v_mul_u32_u24_e32 v108, 0x10001, v109
	v_pk_fma_f16 v71, v8, v108, v71
	v_pk_fma_f16 v78, v9, v108, v78
	v_mul_u32_u24_e32 v108, 0x10001, v114
	s_delay_alu instid0(VALU_DEP_1) | instskip(SKIP_2) | instid1(VALU_DEP_1)
	v_pk_fma_f16 v72, v8, v108, v72
	v_pk_fma_f16 v79, v9, v108, v79
	v_mul_u32_u24_e32 v108, 0x10001, v110
	v_pk_fma_f16 v73, v8, v108, v73
	v_pk_fma_f16 v80, v9, v108, v80
	v_mul_u32_u24_e32 v108, 0x10001, v115
	s_delay_alu instid0(VALU_DEP_1) | instskip(SKIP_2) | instid1(VALU_DEP_1)
	v_pk_fma_f16 v74, v8, v108, v74
	v_pk_fma_f16 v81, v9, v108, v81
	v_mul_u32_u24_e32 v108, 0x10001, v111
	v_pk_fma_f16 v9, v9, v108, v82
	v_mul_u32_u24_e32 v82, 0x10001, v120
	v_pk_fma_f16 v8, v8, v108, v83
	s_delay_alu instid0(VALU_DEP_2) | instskip(SKIP_2) | instid1(VALU_DEP_1)
	v_pk_fma_f16 v68, v10, v82, v68
	v_pk_fma_f16 v75, v11, v82, v75
	v_mul_u32_u24_e32 v82, 0x10001, v116
	v_pk_fma_f16 v69, v10, v82, v69
	v_pk_fma_f16 v76, v11, v82, v76
	v_mul_u32_u24_e32 v82, 0x10001, v121
	s_delay_alu instid0(VALU_DEP_1) | instskip(SKIP_2) | instid1(VALU_DEP_1)
	v_pk_fma_f16 v70, v10, v82, v70
	v_pk_fma_f16 v77, v11, v82, v77
	v_mul_u32_u24_e32 v82, 0x10001, v117
	v_pk_fma_f16 v71, v10, v82, v71
	v_pk_fma_f16 v78, v11, v82, v78
	v_mul_u32_u24_e32 v82, 0x10001, v122
	s_delay_alu instid0(VALU_DEP_1) | instskip(SKIP_2) | instid1(VALU_DEP_1)
	;; [unrolled: 7-line block ×3, first 2 shown]
	v_pk_fma_f16 v74, v10, v82, v74
	v_pk_fma_f16 v81, v11, v82, v81
	v_mul_u32_u24_e32 v82, 0x10001, v119
	v_pk_fma_f16 v83, v10, v82, v8
	v_pk_fma_f16 v82, v11, v82, v9
	ds_load_b128 v[8:11], v58 offset:640
	s_wait_dscnt 0x0
	v_lshrrev_b32_e32 v108, 16, v8
	v_lshrrev_b32_e32 v109, 16, v9
	;; [unrolled: 1-line block ×4, first 2 shown]
	v_and_b32_e32 v112, 0xffff, v8
	v_and_b32_e32 v113, 0xffff, v9
	;; [unrolled: 1-line block ×4, first 2 shown]
	ds_load_b128 v[8:11], v58 offset:656
	v_mul_u32_u24_e32 v108, 0x10001, v108
	v_mul_u32_u24_e32 v112, 0x10001, v112
	s_wait_dscnt 0x0
	v_lshrrev_b32_e32 v116, 16, v8
	v_lshrrev_b32_e32 v117, 16, v9
	v_lshrrev_b32_e32 v118, 16, v10
	v_lshrrev_b32_e32 v119, 16, v11
	v_and_b32_e32 v120, 0xffff, v8
	v_and_b32_e32 v121, 0xffff, v9
	;; [unrolled: 1-line block ×4, first 2 shown]
	ds_load_2addr_b64 v[8:11], v65 offset1:32
	s_wait_dscnt 0x0
	v_pk_fma_f16 v69, v8, v108, v69
	v_pk_fma_f16 v76, v9, v108, v76
	v_mul_u32_u24_e32 v108, 0x10001, v113
	v_pk_fma_f16 v68, v8, v112, v68
	v_pk_fma_f16 v75, v9, v112, v75
	s_delay_alu instid0(VALU_DEP_3) | instskip(SKIP_2) | instid1(VALU_DEP_1)
	v_pk_fma_f16 v70, v8, v108, v70
	v_pk_fma_f16 v77, v9, v108, v77
	v_mul_u32_u24_e32 v108, 0x10001, v109
	v_pk_fma_f16 v71, v8, v108, v71
	v_pk_fma_f16 v78, v9, v108, v78
	v_mul_u32_u24_e32 v108, 0x10001, v114
	s_delay_alu instid0(VALU_DEP_1) | instskip(SKIP_2) | instid1(VALU_DEP_1)
	v_pk_fma_f16 v72, v8, v108, v72
	v_pk_fma_f16 v79, v9, v108, v79
	v_mul_u32_u24_e32 v108, 0x10001, v110
	v_pk_fma_f16 v73, v8, v108, v73
	v_pk_fma_f16 v80, v9, v108, v80
	v_mul_u32_u24_e32 v108, 0x10001, v115
	s_delay_alu instid0(VALU_DEP_1) | instskip(SKIP_2) | instid1(VALU_DEP_1)
	v_pk_fma_f16 v74, v8, v108, v74
	v_pk_fma_f16 v81, v9, v108, v81
	v_mul_u32_u24_e32 v108, 0x10001, v111
	v_pk_fma_f16 v9, v9, v108, v82
	v_mul_u32_u24_e32 v82, 0x10001, v120
	v_pk_fma_f16 v8, v8, v108, v83
	s_delay_alu instid0(VALU_DEP_2) | instskip(SKIP_2) | instid1(VALU_DEP_1)
	v_pk_fma_f16 v68, v10, v82, v68
	v_pk_fma_f16 v75, v11, v82, v75
	v_mul_u32_u24_e32 v82, 0x10001, v116
	v_pk_fma_f16 v69, v10, v82, v69
	v_pk_fma_f16 v76, v11, v82, v76
	v_mul_u32_u24_e32 v82, 0x10001, v121
	s_delay_alu instid0(VALU_DEP_1) | instskip(SKIP_2) | instid1(VALU_DEP_1)
	v_pk_fma_f16 v70, v10, v82, v70
	v_pk_fma_f16 v77, v11, v82, v77
	v_mul_u32_u24_e32 v82, 0x10001, v117
	v_pk_fma_f16 v71, v10, v82, v71
	v_pk_fma_f16 v78, v11, v82, v78
	v_mul_u32_u24_e32 v82, 0x10001, v122
	s_delay_alu instid0(VALU_DEP_1) | instskip(SKIP_2) | instid1(VALU_DEP_1)
	;; [unrolled: 7-line block ×3, first 2 shown]
	v_pk_fma_f16 v74, v10, v82, v74
	v_pk_fma_f16 v81, v11, v82, v81
	v_mul_u32_u24_e32 v82, 0x10001, v119
	v_pk_fma_f16 v83, v10, v82, v8
	v_pk_fma_f16 v82, v11, v82, v9
	ds_load_b128 v[8:11], v58 offset:672
	s_wait_dscnt 0x0
	v_lshrrev_b32_e32 v108, 16, v8
	v_lshrrev_b32_e32 v109, 16, v9
	;; [unrolled: 1-line block ×4, first 2 shown]
	v_and_b32_e32 v112, 0xffff, v8
	v_and_b32_e32 v113, 0xffff, v9
	;; [unrolled: 1-line block ×4, first 2 shown]
	ds_load_b128 v[8:11], v58 offset:688
	v_mul_u32_u24_e32 v108, 0x10001, v108
	v_mul_u32_u24_e32 v112, 0x10001, v112
	s_wait_dscnt 0x0
	v_lshrrev_b32_e32 v116, 16, v8
	v_lshrrev_b32_e32 v117, 16, v9
	;; [unrolled: 1-line block ×4, first 2 shown]
	v_and_b32_e32 v120, 0xffff, v8
	v_and_b32_e32 v121, 0xffff, v9
	;; [unrolled: 1-line block ×4, first 2 shown]
	ds_load_2addr_b64 v[8:11], v65 offset0:64 offset1:96
	s_wait_dscnt 0x0
	v_pk_fma_f16 v69, v8, v108, v69
	v_pk_fma_f16 v76, v9, v108, v76
	v_mul_u32_u24_e32 v108, 0x10001, v113
	v_pk_fma_f16 v68, v8, v112, v68
	v_pk_fma_f16 v75, v9, v112, v75
	s_delay_alu instid0(VALU_DEP_3) | instskip(SKIP_2) | instid1(VALU_DEP_1)
	v_pk_fma_f16 v70, v8, v108, v70
	v_pk_fma_f16 v77, v9, v108, v77
	v_mul_u32_u24_e32 v108, 0x10001, v109
	v_pk_fma_f16 v71, v8, v108, v71
	v_pk_fma_f16 v78, v9, v108, v78
	v_mul_u32_u24_e32 v108, 0x10001, v114
	s_delay_alu instid0(VALU_DEP_1) | instskip(SKIP_2) | instid1(VALU_DEP_1)
	v_pk_fma_f16 v72, v8, v108, v72
	v_pk_fma_f16 v79, v9, v108, v79
	v_mul_u32_u24_e32 v108, 0x10001, v110
	v_pk_fma_f16 v73, v8, v108, v73
	v_pk_fma_f16 v80, v9, v108, v80
	v_mul_u32_u24_e32 v108, 0x10001, v115
	s_delay_alu instid0(VALU_DEP_1) | instskip(SKIP_2) | instid1(VALU_DEP_1)
	v_pk_fma_f16 v74, v8, v108, v74
	v_pk_fma_f16 v81, v9, v108, v81
	v_mul_u32_u24_e32 v108, 0x10001, v111
	v_pk_fma_f16 v9, v9, v108, v82
	v_mul_u32_u24_e32 v82, 0x10001, v120
	v_pk_fma_f16 v8, v8, v108, v83
	s_delay_alu instid0(VALU_DEP_2) | instskip(SKIP_2) | instid1(VALU_DEP_1)
	v_pk_fma_f16 v68, v10, v82, v68
	v_pk_fma_f16 v75, v11, v82, v75
	v_mul_u32_u24_e32 v82, 0x10001, v116
	v_pk_fma_f16 v69, v10, v82, v69
	v_pk_fma_f16 v76, v11, v82, v76
	v_mul_u32_u24_e32 v82, 0x10001, v121
	s_delay_alu instid0(VALU_DEP_1) | instskip(SKIP_2) | instid1(VALU_DEP_1)
	v_pk_fma_f16 v70, v10, v82, v70
	v_pk_fma_f16 v77, v11, v82, v77
	v_mul_u32_u24_e32 v82, 0x10001, v117
	v_pk_fma_f16 v71, v10, v82, v71
	v_pk_fma_f16 v78, v11, v82, v78
	v_mul_u32_u24_e32 v82, 0x10001, v122
	s_delay_alu instid0(VALU_DEP_1) | instskip(SKIP_2) | instid1(VALU_DEP_1)
	;; [unrolled: 7-line block ×3, first 2 shown]
	v_pk_fma_f16 v74, v10, v82, v74
	v_pk_fma_f16 v81, v11, v82, v81
	v_mul_u32_u24_e32 v82, 0x10001, v119
	v_pk_fma_f16 v83, v10, v82, v8
	v_pk_fma_f16 v82, v11, v82, v9
	ds_load_b128 v[8:11], v58 offset:704
	s_wait_dscnt 0x0
	v_lshrrev_b32_e32 v108, 16, v8
	v_lshrrev_b32_e32 v109, 16, v9
	v_lshrrev_b32_e32 v110, 16, v10
	v_lshrrev_b32_e32 v111, 16, v11
	v_and_b32_e32 v112, 0xffff, v8
	v_and_b32_e32 v113, 0xffff, v9
	;; [unrolled: 1-line block ×4, first 2 shown]
	ds_load_b128 v[8:11], v58 offset:720
	v_mul_u32_u24_e32 v108, 0x10001, v108
	v_mul_u32_u24_e32 v112, 0x10001, v112
	s_wait_dscnt 0x0
	v_lshrrev_b32_e32 v116, 16, v8
	v_lshrrev_b32_e32 v117, 16, v9
	;; [unrolled: 1-line block ×4, first 2 shown]
	v_and_b32_e32 v120, 0xffff, v8
	v_and_b32_e32 v121, 0xffff, v9
	;; [unrolled: 1-line block ×4, first 2 shown]
	ds_load_2addr_b64 v[8:11], v65 offset0:128 offset1:160
	s_wait_dscnt 0x0
	v_pk_fma_f16 v69, v8, v108, v69
	v_pk_fma_f16 v76, v9, v108, v76
	v_mul_u32_u24_e32 v108, 0x10001, v113
	v_pk_fma_f16 v68, v8, v112, v68
	v_pk_fma_f16 v75, v9, v112, v75
	s_delay_alu instid0(VALU_DEP_3) | instskip(SKIP_2) | instid1(VALU_DEP_1)
	v_pk_fma_f16 v70, v8, v108, v70
	v_pk_fma_f16 v77, v9, v108, v77
	v_mul_u32_u24_e32 v108, 0x10001, v109
	v_pk_fma_f16 v71, v8, v108, v71
	v_pk_fma_f16 v78, v9, v108, v78
	v_mul_u32_u24_e32 v108, 0x10001, v114
	s_delay_alu instid0(VALU_DEP_1) | instskip(SKIP_2) | instid1(VALU_DEP_1)
	v_pk_fma_f16 v72, v8, v108, v72
	v_pk_fma_f16 v79, v9, v108, v79
	v_mul_u32_u24_e32 v108, 0x10001, v110
	v_pk_fma_f16 v73, v8, v108, v73
	v_pk_fma_f16 v80, v9, v108, v80
	v_mul_u32_u24_e32 v108, 0x10001, v115
	s_delay_alu instid0(VALU_DEP_1) | instskip(SKIP_2) | instid1(VALU_DEP_1)
	v_pk_fma_f16 v74, v8, v108, v74
	v_pk_fma_f16 v81, v9, v108, v81
	v_mul_u32_u24_e32 v108, 0x10001, v111
	v_pk_fma_f16 v9, v9, v108, v82
	v_mul_u32_u24_e32 v82, 0x10001, v120
	v_pk_fma_f16 v8, v8, v108, v83
	s_delay_alu instid0(VALU_DEP_2) | instskip(SKIP_2) | instid1(VALU_DEP_1)
	v_pk_fma_f16 v68, v10, v82, v68
	v_pk_fma_f16 v75, v11, v82, v75
	v_mul_u32_u24_e32 v82, 0x10001, v116
	v_pk_fma_f16 v69, v10, v82, v69
	v_pk_fma_f16 v76, v11, v82, v76
	v_mul_u32_u24_e32 v82, 0x10001, v121
	s_delay_alu instid0(VALU_DEP_1) | instskip(SKIP_2) | instid1(VALU_DEP_1)
	v_pk_fma_f16 v70, v10, v82, v70
	v_pk_fma_f16 v77, v11, v82, v77
	v_mul_u32_u24_e32 v82, 0x10001, v117
	v_pk_fma_f16 v71, v10, v82, v71
	v_pk_fma_f16 v78, v11, v82, v78
	v_mul_u32_u24_e32 v82, 0x10001, v122
	s_delay_alu instid0(VALU_DEP_1) | instskip(SKIP_2) | instid1(VALU_DEP_1)
	;; [unrolled: 7-line block ×3, first 2 shown]
	v_pk_fma_f16 v74, v10, v82, v74
	v_pk_fma_f16 v81, v11, v82, v81
	v_mul_u32_u24_e32 v82, 0x10001, v119
	v_pk_fma_f16 v83, v10, v82, v8
	v_pk_fma_f16 v82, v11, v82, v9
	ds_load_b128 v[8:11], v58 offset:736
	s_wait_dscnt 0x0
	v_lshrrev_b32_e32 v108, 16, v8
	v_lshrrev_b32_e32 v109, 16, v9
	;; [unrolled: 1-line block ×4, first 2 shown]
	v_and_b32_e32 v112, 0xffff, v8
	v_and_b32_e32 v113, 0xffff, v9
	;; [unrolled: 1-line block ×4, first 2 shown]
	ds_load_b128 v[8:11], v58 offset:752
	v_mul_u32_u24_e32 v108, 0x10001, v108
	v_mul_u32_u24_e32 v112, 0x10001, v112
	s_wait_dscnt 0x0
	v_lshrrev_b32_e32 v116, 16, v8
	v_lshrrev_b32_e32 v117, 16, v9
	;; [unrolled: 1-line block ×4, first 2 shown]
	v_and_b32_e32 v120, 0xffff, v8
	v_and_b32_e32 v121, 0xffff, v9
	;; [unrolled: 1-line block ×4, first 2 shown]
	ds_load_2addr_b64 v[8:11], v65 offset0:192 offset1:224
	s_wait_dscnt 0x0
	v_pk_fma_f16 v69, v8, v108, v69
	v_pk_fma_f16 v76, v9, v108, v76
	v_mul_u32_u24_e32 v108, 0x10001, v113
	v_pk_fma_f16 v68, v8, v112, v68
	v_pk_fma_f16 v75, v9, v112, v75
	s_delay_alu instid0(VALU_DEP_3) | instskip(SKIP_2) | instid1(VALU_DEP_1)
	v_pk_fma_f16 v70, v8, v108, v70
	v_pk_fma_f16 v77, v9, v108, v77
	v_mul_u32_u24_e32 v108, 0x10001, v109
	v_pk_fma_f16 v71, v8, v108, v71
	v_pk_fma_f16 v78, v9, v108, v78
	v_mul_u32_u24_e32 v108, 0x10001, v114
	s_delay_alu instid0(VALU_DEP_1) | instskip(SKIP_2) | instid1(VALU_DEP_1)
	v_pk_fma_f16 v72, v8, v108, v72
	v_pk_fma_f16 v79, v9, v108, v79
	v_mul_u32_u24_e32 v108, 0x10001, v110
	v_pk_fma_f16 v73, v8, v108, v73
	v_pk_fma_f16 v80, v9, v108, v80
	v_mul_u32_u24_e32 v108, 0x10001, v115
	s_delay_alu instid0(VALU_DEP_1) | instskip(SKIP_2) | instid1(VALU_DEP_1)
	v_pk_fma_f16 v74, v8, v108, v74
	v_pk_fma_f16 v81, v9, v108, v81
	v_mul_u32_u24_e32 v108, 0x10001, v111
	v_pk_fma_f16 v9, v9, v108, v82
	v_mul_u32_u24_e32 v82, 0x10001, v120
	v_pk_fma_f16 v8, v8, v108, v83
	s_delay_alu instid0(VALU_DEP_2) | instskip(SKIP_2) | instid1(VALU_DEP_1)
	v_pk_fma_f16 v68, v10, v82, v68
	v_pk_fma_f16 v75, v11, v82, v75
	v_mul_u32_u24_e32 v82, 0x10001, v116
	v_pk_fma_f16 v69, v10, v82, v69
	v_pk_fma_f16 v76, v11, v82, v76
	v_mul_u32_u24_e32 v82, 0x10001, v121
	s_delay_alu instid0(VALU_DEP_1) | instskip(SKIP_2) | instid1(VALU_DEP_1)
	v_pk_fma_f16 v70, v10, v82, v70
	v_pk_fma_f16 v77, v11, v82, v77
	v_mul_u32_u24_e32 v82, 0x10001, v117
	v_pk_fma_f16 v71, v10, v82, v71
	v_pk_fma_f16 v78, v11, v82, v78
	v_mul_u32_u24_e32 v82, 0x10001, v122
	s_delay_alu instid0(VALU_DEP_1) | instskip(SKIP_2) | instid1(VALU_DEP_1)
	;; [unrolled: 7-line block ×3, first 2 shown]
	v_pk_fma_f16 v74, v10, v82, v74
	v_pk_fma_f16 v81, v11, v82, v81
	v_mul_u32_u24_e32 v82, 0x10001, v119
	v_pk_fma_f16 v83, v10, v82, v8
	v_pk_fma_f16 v82, v11, v82, v9
	ds_load_b128 v[8:11], v58 offset:768
	s_wait_dscnt 0x0
	v_lshrrev_b32_e32 v108, 16, v8
	v_lshrrev_b32_e32 v109, 16, v9
	;; [unrolled: 1-line block ×4, first 2 shown]
	v_and_b32_e32 v112, 0xffff, v8
	v_and_b32_e32 v113, 0xffff, v9
	;; [unrolled: 1-line block ×4, first 2 shown]
	ds_load_b128 v[8:11], v58 offset:784
	v_mul_u32_u24_e32 v108, 0x10001, v108
	v_mul_u32_u24_e32 v112, 0x10001, v112
	s_wait_dscnt 0x0
	v_lshrrev_b32_e32 v116, 16, v8
	v_lshrrev_b32_e32 v117, 16, v9
	;; [unrolled: 1-line block ×4, first 2 shown]
	v_and_b32_e32 v120, 0xffff, v8
	v_and_b32_e32 v121, 0xffff, v9
	;; [unrolled: 1-line block ×4, first 2 shown]
	ds_load_2addr_b64 v[8:11], v66 offset1:32
	s_wait_dscnt 0x0
	v_pk_fma_f16 v69, v8, v108, v69
	v_pk_fma_f16 v76, v9, v108, v76
	v_mul_u32_u24_e32 v108, 0x10001, v113
	v_pk_fma_f16 v68, v8, v112, v68
	v_pk_fma_f16 v75, v9, v112, v75
	s_delay_alu instid0(VALU_DEP_3) | instskip(SKIP_2) | instid1(VALU_DEP_1)
	v_pk_fma_f16 v70, v8, v108, v70
	v_pk_fma_f16 v77, v9, v108, v77
	v_mul_u32_u24_e32 v108, 0x10001, v109
	v_pk_fma_f16 v71, v8, v108, v71
	v_pk_fma_f16 v78, v9, v108, v78
	v_mul_u32_u24_e32 v108, 0x10001, v114
	s_delay_alu instid0(VALU_DEP_1) | instskip(SKIP_2) | instid1(VALU_DEP_1)
	v_pk_fma_f16 v72, v8, v108, v72
	v_pk_fma_f16 v79, v9, v108, v79
	v_mul_u32_u24_e32 v108, 0x10001, v110
	v_pk_fma_f16 v73, v8, v108, v73
	v_pk_fma_f16 v80, v9, v108, v80
	v_mul_u32_u24_e32 v108, 0x10001, v115
	s_delay_alu instid0(VALU_DEP_1) | instskip(SKIP_2) | instid1(VALU_DEP_1)
	v_pk_fma_f16 v74, v8, v108, v74
	v_pk_fma_f16 v81, v9, v108, v81
	v_mul_u32_u24_e32 v108, 0x10001, v111
	v_pk_fma_f16 v9, v9, v108, v82
	v_mul_u32_u24_e32 v82, 0x10001, v120
	v_pk_fma_f16 v8, v8, v108, v83
	s_delay_alu instid0(VALU_DEP_2) | instskip(SKIP_2) | instid1(VALU_DEP_1)
	v_pk_fma_f16 v68, v10, v82, v68
	v_pk_fma_f16 v75, v11, v82, v75
	v_mul_u32_u24_e32 v82, 0x10001, v116
	v_pk_fma_f16 v69, v10, v82, v69
	v_pk_fma_f16 v76, v11, v82, v76
	v_mul_u32_u24_e32 v82, 0x10001, v121
	s_delay_alu instid0(VALU_DEP_1) | instskip(SKIP_2) | instid1(VALU_DEP_1)
	v_pk_fma_f16 v70, v10, v82, v70
	v_pk_fma_f16 v77, v11, v82, v77
	v_mul_u32_u24_e32 v82, 0x10001, v117
	v_pk_fma_f16 v71, v10, v82, v71
	v_pk_fma_f16 v78, v11, v82, v78
	v_mul_u32_u24_e32 v82, 0x10001, v122
	s_delay_alu instid0(VALU_DEP_1) | instskip(SKIP_2) | instid1(VALU_DEP_1)
	;; [unrolled: 7-line block ×3, first 2 shown]
	v_pk_fma_f16 v74, v10, v82, v74
	v_pk_fma_f16 v81, v11, v82, v81
	v_mul_u32_u24_e32 v82, 0x10001, v119
	v_pk_fma_f16 v83, v10, v82, v8
	v_pk_fma_f16 v82, v11, v82, v9
	ds_load_b128 v[8:11], v58 offset:800
	s_wait_dscnt 0x0
	v_lshrrev_b32_e32 v108, 16, v8
	v_lshrrev_b32_e32 v109, 16, v9
	;; [unrolled: 1-line block ×4, first 2 shown]
	v_and_b32_e32 v112, 0xffff, v8
	v_and_b32_e32 v113, 0xffff, v9
	;; [unrolled: 1-line block ×4, first 2 shown]
	ds_load_b128 v[8:11], v58 offset:816
	v_mul_u32_u24_e32 v108, 0x10001, v108
	v_mul_u32_u24_e32 v112, 0x10001, v112
	s_wait_dscnt 0x0
	v_lshrrev_b32_e32 v116, 16, v8
	v_lshrrev_b32_e32 v117, 16, v9
	v_lshrrev_b32_e32 v118, 16, v10
	v_lshrrev_b32_e32 v119, 16, v11
	v_and_b32_e32 v120, 0xffff, v8
	v_and_b32_e32 v121, 0xffff, v9
	;; [unrolled: 1-line block ×4, first 2 shown]
	ds_load_2addr_b64 v[8:11], v66 offset0:64 offset1:96
	s_wait_dscnt 0x0
	v_pk_fma_f16 v69, v8, v108, v69
	v_pk_fma_f16 v76, v9, v108, v76
	v_mul_u32_u24_e32 v108, 0x10001, v113
	v_pk_fma_f16 v68, v8, v112, v68
	v_pk_fma_f16 v75, v9, v112, v75
	s_delay_alu instid0(VALU_DEP_3) | instskip(SKIP_2) | instid1(VALU_DEP_1)
	v_pk_fma_f16 v70, v8, v108, v70
	v_pk_fma_f16 v77, v9, v108, v77
	v_mul_u32_u24_e32 v108, 0x10001, v109
	v_pk_fma_f16 v71, v8, v108, v71
	v_pk_fma_f16 v78, v9, v108, v78
	v_mul_u32_u24_e32 v108, 0x10001, v114
	s_delay_alu instid0(VALU_DEP_1) | instskip(SKIP_2) | instid1(VALU_DEP_1)
	v_pk_fma_f16 v72, v8, v108, v72
	v_pk_fma_f16 v79, v9, v108, v79
	v_mul_u32_u24_e32 v108, 0x10001, v110
	v_pk_fma_f16 v73, v8, v108, v73
	v_pk_fma_f16 v80, v9, v108, v80
	v_mul_u32_u24_e32 v108, 0x10001, v115
	s_delay_alu instid0(VALU_DEP_1) | instskip(SKIP_2) | instid1(VALU_DEP_1)
	v_pk_fma_f16 v74, v8, v108, v74
	v_pk_fma_f16 v81, v9, v108, v81
	v_mul_u32_u24_e32 v108, 0x10001, v111
	v_pk_fma_f16 v9, v9, v108, v82
	v_mul_u32_u24_e32 v82, 0x10001, v120
	v_pk_fma_f16 v8, v8, v108, v83
	s_delay_alu instid0(VALU_DEP_2) | instskip(SKIP_2) | instid1(VALU_DEP_1)
	v_pk_fma_f16 v68, v10, v82, v68
	v_pk_fma_f16 v75, v11, v82, v75
	v_mul_u32_u24_e32 v82, 0x10001, v116
	v_pk_fma_f16 v69, v10, v82, v69
	v_pk_fma_f16 v76, v11, v82, v76
	v_mul_u32_u24_e32 v82, 0x10001, v121
	s_delay_alu instid0(VALU_DEP_1) | instskip(SKIP_2) | instid1(VALU_DEP_1)
	v_pk_fma_f16 v70, v10, v82, v70
	v_pk_fma_f16 v77, v11, v82, v77
	v_mul_u32_u24_e32 v82, 0x10001, v117
	v_pk_fma_f16 v71, v10, v82, v71
	v_pk_fma_f16 v78, v11, v82, v78
	v_mul_u32_u24_e32 v82, 0x10001, v122
	s_delay_alu instid0(VALU_DEP_1) | instskip(SKIP_2) | instid1(VALU_DEP_1)
	v_pk_fma_f16 v72, v10, v82, v72
	v_pk_fma_f16 v79, v11, v82, v79
	v_mul_u32_u24_e32 v82, 0x10001, v118
	v_pk_fma_f16 v73, v10, v82, v73
	v_pk_fma_f16 v80, v11, v82, v80
	v_mul_u32_u24_e32 v82, 0x10001, v123
	s_delay_alu instid0(VALU_DEP_1) | instskip(SKIP_2) | instid1(VALU_DEP_1)
	v_pk_fma_f16 v74, v10, v82, v74
	v_pk_fma_f16 v81, v11, v82, v81
	v_mul_u32_u24_e32 v82, 0x10001, v119
	v_pk_fma_f16 v83, v10, v82, v8
	v_pk_fma_f16 v82, v11, v82, v9
	ds_load_b128 v[8:11], v58 offset:832
	s_wait_dscnt 0x0
	v_lshrrev_b32_e32 v108, 16, v8
	v_lshrrev_b32_e32 v109, 16, v9
	;; [unrolled: 1-line block ×4, first 2 shown]
	v_and_b32_e32 v112, 0xffff, v8
	v_and_b32_e32 v113, 0xffff, v9
	;; [unrolled: 1-line block ×4, first 2 shown]
	ds_load_b128 v[8:11], v58 offset:848
	v_mul_u32_u24_e32 v108, 0x10001, v108
	v_mul_u32_u24_e32 v112, 0x10001, v112
	s_wait_dscnt 0x0
	v_lshrrev_b32_e32 v116, 16, v8
	v_lshrrev_b32_e32 v117, 16, v9
	;; [unrolled: 1-line block ×4, first 2 shown]
	v_and_b32_e32 v120, 0xffff, v8
	v_and_b32_e32 v121, 0xffff, v9
	;; [unrolled: 1-line block ×4, first 2 shown]
	ds_load_2addr_b64 v[8:11], v66 offset0:128 offset1:160
	s_wait_dscnt 0x0
	v_pk_fma_f16 v69, v8, v108, v69
	v_pk_fma_f16 v76, v9, v108, v76
	v_mul_u32_u24_e32 v108, 0x10001, v113
	v_pk_fma_f16 v68, v8, v112, v68
	v_pk_fma_f16 v75, v9, v112, v75
	s_delay_alu instid0(VALU_DEP_3) | instskip(SKIP_2) | instid1(VALU_DEP_1)
	v_pk_fma_f16 v70, v8, v108, v70
	v_pk_fma_f16 v77, v9, v108, v77
	v_mul_u32_u24_e32 v108, 0x10001, v109
	v_pk_fma_f16 v71, v8, v108, v71
	v_pk_fma_f16 v78, v9, v108, v78
	v_mul_u32_u24_e32 v108, 0x10001, v114
	s_delay_alu instid0(VALU_DEP_1) | instskip(SKIP_2) | instid1(VALU_DEP_1)
	v_pk_fma_f16 v72, v8, v108, v72
	v_pk_fma_f16 v79, v9, v108, v79
	v_mul_u32_u24_e32 v108, 0x10001, v110
	v_pk_fma_f16 v73, v8, v108, v73
	v_pk_fma_f16 v80, v9, v108, v80
	v_mul_u32_u24_e32 v108, 0x10001, v115
	s_delay_alu instid0(VALU_DEP_1) | instskip(SKIP_2) | instid1(VALU_DEP_1)
	v_pk_fma_f16 v74, v8, v108, v74
	v_pk_fma_f16 v81, v9, v108, v81
	v_mul_u32_u24_e32 v108, 0x10001, v111
	v_pk_fma_f16 v9, v9, v108, v82
	v_mul_u32_u24_e32 v82, 0x10001, v120
	v_pk_fma_f16 v8, v8, v108, v83
	s_delay_alu instid0(VALU_DEP_2) | instskip(SKIP_2) | instid1(VALU_DEP_1)
	v_pk_fma_f16 v68, v10, v82, v68
	v_pk_fma_f16 v75, v11, v82, v75
	v_mul_u32_u24_e32 v82, 0x10001, v116
	v_pk_fma_f16 v69, v10, v82, v69
	v_pk_fma_f16 v76, v11, v82, v76
	v_mul_u32_u24_e32 v82, 0x10001, v121
	s_delay_alu instid0(VALU_DEP_1) | instskip(SKIP_2) | instid1(VALU_DEP_1)
	v_pk_fma_f16 v70, v10, v82, v70
	v_pk_fma_f16 v77, v11, v82, v77
	v_mul_u32_u24_e32 v82, 0x10001, v117
	v_pk_fma_f16 v71, v10, v82, v71
	v_pk_fma_f16 v78, v11, v82, v78
	v_mul_u32_u24_e32 v82, 0x10001, v122
	s_delay_alu instid0(VALU_DEP_1) | instskip(SKIP_2) | instid1(VALU_DEP_1)
	;; [unrolled: 7-line block ×3, first 2 shown]
	v_pk_fma_f16 v74, v10, v82, v74
	v_pk_fma_f16 v81, v11, v82, v81
	v_mul_u32_u24_e32 v82, 0x10001, v119
	v_pk_fma_f16 v83, v10, v82, v8
	v_pk_fma_f16 v82, v11, v82, v9
	ds_load_b128 v[8:11], v58 offset:864
	s_wait_dscnt 0x0
	v_lshrrev_b32_e32 v108, 16, v8
	v_lshrrev_b32_e32 v109, 16, v9
	;; [unrolled: 1-line block ×4, first 2 shown]
	v_and_b32_e32 v112, 0xffff, v8
	v_and_b32_e32 v113, 0xffff, v9
	;; [unrolled: 1-line block ×4, first 2 shown]
	ds_load_b128 v[8:11], v58 offset:880
	v_mul_u32_u24_e32 v108, 0x10001, v108
	v_mul_u32_u24_e32 v112, 0x10001, v112
	s_wait_dscnt 0x0
	v_lshrrev_b32_e32 v116, 16, v8
	v_lshrrev_b32_e32 v117, 16, v9
	;; [unrolled: 1-line block ×4, first 2 shown]
	v_and_b32_e32 v120, 0xffff, v8
	v_and_b32_e32 v121, 0xffff, v9
	;; [unrolled: 1-line block ×4, first 2 shown]
	ds_load_2addr_b64 v[8:11], v66 offset0:192 offset1:224
	s_wait_dscnt 0x0
	v_pk_fma_f16 v69, v8, v108, v69
	v_pk_fma_f16 v76, v9, v108, v76
	v_mul_u32_u24_e32 v108, 0x10001, v113
	v_pk_fma_f16 v68, v8, v112, v68
	v_pk_fma_f16 v75, v9, v112, v75
	s_delay_alu instid0(VALU_DEP_3) | instskip(SKIP_2) | instid1(VALU_DEP_1)
	v_pk_fma_f16 v70, v8, v108, v70
	v_pk_fma_f16 v77, v9, v108, v77
	v_mul_u32_u24_e32 v108, 0x10001, v109
	v_pk_fma_f16 v71, v8, v108, v71
	v_pk_fma_f16 v78, v9, v108, v78
	v_mul_u32_u24_e32 v108, 0x10001, v114
	s_delay_alu instid0(VALU_DEP_1) | instskip(SKIP_2) | instid1(VALU_DEP_1)
	v_pk_fma_f16 v72, v8, v108, v72
	v_pk_fma_f16 v79, v9, v108, v79
	v_mul_u32_u24_e32 v108, 0x10001, v110
	v_pk_fma_f16 v73, v8, v108, v73
	v_pk_fma_f16 v80, v9, v108, v80
	v_mul_u32_u24_e32 v108, 0x10001, v115
	s_delay_alu instid0(VALU_DEP_1) | instskip(SKIP_2) | instid1(VALU_DEP_1)
	v_pk_fma_f16 v74, v8, v108, v74
	v_pk_fma_f16 v81, v9, v108, v81
	v_mul_u32_u24_e32 v108, 0x10001, v111
	v_pk_fma_f16 v9, v9, v108, v82
	v_mul_u32_u24_e32 v82, 0x10001, v120
	v_pk_fma_f16 v8, v8, v108, v83
	s_delay_alu instid0(VALU_DEP_2) | instskip(SKIP_2) | instid1(VALU_DEP_1)
	v_pk_fma_f16 v68, v10, v82, v68
	v_pk_fma_f16 v75, v11, v82, v75
	v_mul_u32_u24_e32 v82, 0x10001, v116
	v_pk_fma_f16 v69, v10, v82, v69
	v_pk_fma_f16 v76, v11, v82, v76
	v_mul_u32_u24_e32 v82, 0x10001, v121
	s_delay_alu instid0(VALU_DEP_1) | instskip(SKIP_2) | instid1(VALU_DEP_1)
	v_pk_fma_f16 v70, v10, v82, v70
	v_pk_fma_f16 v77, v11, v82, v77
	v_mul_u32_u24_e32 v82, 0x10001, v117
	v_pk_fma_f16 v71, v10, v82, v71
	v_pk_fma_f16 v78, v11, v82, v78
	v_mul_u32_u24_e32 v82, 0x10001, v122
	s_delay_alu instid0(VALU_DEP_1) | instskip(SKIP_2) | instid1(VALU_DEP_1)
	;; [unrolled: 7-line block ×3, first 2 shown]
	v_pk_fma_f16 v74, v10, v82, v74
	v_pk_fma_f16 v81, v11, v82, v81
	v_mul_u32_u24_e32 v82, 0x10001, v119
	v_pk_fma_f16 v83, v10, v82, v8
	v_pk_fma_f16 v82, v11, v82, v9
	ds_load_b128 v[8:11], v58 offset:896
	s_wait_dscnt 0x0
	v_lshrrev_b32_e32 v108, 16, v8
	v_lshrrev_b32_e32 v109, 16, v9
	;; [unrolled: 1-line block ×4, first 2 shown]
	v_and_b32_e32 v112, 0xffff, v8
	v_and_b32_e32 v113, 0xffff, v9
	;; [unrolled: 1-line block ×4, first 2 shown]
	ds_load_b128 v[8:11], v58 offset:912
	v_mul_u32_u24_e32 v108, 0x10001, v108
	v_mul_u32_u24_e32 v112, 0x10001, v112
	s_wait_dscnt 0x0
	v_lshrrev_b32_e32 v116, 16, v8
	v_lshrrev_b32_e32 v117, 16, v9
	;; [unrolled: 1-line block ×4, first 2 shown]
	v_and_b32_e32 v120, 0xffff, v8
	v_and_b32_e32 v121, 0xffff, v9
	;; [unrolled: 1-line block ×4, first 2 shown]
	ds_load_2addr_b64 v[8:11], v67 offset1:32
	s_wait_dscnt 0x0
	v_pk_fma_f16 v69, v8, v108, v69
	v_pk_fma_f16 v76, v9, v108, v76
	v_mul_u32_u24_e32 v108, 0x10001, v113
	v_pk_fma_f16 v68, v8, v112, v68
	v_pk_fma_f16 v75, v9, v112, v75
	s_delay_alu instid0(VALU_DEP_3) | instskip(SKIP_2) | instid1(VALU_DEP_1)
	v_pk_fma_f16 v70, v8, v108, v70
	v_pk_fma_f16 v77, v9, v108, v77
	v_mul_u32_u24_e32 v108, 0x10001, v109
	v_pk_fma_f16 v71, v8, v108, v71
	v_pk_fma_f16 v78, v9, v108, v78
	v_mul_u32_u24_e32 v108, 0x10001, v114
	s_delay_alu instid0(VALU_DEP_1) | instskip(SKIP_2) | instid1(VALU_DEP_1)
	v_pk_fma_f16 v72, v8, v108, v72
	v_pk_fma_f16 v79, v9, v108, v79
	v_mul_u32_u24_e32 v108, 0x10001, v110
	v_pk_fma_f16 v73, v8, v108, v73
	v_pk_fma_f16 v80, v9, v108, v80
	v_mul_u32_u24_e32 v108, 0x10001, v115
	s_delay_alu instid0(VALU_DEP_1) | instskip(SKIP_2) | instid1(VALU_DEP_1)
	v_pk_fma_f16 v74, v8, v108, v74
	v_pk_fma_f16 v81, v9, v108, v81
	v_mul_u32_u24_e32 v108, 0x10001, v111
	v_pk_fma_f16 v9, v9, v108, v82
	v_mul_u32_u24_e32 v82, 0x10001, v120
	v_pk_fma_f16 v8, v8, v108, v83
	s_delay_alu instid0(VALU_DEP_2) | instskip(SKIP_2) | instid1(VALU_DEP_1)
	v_pk_fma_f16 v68, v10, v82, v68
	v_pk_fma_f16 v75, v11, v82, v75
	v_mul_u32_u24_e32 v82, 0x10001, v116
	v_pk_fma_f16 v69, v10, v82, v69
	v_pk_fma_f16 v76, v11, v82, v76
	v_mul_u32_u24_e32 v82, 0x10001, v121
	s_delay_alu instid0(VALU_DEP_1) | instskip(SKIP_2) | instid1(VALU_DEP_1)
	v_pk_fma_f16 v70, v10, v82, v70
	v_pk_fma_f16 v77, v11, v82, v77
	v_mul_u32_u24_e32 v82, 0x10001, v117
	v_pk_fma_f16 v71, v10, v82, v71
	v_pk_fma_f16 v78, v11, v82, v78
	v_mul_u32_u24_e32 v82, 0x10001, v122
	s_delay_alu instid0(VALU_DEP_1) | instskip(SKIP_2) | instid1(VALU_DEP_1)
	;; [unrolled: 7-line block ×3, first 2 shown]
	v_pk_fma_f16 v74, v10, v82, v74
	v_pk_fma_f16 v81, v11, v82, v81
	v_mul_u32_u24_e32 v82, 0x10001, v119
	v_pk_fma_f16 v83, v10, v82, v8
	v_pk_fma_f16 v82, v11, v82, v9
	ds_load_b128 v[8:11], v58 offset:928
	s_wait_dscnt 0x0
	v_lshrrev_b32_e32 v108, 16, v8
	v_lshrrev_b32_e32 v109, 16, v9
	;; [unrolled: 1-line block ×4, first 2 shown]
	v_and_b32_e32 v112, 0xffff, v8
	v_and_b32_e32 v113, 0xffff, v9
	;; [unrolled: 1-line block ×4, first 2 shown]
	ds_load_b128 v[8:11], v58 offset:944
	v_mul_u32_u24_e32 v108, 0x10001, v108
	v_mul_u32_u24_e32 v112, 0x10001, v112
	s_wait_dscnt 0x0
	v_lshrrev_b32_e32 v116, 16, v8
	v_lshrrev_b32_e32 v117, 16, v9
	v_lshrrev_b32_e32 v118, 16, v10
	v_lshrrev_b32_e32 v119, 16, v11
	v_and_b32_e32 v120, 0xffff, v8
	v_and_b32_e32 v121, 0xffff, v9
	;; [unrolled: 1-line block ×4, first 2 shown]
	ds_load_2addr_b64 v[8:11], v67 offset0:64 offset1:96
	s_wait_dscnt 0x0
	v_pk_fma_f16 v69, v8, v108, v69
	v_pk_fma_f16 v76, v9, v108, v76
	v_mul_u32_u24_e32 v108, 0x10001, v113
	v_pk_fma_f16 v68, v8, v112, v68
	v_pk_fma_f16 v75, v9, v112, v75
	s_delay_alu instid0(VALU_DEP_3) | instskip(SKIP_2) | instid1(VALU_DEP_1)
	v_pk_fma_f16 v70, v8, v108, v70
	v_pk_fma_f16 v77, v9, v108, v77
	v_mul_u32_u24_e32 v108, 0x10001, v109
	v_pk_fma_f16 v71, v8, v108, v71
	v_pk_fma_f16 v78, v9, v108, v78
	v_mul_u32_u24_e32 v108, 0x10001, v114
	s_delay_alu instid0(VALU_DEP_1) | instskip(SKIP_2) | instid1(VALU_DEP_1)
	v_pk_fma_f16 v72, v8, v108, v72
	v_pk_fma_f16 v79, v9, v108, v79
	v_mul_u32_u24_e32 v108, 0x10001, v110
	v_pk_fma_f16 v73, v8, v108, v73
	v_pk_fma_f16 v80, v9, v108, v80
	v_mul_u32_u24_e32 v108, 0x10001, v115
	s_delay_alu instid0(VALU_DEP_1) | instskip(SKIP_2) | instid1(VALU_DEP_1)
	v_pk_fma_f16 v74, v8, v108, v74
	v_pk_fma_f16 v81, v9, v108, v81
	v_mul_u32_u24_e32 v108, 0x10001, v111
	v_pk_fma_f16 v9, v9, v108, v82
	v_mul_u32_u24_e32 v82, 0x10001, v120
	v_pk_fma_f16 v8, v8, v108, v83
	s_delay_alu instid0(VALU_DEP_2) | instskip(SKIP_2) | instid1(VALU_DEP_1)
	v_pk_fma_f16 v68, v10, v82, v68
	v_pk_fma_f16 v75, v11, v82, v75
	v_mul_u32_u24_e32 v82, 0x10001, v116
	v_pk_fma_f16 v69, v10, v82, v69
	v_pk_fma_f16 v76, v11, v82, v76
	v_mul_u32_u24_e32 v82, 0x10001, v121
	s_delay_alu instid0(VALU_DEP_1) | instskip(SKIP_2) | instid1(VALU_DEP_1)
	v_pk_fma_f16 v70, v10, v82, v70
	v_pk_fma_f16 v77, v11, v82, v77
	v_mul_u32_u24_e32 v82, 0x10001, v117
	v_pk_fma_f16 v71, v10, v82, v71
	v_pk_fma_f16 v78, v11, v82, v78
	v_mul_u32_u24_e32 v82, 0x10001, v122
	s_delay_alu instid0(VALU_DEP_1) | instskip(SKIP_2) | instid1(VALU_DEP_1)
	;; [unrolled: 7-line block ×3, first 2 shown]
	v_pk_fma_f16 v74, v10, v82, v74
	v_pk_fma_f16 v81, v11, v82, v81
	v_mul_u32_u24_e32 v82, 0x10001, v119
	v_pk_fma_f16 v83, v10, v82, v8
	v_pk_fma_f16 v82, v11, v82, v9
	ds_load_b128 v[8:11], v58 offset:960
	s_wait_dscnt 0x0
	v_lshrrev_b32_e32 v108, 16, v8
	v_lshrrev_b32_e32 v109, 16, v9
	;; [unrolled: 1-line block ×4, first 2 shown]
	v_and_b32_e32 v112, 0xffff, v8
	v_and_b32_e32 v113, 0xffff, v9
	;; [unrolled: 1-line block ×4, first 2 shown]
	ds_load_b128 v[8:11], v58 offset:976
	v_mul_u32_u24_e32 v108, 0x10001, v108
	v_mul_u32_u24_e32 v112, 0x10001, v112
	s_wait_dscnt 0x0
	v_lshrrev_b32_e32 v116, 16, v8
	v_lshrrev_b32_e32 v117, 16, v9
	;; [unrolled: 1-line block ×4, first 2 shown]
	v_and_b32_e32 v120, 0xffff, v8
	v_and_b32_e32 v121, 0xffff, v9
	;; [unrolled: 1-line block ×4, first 2 shown]
	ds_load_2addr_b64 v[8:11], v67 offset0:128 offset1:160
	s_wait_dscnt 0x0
	v_pk_fma_f16 v69, v8, v108, v69
	v_pk_fma_f16 v76, v9, v108, v76
	v_mul_u32_u24_e32 v108, 0x10001, v113
	v_pk_fma_f16 v68, v8, v112, v68
	v_pk_fma_f16 v75, v9, v112, v75
	s_delay_alu instid0(VALU_DEP_3) | instskip(SKIP_2) | instid1(VALU_DEP_1)
	v_pk_fma_f16 v70, v8, v108, v70
	v_pk_fma_f16 v77, v9, v108, v77
	v_mul_u32_u24_e32 v108, 0x10001, v109
	v_pk_fma_f16 v71, v8, v108, v71
	v_pk_fma_f16 v78, v9, v108, v78
	v_mul_u32_u24_e32 v108, 0x10001, v114
	s_delay_alu instid0(VALU_DEP_1) | instskip(SKIP_2) | instid1(VALU_DEP_1)
	v_pk_fma_f16 v72, v8, v108, v72
	v_pk_fma_f16 v79, v9, v108, v79
	v_mul_u32_u24_e32 v108, 0x10001, v110
	v_pk_fma_f16 v73, v8, v108, v73
	v_pk_fma_f16 v80, v9, v108, v80
	v_mul_u32_u24_e32 v108, 0x10001, v115
	s_delay_alu instid0(VALU_DEP_1) | instskip(SKIP_2) | instid1(VALU_DEP_1)
	v_pk_fma_f16 v74, v8, v108, v74
	v_pk_fma_f16 v81, v9, v108, v81
	v_mul_u32_u24_e32 v108, 0x10001, v111
	v_pk_fma_f16 v9, v9, v108, v82
	v_mul_u32_u24_e32 v82, 0x10001, v120
	v_pk_fma_f16 v8, v8, v108, v83
	s_delay_alu instid0(VALU_DEP_2) | instskip(SKIP_2) | instid1(VALU_DEP_1)
	v_pk_fma_f16 v68, v10, v82, v68
	v_pk_fma_f16 v75, v11, v82, v75
	v_mul_u32_u24_e32 v82, 0x10001, v116
	v_pk_fma_f16 v69, v10, v82, v69
	v_pk_fma_f16 v76, v11, v82, v76
	v_mul_u32_u24_e32 v82, 0x10001, v121
	s_delay_alu instid0(VALU_DEP_1) | instskip(SKIP_2) | instid1(VALU_DEP_1)
	v_pk_fma_f16 v70, v10, v82, v70
	v_pk_fma_f16 v77, v11, v82, v77
	v_mul_u32_u24_e32 v82, 0x10001, v117
	v_pk_fma_f16 v71, v10, v82, v71
	v_pk_fma_f16 v78, v11, v82, v78
	v_mul_u32_u24_e32 v82, 0x10001, v122
	s_delay_alu instid0(VALU_DEP_1) | instskip(SKIP_2) | instid1(VALU_DEP_1)
	;; [unrolled: 7-line block ×3, first 2 shown]
	v_pk_fma_f16 v74, v10, v82, v74
	v_pk_fma_f16 v81, v11, v82, v81
	v_mul_u32_u24_e32 v82, 0x10001, v119
	v_pk_fma_f16 v83, v10, v82, v8
	v_pk_fma_f16 v82, v11, v82, v9
	ds_load_b128 v[8:11], v58 offset:992
	s_wait_dscnt 0x0
	v_lshrrev_b32_e32 v108, 16, v8
	v_lshrrev_b32_e32 v109, 16, v9
	;; [unrolled: 1-line block ×4, first 2 shown]
	v_and_b32_e32 v112, 0xffff, v8
	v_and_b32_e32 v113, 0xffff, v9
	;; [unrolled: 1-line block ×4, first 2 shown]
	ds_load_b128 v[8:11], v58 offset:1008
	v_mul_u32_u24_e32 v108, 0x10001, v108
	v_mul_u32_u24_e32 v112, 0x10001, v112
	s_wait_dscnt 0x0
	v_lshrrev_b32_e32 v116, 16, v8
	v_lshrrev_b32_e32 v117, 16, v9
	;; [unrolled: 1-line block ×4, first 2 shown]
	v_and_b32_e32 v120, 0xffff, v8
	v_and_b32_e32 v121, 0xffff, v9
	;; [unrolled: 1-line block ×4, first 2 shown]
	ds_load_2addr_b64 v[8:11], v67 offset0:192 offset1:224
	s_wait_loadcnt_dscnt 0x0
	s_barrier_signal -1
	s_barrier_wait -1
	global_inv scope:SCOPE_SE
	s_load_b32 s2, s[28:29], 0x4
	v_pk_fma_f16 v69, v8, v108, v69
	v_pk_fma_f16 v76, v9, v108, v76
	v_mul_u32_u24_e32 v108, 0x10001, v113
	v_pk_fma_f16 v68, v8, v112, v68
	v_pk_fma_f16 v75, v9, v112, v75
	s_wait_kmcnt 0x0
	s_lshl_b32 s2, s2, 6
	v_pk_fma_f16 v70, v8, v108, v70
	v_pk_fma_f16 v77, v9, v108, v77
	v_mul_u32_u24_e32 v108, 0x10001, v109
	s_wait_alu 0xfffe
	s_add_co_i32 s22, s2, s22
	s_wait_alu 0xfffe
	s_cmp_ge_i32 s22, s38
	v_pk_fma_f16 v71, v8, v108, v71
	v_pk_fma_f16 v108, v9, v108, v78
	v_mul_u32_u24_e32 v78, 0x10001, v114
	s_delay_alu instid0(VALU_DEP_1) | instskip(SKIP_2) | instid1(VALU_DEP_1)
	v_pk_fma_f16 v72, v8, v78, v72
	v_pk_fma_f16 v109, v9, v78, v79
	v_mul_u32_u24_e32 v78, 0x10001, v110
	v_pk_fma_f16 v73, v8, v78, v73
	v_pk_fma_f16 v110, v9, v78, v80
	v_mul_u32_u24_e32 v78, 0x10001, v115
	s_delay_alu instid0(VALU_DEP_1) | instskip(SKIP_2) | instid1(VALU_DEP_2)
	v_pk_fma_f16 v112, v8, v78, v74
	v_mul_u32_u24_e32 v74, 0x10001, v111
	v_pk_fma_f16 v113, v9, v78, v81
	v_pk_fma_f16 v8, v8, v74, v83
	;; [unrolled: 1-line block ×3, first 2 shown]
	v_mul_u32_u24_e32 v74, 0x10001, v120
	s_delay_alu instid0(VALU_DEP_1) | instskip(SKIP_2) | instid1(VALU_DEP_2)
	v_pk_fma_f16 v82, v10, v74, v68
	v_mul_u32_u24_e32 v68, 0x10001, v116
	v_pk_fma_f16 v83, v11, v74, v75
	v_pk_fma_f16 v81, v10, v68, v69
	;; [unrolled: 1-line block ×3, first 2 shown]
	v_mul_u32_u24_e32 v68, 0x10001, v121
	s_delay_alu instid0(VALU_DEP_1) | instskip(SKIP_2) | instid1(VALU_DEP_1)
	v_pk_fma_f16 v79, v10, v68, v70
	v_pk_fma_f16 v78, v11, v68, v77
	v_mul_u32_u24_e32 v68, 0x10001, v117
	v_pk_fma_f16 v77, v10, v68, v71
	v_pk_fma_f16 v76, v11, v68, v108
	v_mul_u32_u24_e32 v68, 0x10001, v122
	s_delay_alu instid0(VALU_DEP_1) | instskip(SKIP_2) | instid1(VALU_DEP_1)
	v_pk_fma_f16 v75, v10, v68, v72
	v_pk_fma_f16 v74, v11, v68, v109
	v_mul_u32_u24_e32 v68, 0x10001, v118
	v_pk_fma_f16 v73, v10, v68, v73
	v_pk_fma_f16 v72, v11, v68, v110
	v_mul_u32_u24_e32 v68, 0x10001, v123
	s_delay_alu instid0(VALU_DEP_1) | instskip(SKIP_2) | instid1(VALU_DEP_1)
	v_pk_fma_f16 v71, v10, v68, v112
	v_pk_fma_f16 v70, v11, v68, v113
	v_mul_u32_u24_e32 v68, 0x10001, v119
	v_pk_fma_f16 v69, v10, v68, v8
	v_mov_b32_e32 v8, v50
	v_add_f32_e32 v50, v91, v99
	v_pk_fma_f16 v68, v11, v68, v9
	s_delay_alu instid0(VALU_DEP_2) | instskip(SKIP_1) | instid1(VALU_DEP_1)
	v_dual_mov_b32 v9, v42 :: v_dual_fmac_f32 v50, v8, v100
	v_dual_mov_b32 v8, v49 :: v_dual_add_f32 v49, v90, v98
	v_fmac_f32_e32 v49, v8, v101
	v_mov_b32_e32 v8, v48
	v_add_f32_e32 v48, v89, v97
	s_delay_alu instid0(VALU_DEP_1) | instskip(SKIP_1) | instid1(VALU_DEP_1)
	v_fmac_f32_e32 v48, v8, v102
	v_dual_mov_b32 v8, v47 :: v_dual_add_f32 v47, v88, v96
	v_dual_fmac_f32 v47, v8, v103 :: v_dual_mov_b32 v8, v46
	v_add_f32_e32 v46, v86, v94
	s_delay_alu instid0(VALU_DEP_1) | instskip(SKIP_1) | instid1(VALU_DEP_1)
	v_fmac_f32_e32 v46, v8, v104
	v_dual_mov_b32 v8, v45 :: v_dual_add_f32 v45, v87, v95
	v_fmac_f32_e32 v45, v8, v105
	v_mov_b32_e32 v8, v44
	v_add_f32_e32 v44, v84, v93
	s_delay_alu instid0(VALU_DEP_1) | instskip(SKIP_1) | instid1(VALU_DEP_1)
	v_fmac_f32_e32 v44, v8, v106
	v_add_f32_e32 v8, v85, v92
	v_mov_b32_e32 v42, v8
	s_delay_alu instid0(VALU_DEP_1)
	v_fmac_f32_e32 v42, v9, v107
	s_cbranch_scc0 .LBB33_9
; %bb.10:
	v_dual_mov_b32 v8, 32 :: v_dual_mov_b32 v9, v23
.LBB33_11:
	s_delay_alu instid0(VALU_DEP_1)
	v_cmp_lt_i32_e32 vcc_lo, v43, v8
	s_cmp_lg_u64 s[20:21], 0
	s_cselect_b32 s2, -1, 0
	s_cmp_eq_u32 s18, 0
	s_wait_alu 0xfffd
	v_cndmask_b32_e32 v10, v9, v43, vcc_lo
	v_cmp_lt_i32_e32 vcc_lo, v41, v8
	s_cselect_b32 s3, -1, 0
	s_wait_alu 0xfffe
	s_and_b32 s2, s3, s2
	v_lshlrev_b32_e32 v10, 2, v10
	ds_bpermute_b32 v11, v10, v50
	s_wait_dscnt 0x0
	v_add_f32_e32 v11, v50, v11
	ds_bpermute_b32 v13, v10, v48
	ds_bpermute_b32 v15, v10, v46
	;; [unrolled: 1-line block ×3, first 2 shown]
	s_wait_alu 0xfffd
	v_cndmask_b32_e32 v18, v9, v41, vcc_lo
	ds_bpermute_b32 v12, v10, v49
	ds_bpermute_b32 v14, v10, v47
	ds_bpermute_b32 v16, v10, v45
	ds_bpermute_b32 v10, v10, v42
	v_cmp_lt_i32_e32 vcc_lo, v40, v8
	s_wait_dscnt 0x6
	v_add_f32_e32 v13, v48, v13
	s_wait_dscnt 0x5
	v_dual_add_f32 v15, v46, v15 :: v_dual_lshlrev_b32 v18, 2, v18
	s_wait_dscnt 0x4
	v_add_f32_e32 v17, v44, v17
	ds_bpermute_b32 v23, v18, v13
	ds_bpermute_b32 v19, v18, v11
	s_wait_dscnt 0x4
	v_add_f32_e32 v14, v47, v14
	ds_bpermute_b32 v44, v18, v17
	s_wait_dscnt 0x3
	v_add_f32_e32 v10, v42, v10
	ds_bpermute_b32 v42, v18, v15
	v_add_f32_e32 v12, v49, v12
	v_add_f32_e32 v16, v45, v16
	s_wait_dscnt 0x3
	v_add_f32_e32 v13, v13, v23
	ds_bpermute_b32 v41, v18, v14
	s_wait_dscnt 0x3
	s_wait_alu 0xfffd
	v_dual_add_f32 v11, v11, v19 :: v_dual_cndmask_b32 v40, v9, v40
	ds_bpermute_b32 v20, v18, v12
	s_wait_dscnt 0x2
	v_add_f32_e32 v15, v15, v42
	ds_bpermute_b32 v43, v18, v16
	v_add_f32_e32 v17, v17, v44
	v_lshlrev_b32_e32 v40, 2, v40
	ds_bpermute_b32 v18, v18, v10
	v_cmp_lt_i32_e32 vcc_lo, v22, v8
	s_wait_alu 0xfffd
	v_cndmask_b32_e32 v22, v9, v22, vcc_lo
	v_cmp_lt_i32_e32 vcc_lo, v21, v8
	s_delay_alu instid0(VALU_DEP_2)
	v_lshlrev_b32_e32 v22, 2, v22
	s_wait_dscnt 0x3
	v_add_f32_e32 v14, v14, v41
	ds_bpermute_b32 v41, v40, v15
	s_wait_alu 0xfffd
	v_cndmask_b32_e32 v8, v9, v21, vcc_lo
	s_wait_alu 0xfffe
	s_and_b32 vcc_lo, exec_lo, s2
	s_delay_alu instid0(VALU_DEP_1)
	v_lshlrev_b32_e32 v8, 2, v8
	s_wait_dscnt 0x0
	v_dual_add_f32 v10, v10, v18 :: v_dual_add_f32 v15, v15, v41
	ds_bpermute_b32 v18, v40, v11
	s_wait_dscnt 0x0
	v_add_f32_e32 v11, v11, v18
	ds_bpermute_b32 v18, v22, v11
	v_add_f32_e32 v16, v16, v43
	ds_bpermute_b32 v43, v40, v17
	;; [unrolled: 2-line block ×3, first 2 shown]
	s_wait_dscnt 0x2
	v_add_f32_e32 v9, v11, v18
	ds_bpermute_b32 v42, v40, v16
	s_wait_dscnt 0x2
	v_add_f32_e32 v17, v17, v43
	ds_bpermute_b32 v19, v40, v12
	;; [unrolled: 3-line block ×3, first 2 shown]
	ds_bpermute_b32 v20, v22, v13
	s_wait_dscnt 0x2
	v_add_f32_e32 v12, v12, v19
	ds_bpermute_b32 v19, v22, v12
	s_wait_dscnt 0x0
	v_add_f32_e32 v11, v12, v19
	ds_bpermute_b32 v40, v40, v10
	v_add_f32_e32 v12, v13, v20
	ds_bpermute_b32 v18, v8, v11
	;; [unrolled: 2-line block ×3, first 2 shown]
	ds_bpermute_b32 v23, v22, v14
	s_wait_dscnt 0x3
	v_add_f32_e32 v10, v10, v40
	ds_bpermute_b32 v40, v22, v15
	s_wait_dscnt 0x1
	v_add_f32_e32 v13, v14, v23
	ds_bpermute_b32 v20, v8, v13
	v_add_f32_e32 v16, v16, v42
	ds_bpermute_b32 v41, v22, v16
	s_wait_dscnt 0x2
	v_add_f32_e32 v14, v15, v40
	ds_bpermute_b32 v21, v8, v14
	s_wait_dscnt 0x1
	v_add_f32_e32 v15, v16, v41
	ds_bpermute_b32 v42, v22, v17
	ds_bpermute_b32 v22, v22, v10
	s_wait_dscnt 0x1
	v_add_f32_e32 v16, v17, v42
	s_wait_dscnt 0x0
	v_add_f32_e32 v17, v10, v22
	ds_bpermute_b32 v10, v8, v9
	ds_bpermute_b32 v22, v8, v15
	;; [unrolled: 1-line block ×4, first 2 shown]
	s_wait_dscnt 0x3
	v_add_f32_e32 v8, v9, v10
	v_dual_add_f32 v9, v11, v18 :: v_dual_add_f32 v10, v12, v19
	v_dual_add_f32 v11, v13, v20 :: v_dual_add_f32 v12, v14, v21
	s_wait_dscnt 0x1
	v_dual_add_f32 v13, v15, v22 :: v_dual_add_f32 v14, v16, v23
	s_wait_dscnt 0x0
	v_add_f32_e32 v15, v17, v40
	s_wait_alu 0xfffe
	s_cbranch_vccz .LBB33_14
; %bb.12:
	s_ashr_i32 s35, s34, 31
	v_dual_mov_b32 v16, 0 :: v_dual_max_num_f32 v17, v1, v1
	s_lshl_b64 s[2:3], s[34:35], 2
	v_dual_max_num_f32 v20, v4, v4 :: v_dual_max_num_f32 v21, v5, v5
	s_wait_alu 0xfffe
	s_add_nc_u64 s[2:3], s[20:21], s[2:3]
	v_max_num_f32_e32 v19, v3, v3
	global_load_b64 v[40:41], v16, s[2:3]
	v_max_num_f32_e32 v16, v0, v0
	v_dual_max_num_f32 v18, v2, v2 :: v_dual_max_num_f32 v43, v7, v7
	s_wait_loadcnt 0x0
	v_dual_max_num_f32 v22, v40, v40 :: v_dual_max_num_f32 v23, v41, v41
	v_max_num_f32_e32 v42, v6, v6
	s_delay_alu instid0(VALU_DEP_2) | instskip(SKIP_2) | instid1(VALU_DEP_4)
	v_dual_max_num_f32 v16, v16, v22 :: v_dual_max_num_f32 v19, v19, v23
	v_dual_max_num_f32 v17, v17, v23 :: v_dual_max_num_f32 v18, v18, v22
	;; [unrolled: 1-line block ×4, first 2 shown]
	s_delay_alu instid0(VALU_DEP_4) | instskip(NEXT) | instid1(VALU_DEP_4)
	v_sub_f32_e32 v43, v40, v16
	v_dual_sub_f32 v42, v0, v16 :: v_dual_sub_f32 v45, v41, v17
	v_dual_sub_f32 v44, v1, v17 :: v_dual_sub_f32 v47, v40, v18
	;; [unrolled: 1-line block ×7, first 2 shown]
	v_dual_mov_b32 v0, v16 :: v_dual_mov_b32 v3, v19
	v_dual_sub_f32 v40, v40, v22 :: v_dual_mov_b32 v1, v17
	v_dual_mov_b32 v2, v18 :: v_dual_mov_b32 v5, v21
	v_dual_mov_b32 v4, v20 :: v_dual_mov_b32 v7, v23
	v_dual_mov_b32 v6, v22 :: v_dual_mul_f32 v17, 0x3fb8aa3b, v43
	v_dual_mul_f32 v16, 0x3fb8aa3b, v42 :: v_dual_mul_f32 v19, 0x3fb8aa3b, v45
	v_dual_mul_f32 v22, 0x3fb8aa3b, v48 :: v_dual_mul_f32 v57, 0x3fb8aa3b, v51
	v_dual_mul_f32 v18, 0x3fb8aa3b, v44 :: v_dual_mul_f32 v21, 0x3fb8aa3b, v47
	s_delay_alu instid0(VALU_DEP_3)
	v_fma_f32 v64, 0x3fb8aa3b, v42, -v16
	v_rndne_f32_e32 v65, v16
	v_fma_f32 v66, 0x3fb8aa3b, v43, -v17
	v_rndne_f32_e32 v67, v17
	;; [unrolled: 2-line block ×3, first 2 shown]
	v_rndne_f32_e32 v99, v57
	s_delay_alu instid0(VALU_DEP_4) | instskip(NEXT) | instid1(VALU_DEP_3)
	v_dual_fmac_f32 v64, 0x32a5705f, v42 :: v_dual_sub_f32 v17, v17, v67
	v_dual_sub_f32 v16, v16, v65 :: v_dual_sub_f32 v19, v19, v87
	v_dual_mul_f32 v20, 0x3fb8aa3b, v46 :: v_dual_mul_f32 v23, 0x3fb8aa3b, v49
	v_fma_f32 v84, 0x3fb8aa3b, v44, -v18
	v_rndne_f32_e32 v85, v18
	v_fma_f32 v98, 0x3fb8aa3b, v51, -v57
	v_dual_fmac_f32 v86, 0x32a5705f, v45 :: v_dual_sub_f32 v57, v57, v99
	v_fmac_f32_e32 v66, 0x32a5705f, v43
	v_add_f32_e32 v16, v16, v64
	v_dual_mul_f32 v60, 0x3fb8aa3b, v54 :: v_dual_mul_f32 v61, 0x3fb8aa3b, v40
	v_rndne_f32_e32 v91, v21
	v_rndne_f32_e32 v95, v23
	v_fmac_f32_e32 v84, 0x32a5705f, v44
	v_dual_sub_f32 v18, v18, v85 :: v_dual_add_f32 v19, v19, v86
	v_dual_mul_f32 v62, 0x3fb8aa3b, v55 :: v_dual_add_f32 v17, v17, v66
	v_exp_f32_e32 v16, v16
	v_dual_mul_f32 v56, 0x3fb8aa3b, v50 :: v_dual_mul_f32 v59, 0x3fb8aa3b, v53
	v_fma_f32 v88, 0x3fb8aa3b, v46, -v20
	v_rndne_f32_e32 v89, v20
	v_fma_f32 v90, 0x3fb8aa3b, v47, -v21
	v_fma_f32 v94, 0x3fb8aa3b, v49, -v23
	;; [unrolled: 1-line block ×3, first 2 shown]
	v_rndne_f32_e32 v107, v61
	v_cvt_i32_f32_e32 v65, v65
	v_sub_f32_e32 v21, v21, v91
	v_dual_sub_f32 v23, v23, v95 :: v_dual_add_f32 v18, v18, v84
	v_exp_f32_e32 v17, v17
	v_rndne_f32_e32 v103, v59
	v_cvt_i32_f32_e32 v67, v67
	v_fmac_f32_e32 v88, 0x32a5705f, v46
	v_dual_sub_f32 v20, v20, v89 :: v_dual_sub_f32 v61, v61, v107
	v_fmac_f32_e32 v106, 0x32a5705f, v40
	v_fmac_f32_e32 v98, 0x32a5705f, v51
	v_exp_f32_e32 v18, v18
	v_ldexp_f32 v16, v16, v65
	v_cmp_ngt_f32_e32 vcc_lo, 0xc2ce8ed0, v42
	v_dual_mul_f32 v58, 0x3fb8aa3b, v52 :: v_dual_mul_f32 v63, 0x3fb8aa3b, v41
	v_fma_f32 v92, 0x3fb8aa3b, v48, -v22
	v_rndne_f32_e32 v93, v22
	v_fma_f32 v96, 0x3fb8aa3b, v50, -v56
	v_fma_f32 v102, 0x3fb8aa3b, v53, -v59
	v_cvt_i32_f32_e32 v85, v85
	v_dual_sub_f32 v59, v59, v103 :: v_dual_add_f32 v20, v20, v88
	v_dual_add_f32 v61, v61, v106 :: v_dual_fmac_f32 v94, 0x32a5705f, v49
	v_dual_add_f32 v57, v57, v98 :: v_dual_fmac_f32 v90, 0x32a5705f, v47
	v_exp_f32_e32 v19, v19
	v_ldexp_f32 v17, v17, v67
	s_wait_alu 0xfffd
	v_cndmask_b32_e32 v16, 0, v16, vcc_lo
	v_cmp_ngt_f32_e32 vcc_lo, 0xc2ce8ed0, v43
	v_rndne_f32_e32 v111, v63
	v_cvt_i32_f32_e32 v87, v87
	v_fmac_f32_e32 v92, 0x32a5705f, v48
	s_wait_alu 0xfffd
	v_dual_fmac_f32 v96, 0x32a5705f, v50 :: v_dual_cndmask_b32 v17, 0, v17
	v_dual_add_f32 v23, v23, v94 :: v_dual_sub_f32 v22, v22, v93
	v_add_f32_e32 v21, v21, v90
	v_exp_f32_e32 v20, v20
	v_ldexp_f32 v18, v18, v85
	v_cmp_ngt_f32_e32 vcc_lo, 0xc2ce8ed0, v44
	v_rndne_f32_e32 v101, v58
	v_fma_f32 v110, 0x3fb8aa3b, v41, -v63
	v_cvt_i32_f32_e32 v89, v89
	v_dual_sub_f32 v63, v63, v111 :: v_dual_add_f32 v22, v22, v92
	v_exp_f32_e32 v21, v21
	v_ldexp_f32 v19, v19, v87
	s_wait_alu 0xfffd
	v_cndmask_b32_e32 v18, 0, v18, vcc_lo
	v_cmp_ngt_f32_e32 vcc_lo, 0xc2ce8ed0, v45
	v_fma_f32 v100, 0x3fb8aa3b, v52, -v58
	v_cvt_i32_f32_e32 v91, v91
	v_sub_f32_e32 v58, v58, v101
	v_exp_f32_e32 v22, v22
	v_ldexp_f32 v20, v20, v89
	s_wait_alu 0xfffd
	v_cndmask_b32_e32 v19, 0, v19, vcc_lo
	v_cmp_ngt_f32_e32 vcc_lo, 0xc2ce8ed0, v46
	v_fma_f32 v104, 0x3fb8aa3b, v54, -v60
	v_cvt_i32_f32_e32 v93, v93
	v_exp_f32_e32 v23, v23
	v_ldexp_f32 v21, v21, v91
	s_wait_alu 0xfffd
	v_cndmask_b32_e32 v20, 0, v20, vcc_lo
	v_cmp_ngt_f32_e32 vcc_lo, 0xc2ce8ed0, v47
	v_cvt_i32_f32_e32 v95, v95
	v_fmac_f32_e32 v104, 0x32a5705f, v54
	v_ldexp_f32 v22, v22, v93
	v_rndne_f32_e32 v97, v56
	s_wait_alu 0xfffd
	v_cndmask_b32_e32 v21, 0, v21, vcc_lo
	v_cmp_ngt_f32_e32 vcc_lo, 0xc2ce8ed0, v48
	v_ldexp_f32 v23, v23, v95
	v_fmac_f32_e32 v110, 0x32a5705f, v41
	v_fmac_f32_e32 v100, 0x32a5705f, v52
	v_exp_f32_e32 v57, v57
	s_wait_alu 0xfffd
	v_cndmask_b32_e32 v22, 0, v22, vcc_lo
	v_cmp_ngt_f32_e32 vcc_lo, 0xc2ce8ed0, v49
	v_dual_fmac_f32 v102, 0x32a5705f, v53 :: v_dual_add_f32 v63, v63, v110
	v_add_f32_e32 v58, v58, v100
	v_cvt_i32_f32_e32 v99, v99
	s_wait_alu 0xfffd
	v_dual_cndmask_b32 v23, 0, v23 :: v_dual_sub_f32 v56, v56, v97
	v_add_f32_e32 v59, v59, v102
	v_cvt_i32_f32_e32 v97, v97
	v_exp_f32_e32 v58, v58
	v_cmp_ngt_f32_e32 vcc_lo, 0xc2ce8ed0, v50
	v_add_f32_e32 v56, v56, v96
	v_cvt_i32_f32_e32 v101, v101
	v_exp_f32_e32 v59, v59
	v_ldexp_f32 v57, v57, v99
	v_rndne_f32_e32 v105, v60
	v_exp_f32_e32 v56, v56
	v_cvt_i32_f32_e32 v103, v103
	v_exp_f32_e32 v61, v61
	v_ldexp_f32 v58, v58, v101
	v_exp_f32_e32 v63, v63
	v_fma_f32 v108, 0x3fb8aa3b, v55, -v62
	v_rndne_f32_e32 v109, v62
	v_ldexp_f32 v59, v59, v103
	v_cvt_i32_f32_e32 v107, v107
	v_cvt_i32_f32_e32 v111, v111
	v_ldexp_f32 v56, v56, v97
	s_delay_alu instid0(TRANS32_DEP_2) | instid1(VALU_DEP_3)
	v_ldexp_f32 v61, v61, v107
	s_delay_alu instid0(TRANS32_DEP_1) | instid1(VALU_DEP_3)
	v_ldexp_f32 v63, v63, v111
	s_wait_alu 0xfffd
	s_delay_alu instid0(VALU_DEP_3)
	v_cndmask_b32_e32 v56, 0, v56, vcc_lo
	v_cmp_ngt_f32_e32 vcc_lo, 0xc2ce8ed0, v51
	v_sub_f32_e32 v62, v62, v109
	v_cvt_i32_f32_e32 v109, v109
	s_wait_alu 0xfffd
	v_cndmask_b32_e32 v57, 0, v57, vcc_lo
	v_cmp_ngt_f32_e32 vcc_lo, 0xc2ce8ed0, v52
	s_wait_alu 0xfffd
	v_cndmask_b32_e32 v58, 0, v58, vcc_lo
	v_cmp_ngt_f32_e32 vcc_lo, 0xc2ce8ed0, v53
	v_sub_f32_e32 v60, v60, v105
	v_cvt_i32_f32_e32 v105, v105
	s_wait_alu 0xfffd
	s_delay_alu instid0(VALU_DEP_2) | instskip(SKIP_1) | instid1(VALU_DEP_2)
	v_dual_cndmask_b32 v59, 0, v59 :: v_dual_add_f32 v60, v60, v104
	v_cmp_ngt_f32_e32 vcc_lo, 0xc2ce8ed0, v54
	v_exp_f32_e32 v60, v60
	s_delay_alu instid0(TRANS32_DEP_1) | instskip(SKIP_1) | instid1(VALU_DEP_1)
	v_ldexp_f32 v60, v60, v105
	s_wait_alu 0xfffd
	v_cndmask_b32_e32 v60, 0, v60, vcc_lo
	v_cmp_ngt_f32_e32 vcc_lo, 0xc2ce8ed0, v40
	s_wait_alu 0xfffd
	v_dual_fmac_f32 v108, 0x32a5705f, v55 :: v_dual_cndmask_b32 v61, 0, v61
	s_delay_alu instid0(VALU_DEP_1) | instskip(SKIP_1) | instid1(VALU_DEP_2)
	v_add_f32_e32 v62, v62, v108
	v_cmp_ngt_f32_e32 vcc_lo, 0xc2ce8ed0, v55
	v_exp_f32_e32 v62, v62
	s_delay_alu instid0(TRANS32_DEP_1) | instskip(SKIP_1) | instid1(VALU_DEP_1)
	v_ldexp_f32 v62, v62, v109
	s_wait_alu 0xfffd
	v_cndmask_b32_e32 v62, 0, v62, vcc_lo
	v_cmp_ngt_f32_e32 vcc_lo, 0xc2ce8ed0, v41
	s_wait_alu 0xfffd
	v_cndmask_b32_e32 v63, 0, v63, vcc_lo
	v_cmp_nlt_f32_e32 vcc_lo, 0x42b17218, v42
	s_wait_alu 0xfffd
	v_cndmask_b32_e32 v42, 0x7f800000, v16, vcc_lo
	v_cmp_nlt_f32_e32 vcc_lo, 0x42b17218, v43
	s_wait_alu 0xfffd
	v_cndmask_b32_e32 v16, 0x7f800000, v17, vcc_lo
	v_cmp_nlt_f32_e32 vcc_lo, 0x42b17218, v44
	s_wait_alu 0xfffd
	v_cndmask_b32_e32 v43, 0x7f800000, v18, vcc_lo
	v_cmp_nlt_f32_e32 vcc_lo, 0x42b17218, v45
	s_wait_alu 0xfffd
	v_cndmask_b32_e32 v17, 0x7f800000, v19, vcc_lo
	v_cmp_nlt_f32_e32 vcc_lo, 0x42b17218, v46
	s_wait_alu 0xfffd
	s_delay_alu instid0(VALU_DEP_2)
	v_dual_fmac_f32 v17, v9, v43 :: v_dual_cndmask_b32 v44, 0x7f800000, v20
	v_cmp_nlt_f32_e32 vcc_lo, 0x42b17218, v47
	v_cvt_f16_f32_e32 v9, v43
	s_wait_alu 0xfffd
	v_cndmask_b32_e32 v18, 0x7f800000, v21, vcc_lo
	v_cmp_nlt_f32_e32 vcc_lo, 0x42b17218, v48
	s_wait_alu 0xfffd
	s_delay_alu instid0(VALU_DEP_2)
	v_dual_fmac_f32 v18, v10, v44 :: v_dual_cndmask_b32 v45, 0x7f800000, v22
	v_cmp_nlt_f32_e32 vcc_lo, 0x42b17218, v49
	v_cvt_f16_f32_e32 v10, v44
	s_wait_alu 0xfffd
	v_cndmask_b32_e32 v19, 0x7f800000, v23, vcc_lo
	v_cmp_nlt_f32_e32 vcc_lo, 0x42b17218, v50
	;; [unrolled: 8-line block ×3, first 2 shown]
	s_delay_alu instid0(VALU_DEP_3) | instskip(NEXT) | instid1(VALU_DEP_3)
	v_and_b32_e32 v43, 0xffff, v11
	v_dual_mov_b32 v11, v19 :: v_dual_fmac_f32 v20, v12, v46
	s_wait_alu 0xfffd
	v_cndmask_b32_e32 v47, 0x7f800000, v58, vcc_lo
	v_cmp_nlt_f32_e32 vcc_lo, 0x42b17218, v53
	v_cvt_f16_f32_e32 v12, v46
	v_mul_u32_u24_e32 v43, 0x10001, v43
	s_wait_alu 0xfffd
	v_cndmask_b32_e32 v21, 0x7f800000, v59, vcc_lo
	v_cmp_nlt_f32_e32 vcc_lo, 0x42b17218, v54
	v_and_b32_e32 v44, 0xffff, v12
	v_mov_b32_e32 v12, v20
	v_pk_mul_f16 v77, v77, v43
	s_wait_alu 0xfffd
	v_dual_fmac_f32 v21, v13, v47 :: v_dual_cndmask_b32 v48, 0x7f800000, v60
	v_cmp_nlt_f32_e32 vcc_lo, 0x42b17218, v40
	v_cvt_f16_f32_e32 v13, v47
	v_mul_u32_u24_e32 v44, 0x10001, v44
	v_pk_mul_f16 v76, v76, v43
	s_wait_alu 0xfffd
	v_cndmask_b32_e32 v22, 0x7f800000, v61, vcc_lo
	v_cmp_nlt_f32_e32 vcc_lo, 0x42b17218, v55
	v_and_b32_e32 v45, 0xffff, v13
	v_mov_b32_e32 v13, v21
	v_pk_mul_f16 v75, v75, v44
	v_fmac_f32_e32 v22, v14, v48
	s_wait_alu 0xfffd
	v_cndmask_b32_e32 v40, 0x7f800000, v62, vcc_lo
	v_cmp_nlt_f32_e32 vcc_lo, 0x42b17218, v41
	v_cvt_f16_f32_e32 v14, v48
	v_and_b32_e32 v41, 0xffff, v9
	v_mul_u32_u24_e32 v45, 0x10001, v45
	v_mov_b32_e32 v9, v17
	s_wait_alu 0xfffd
	v_cndmask_b32_e32 v23, 0x7f800000, v63, vcc_lo
	v_and_b32_e32 v46, 0xffff, v14
	v_mul_u32_u24_e32 v41, 0x10001, v41
	v_mov_b32_e32 v14, v22
	v_pk_mul_f16 v74, v74, v44
	v_fmac_f32_e32 v23, v15, v40
	v_cvt_f16_f32_e32 v15, v40
	v_mul_u32_u24_e32 v46, 0x10001, v46
	v_pk_mul_f16 v81, v81, v41
	v_pk_mul_f16 v80, v80, v41
	v_pk_mul_f16 v73, v73, v45
	v_and_b32_e32 v15, 0xffff, v15
	v_pk_mul_f16 v72, v72, v45
	v_pk_mul_f16 v71, v71, v46
	;; [unrolled: 1-line block ×3, first 2 shown]
	s_delay_alu instid0(VALU_DEP_4) | instskip(NEXT) | instid1(VALU_DEP_1)
	v_mul_u32_u24_e32 v15, 0x10001, v15
	v_pk_mul_f16 v69, v69, v15
	v_pk_mul_f16 v68, v68, v15
	v_dual_mov_b32 v15, v23 :: v_dual_fmac_f32 v16, v8, v42
	v_cvt_f16_f32_e32 v8, v42
	v_and_b32_e32 v42, 0xffff, v10
	v_mov_b32_e32 v10, v18
	s_delay_alu instid0(VALU_DEP_3) | instskip(NEXT) | instid1(VALU_DEP_3)
	v_and_b32_e32 v40, 0xffff, v8
	v_mul_u32_u24_e32 v42, 0x10001, v42
	v_mov_b32_e32 v8, v16
	s_delay_alu instid0(VALU_DEP_3) | instskip(NEXT) | instid1(VALU_DEP_3)
	v_mul_u32_u24_e32 v40, 0x10001, v40
	v_pk_mul_f16 v79, v79, v42
	v_pk_mul_f16 v78, v78, v42
	s_delay_alu instid0(VALU_DEP_3)
	v_pk_mul_f16 v82, v82, v40
	v_pk_mul_f16 v83, v83, v40
	s_mov_b32 s2, exec_lo
	v_cmpx_gt_i32_e64 s30, v25
	s_cbranch_execnz .LBB33_15
.LBB33_13:
	s_nop 0
	s_sendmsg sendmsg(MSG_DEALLOC_VGPRS)
	s_endpgm
.LBB33_14:
	s_delay_alu instid0(VALU_DEP_1)
	v_dual_mov_b32 v23, v15 :: v_dual_mov_b32 v22, v14
	v_dual_mov_b32 v21, v13 :: v_dual_mov_b32 v20, v12
	;; [unrolled: 1-line block ×4, first 2 shown]
	s_mov_b32 s2, exec_lo
	v_cmpx_gt_i32_e64 s30, v25
	s_cbranch_execz .LBB33_13
.LBB33_15:
	s_load_b32 s1, s[0:1], 0xd4
	v_mov_b32_e32 v40, 1.0
	s_wait_kmcnt 0x0
	s_cmp_lg_u32 s1, 1
	s_cselect_b32 s3, -1, 0
	s_cmp_eq_u32 s1, 1
	s_cselect_b32 s4, -1, 0
	s_wait_alu 0xfffe
	s_and_b32 vcc_lo, exec_lo, s3
	s_wait_alu 0xfffe
	s_cbranch_vccnz .LBB33_17
; %bb.16:
	v_div_scale_f32 v25, null, v8, v8, 1.0
	s_delay_alu instid0(VALU_DEP_1) | instskip(NEXT) | instid1(TRANS32_DEP_1)
	v_rcp_f32_e32 v40, v25
	v_fma_f32 v41, -v25, v40, 1.0
	s_delay_alu instid0(VALU_DEP_1) | instskip(SKIP_1) | instid1(VALU_DEP_1)
	v_fmac_f32_e32 v40, v41, v40
	v_div_scale_f32 v41, vcc_lo, 1.0, v8, 1.0
	v_mul_f32_e32 v42, v41, v40
	s_delay_alu instid0(VALU_DEP_1) | instskip(NEXT) | instid1(VALU_DEP_1)
	v_fma_f32 v43, -v25, v42, v41
	v_fmac_f32_e32 v42, v43, v40
	s_delay_alu instid0(VALU_DEP_1) | instskip(SKIP_1) | instid1(VALU_DEP_1)
	v_fma_f32 v25, -v25, v42, v41
	s_wait_alu 0xfffd
	v_div_fmas_f32 v25, v25, v40, v42
	s_delay_alu instid0(VALU_DEP_1)
	v_div_fixup_f32 v40, v25, v8, 1.0
.LBB33_17:
	s_mul_i32 s2, s36, s30
	v_cvt_f32_f16_e32 v43, v82
	s_wait_alu 0xfffe
	s_add_co_i32 s2, s2, s19
	v_cvt_f32_f16_e32 v44, v83
	s_wait_alu 0xfffe
	v_add_nc_u32_e32 v8, s2, v24
	v_mov_b32_e32 v42, 0
	v_cmp_eq_u32_e32 vcc_lo, 0, v39
	v_lshrrev_b32_e32 v39, 16, v83
	s_delay_alu instid0(VALU_DEP_4) | instskip(SKIP_1) | instid1(VALU_DEP_2)
	v_mul_lo_u32 v8, v8, s31
	s_and_b32 s3, vcc_lo, s3
	v_cvt_f32_f16_e32 v39, v39
	s_delay_alu instid0(VALU_DEP_2) | instskip(NEXT) | instid1(VALU_DEP_1)
	v_add_nc_u32_e32 v24, s34, v8
	v_mad_co_u64_u32 v[24:25], null, s1, v24, s[18:19]
	v_lshrrev_b32_e32 v25, 16, v82
	s_delay_alu instid0(VALU_DEP_1) | instskip(NEXT) | instid1(VALU_DEP_3)
	v_cvt_f32_f16_e32 v25, v25
	v_lshl_add_u32 v41, v24, 7, v36
	s_delay_alu instid0(VALU_DEP_1)
	v_lshlrev_b64_e32 v[45:46], 2, v[41:42]
	v_mul_f32_e32 v41, v40, v43
	v_mul_f32_e32 v43, v40, v44
	;; [unrolled: 1-line block ×4, first 2 shown]
	v_add_co_u32 v39, s0, s24, v45
	s_wait_alu 0xf1ff
	v_add_co_ci_u32_e64 v40, null, s25, v46, s0
	global_store_b128 v[39:40], v[41:44], off
	s_wait_alu 0xfffe
	s_and_saveexec_b32 s0, s3
	s_cbranch_execz .LBB33_19
; %bb.18:
	v_ashrrev_i32_e32 v25, 31, v24
	v_dual_mov_b32 v39, v0 :: v_dual_mov_b32 v40, v16
	s_delay_alu instid0(VALU_DEP_2) | instskip(NEXT) | instid1(VALU_DEP_1)
	v_lshlrev_b64_e32 v[24:25], 3, v[24:25]
	v_add_co_u32 v24, vcc_lo, s26, v24
	s_wait_alu 0xfffd
	s_delay_alu instid0(VALU_DEP_2)
	v_add_co_ci_u32_e64 v25, null, s27, v25, vcc_lo
	global_store_b64 v[24:25], v[39:40], off
.LBB33_19:
	s_wait_alu 0xfffe
	s_or_b32 exec_lo, exec_lo, s0
	v_cndmask_b32_e64 v24, 0, 1, s4
	v_mov_b32_e32 v0, 1.0
	s_and_not1_b32 vcc_lo, exec_lo, s4
	s_wait_alu 0xfffe
	s_cbranch_vccnz .LBB33_21
; %bb.20:
	v_div_scale_f32 v0, null, v9, v9, 1.0
	s_delay_alu instid0(VALU_DEP_1) | instskip(NEXT) | instid1(TRANS32_DEP_1)
	v_rcp_f32_e32 v16, v0
	v_fma_f32 v25, -v0, v16, 1.0
	s_delay_alu instid0(VALU_DEP_1) | instskip(SKIP_1) | instid1(VALU_DEP_1)
	v_fmac_f32_e32 v16, v25, v16
	v_div_scale_f32 v25, vcc_lo, 1.0, v9, 1.0
	v_mul_f32_e32 v39, v25, v16
	s_delay_alu instid0(VALU_DEP_1) | instskip(NEXT) | instid1(VALU_DEP_1)
	v_fma_f32 v40, -v0, v39, v25
	v_fmac_f32_e32 v39, v40, v16
	s_delay_alu instid0(VALU_DEP_1) | instskip(SKIP_1) | instid1(VALU_DEP_1)
	v_fma_f32 v0, -v0, v39, v25
	s_wait_alu 0xfffd
	v_div_fmas_f32 v0, v0, v16, v39
	s_delay_alu instid0(VALU_DEP_1)
	v_div_fixup_f32 v0, v0, v9, 1.0
.LBB33_21:
	s_add_co_i32 s0, s34, 1
	v_cvt_f32_f16_e32 v25, v81
	s_wait_alu 0xfffe
	v_add_nc_u32_e32 v8, s0, v8
	v_cvt_f32_f16_e32 v41, v80
	v_mov_b32_e32 v40, 0
	v_lshrrev_b32_e32 v16, 16, v80
	s_delay_alu instid0(VALU_DEP_4) | instskip(SKIP_2) | instid1(VALU_DEP_4)
	v_mad_co_u64_u32 v[8:9], null, s1, v8, s[18:19]
	v_lshrrev_b32_e32 v9, 16, v81
	v_mul_f32_e32 v41, v0, v41
	v_cvt_f32_f16_e32 v16, v16
	s_delay_alu instid0(VALU_DEP_3) | instskip(SKIP_1) | instid1(VALU_DEP_3)
	v_cvt_f32_f16_e32 v9, v9
	v_lshl_add_u32 v39, v8, 7, v36
	v_mul_f32_e32 v42, v0, v16
	s_delay_alu instid0(VALU_DEP_2) | instskip(SKIP_2) | instid1(VALU_DEP_3)
	v_lshlrev_b64_e32 v[43:44], 2, v[39:40]
	v_mul_f32_e32 v39, v0, v25
	v_mul_f32_e32 v40, v0, v9
	v_add_co_u32 v43, vcc_lo, s24, v43
	s_wait_alu 0xfffd
	s_delay_alu instid0(VALU_DEP_4)
	v_add_co_ci_u32_e64 v44, null, s25, v44, vcc_lo
	global_store_b128 v[43:44], v[39:42], off
	s_and_saveexec_b32 s4, s3
	s_cbranch_execz .LBB33_23
; %bb.22:
	v_ashrrev_i32_e32 v9, 31, v8
	v_mov_b32_e32 v16, v1
	s_delay_alu instid0(VALU_DEP_2) | instskip(NEXT) | instid1(VALU_DEP_1)
	v_lshlrev_b64_e32 v[8:9], 3, v[8:9]
	v_add_co_u32 v8, vcc_lo, s26, v8
	s_wait_alu 0xfffd
	s_delay_alu instid0(VALU_DEP_2)
	v_add_co_ci_u32_e64 v9, null, s27, v9, vcc_lo
	global_store_b64 v[8:9], v[16:17], off
.LBB33_23:
	s_wait_alu 0xfffe
	s_or_b32 exec_lo, exec_lo, s4
	v_cmp_gt_i32_e32 vcc_lo, s30, v35
	s_and_b32 exec_lo, exec_lo, vcc_lo
	s_cbranch_execz .LBB33_13
; %bb.24:
	v_cmp_ne_u32_e32 vcc_lo, 1, v24
	v_mov_b32_e32 v8, 1.0
	s_cbranch_vccnz .LBB33_26
; %bb.25:
	v_div_scale_f32 v0, null, v10, v10, 1.0
	s_delay_alu instid0(VALU_DEP_1) | instskip(NEXT) | instid1(TRANS32_DEP_1)
	v_rcp_f32_e32 v1, v0
	v_fma_f32 v8, -v0, v1, 1.0
	s_delay_alu instid0(VALU_DEP_1) | instskip(SKIP_1) | instid1(VALU_DEP_1)
	v_fmac_f32_e32 v1, v8, v1
	v_div_scale_f32 v8, vcc_lo, 1.0, v10, 1.0
	v_mul_f32_e32 v9, v8, v1
	s_delay_alu instid0(VALU_DEP_1) | instskip(NEXT) | instid1(VALU_DEP_1)
	v_fma_f32 v16, -v0, v9, v8
	v_fmac_f32_e32 v9, v16, v1
	s_delay_alu instid0(VALU_DEP_1) | instskip(SKIP_1) | instid1(VALU_DEP_1)
	v_fma_f32 v0, -v0, v9, v8
	s_wait_alu 0xfffd
	v_div_fmas_f32 v0, v0, v1, v9
	s_delay_alu instid0(VALU_DEP_1)
	v_div_fixup_f32 v8, v0, v10, 1.0
.LBB33_26:
	v_add_nc_u32_e32 v0, s2, v33
	v_cvt_f32_f16_e32 v17, v79
	v_mov_b32_e32 v10, 0
	v_lshrrev_b32_e32 v16, 16, v78
	v_cvt_f32_f16_e32 v25, v78
	v_mad_co_u64_u32 v[0:1], null, v0, s31, s[34:35]
	v_mul_f32_e32 v39, v8, v17
	s_delay_alu instid0(VALU_DEP_4) | instskip(NEXT) | instid1(VALU_DEP_4)
	v_cvt_f32_f16_e32 v16, v16
	v_mul_f32_e32 v41, v8, v25
	s_delay_alu instid0(VALU_DEP_2) | instskip(SKIP_2) | instid1(VALU_DEP_1)
	v_mul_f32_e32 v42, v8, v16
	v_mad_co_u64_u32 v[0:1], null, s1, v0, s[18:19]
	v_lshrrev_b32_e32 v1, 16, v79
	v_cvt_f32_f16_e32 v1, v1
	s_delay_alu instid0(VALU_DEP_3) | instskip(NEXT) | instid1(VALU_DEP_2)
	v_lshl_add_u32 v9, v0, 7, v36
	v_mul_f32_e32 v40, v8, v1
	s_delay_alu instid0(VALU_DEP_2) | instskip(NEXT) | instid1(VALU_DEP_1)
	v_lshlrev_b64_e32 v[9:10], 2, v[9:10]
	v_add_co_u32 v8, vcc_lo, s24, v9
	s_wait_alu 0xfffd
	s_delay_alu instid0(VALU_DEP_2)
	v_add_co_ci_u32_e64 v9, null, s25, v10, vcc_lo
	global_store_b128 v[8:9], v[39:42], off
	s_and_saveexec_b32 s4, s3
	s_cbranch_execz .LBB33_28
; %bb.27:
	v_ashrrev_i32_e32 v1, 31, v0
	v_mov_b32_e32 v17, v2
	s_delay_alu instid0(VALU_DEP_2) | instskip(NEXT) | instid1(VALU_DEP_1)
	v_lshlrev_b64_e32 v[0:1], 3, v[0:1]
	v_add_co_u32 v0, vcc_lo, s26, v0
	s_wait_alu 0xfffd
	s_delay_alu instid0(VALU_DEP_2)
	v_add_co_ci_u32_e64 v1, null, s27, v1, vcc_lo
	global_store_b64 v[0:1], v[17:18], off
.LBB33_28:
	s_wait_alu 0xfffe
	s_or_b32 exec_lo, exec_lo, s4
	v_cmp_gt_i32_e32 vcc_lo, s30, v38
	s_and_b32 exec_lo, exec_lo, vcc_lo
	s_cbranch_execz .LBB33_13
; %bb.29:
	v_cmp_ne_u32_e32 vcc_lo, 1, v24
	v_mov_b32_e32 v2, 1.0
	s_cbranch_vccnz .LBB33_31
; %bb.30:
	v_div_scale_f32 v0, null, v11, v11, 1.0
	s_delay_alu instid0(VALU_DEP_1) | instskip(NEXT) | instid1(TRANS32_DEP_1)
	v_rcp_f32_e32 v1, v0
	v_fma_f32 v2, -v0, v1, 1.0
	s_delay_alu instid0(VALU_DEP_1) | instskip(SKIP_1) | instid1(VALU_DEP_1)
	v_fmac_f32_e32 v1, v2, v1
	v_div_scale_f32 v2, vcc_lo, 1.0, v11, 1.0
	v_mul_f32_e32 v8, v2, v1
	s_delay_alu instid0(VALU_DEP_1) | instskip(NEXT) | instid1(VALU_DEP_1)
	v_fma_f32 v9, -v0, v8, v2
	v_fmac_f32_e32 v8, v9, v1
	s_delay_alu instid0(VALU_DEP_1) | instskip(SKIP_1) | instid1(VALU_DEP_1)
	v_fma_f32 v0, -v0, v8, v2
	s_wait_alu 0xfffd
	v_div_fmas_f32 v0, v0, v1, v8
	s_delay_alu instid0(VALU_DEP_1)
	v_div_fixup_f32 v2, v0, v11, 1.0
.LBB33_31:
	v_dual_mov_b32 v9, 0 :: v_dual_add_nc_u32 v0, s2, v37
	v_lshrrev_b32_e32 v10, 16, v76
	v_cvt_f32_f16_e32 v11, v77
	v_cvt_f32_f16_e32 v18, v76
	s_delay_alu instid0(VALU_DEP_4) | instskip(NEXT) | instid1(VALU_DEP_4)
	v_mad_co_u64_u32 v[0:1], null, v0, s31, s[0:1]
	v_cvt_f32_f16_e32 v25, v10
	s_delay_alu instid0(VALU_DEP_3) | instskip(NEXT) | instid1(VALU_DEP_3)
	v_mul_f32_e32 v10, v2, v18
	v_mad_co_u64_u32 v[0:1], null, s1, v0, s[18:19]
	v_lshrrev_b32_e32 v1, 16, v77
	s_delay_alu instid0(VALU_DEP_1) | instskip(NEXT) | instid1(VALU_DEP_3)
	v_cvt_f32_f16_e32 v1, v1
	v_lshl_add_u32 v8, v0, 7, v36
	s_delay_alu instid0(VALU_DEP_1) | instskip(NEXT) | instid1(VALU_DEP_3)
	v_lshlrev_b64_e32 v[16:17], 2, v[8:9]
	v_mul_f32_e32 v9, v2, v1
	v_mul_f32_e32 v8, v2, v11
	;; [unrolled: 1-line block ×3, first 2 shown]
	s_delay_alu instid0(VALU_DEP_4)
	v_add_co_u32 v1, vcc_lo, s24, v16
	s_wait_alu 0xfffd
	v_add_co_ci_u32_e64 v2, null, s25, v17, vcc_lo
	global_store_b128 v[1:2], v[8:11], off
	s_and_saveexec_b32 s4, s3
	s_cbranch_execz .LBB33_33
; %bb.32:
	v_ashrrev_i32_e32 v1, 31, v0
	v_mov_b32_e32 v18, v3
	s_delay_alu instid0(VALU_DEP_2) | instskip(NEXT) | instid1(VALU_DEP_1)
	v_lshlrev_b64_e32 v[0:1], 3, v[0:1]
	v_add_co_u32 v0, vcc_lo, s26, v0
	s_wait_alu 0xfffd
	s_delay_alu instid0(VALU_DEP_2)
	v_add_co_ci_u32_e64 v1, null, s27, v1, vcc_lo
	global_store_b64 v[0:1], v[18:19], off
.LBB33_33:
	s_wait_alu 0xfffe
	s_or_b32 exec_lo, exec_lo, s4
	v_cmp_gt_i32_e32 vcc_lo, s30, v34
	s_and_b32 exec_lo, exec_lo, vcc_lo
	s_cbranch_execz .LBB33_13
; %bb.34:
	v_cmp_ne_u32_e32 vcc_lo, 1, v24
	v_mov_b32_e32 v2, 1.0
	s_cbranch_vccnz .LBB33_36
; %bb.35:
	v_div_scale_f32 v0, null, v12, v12, 1.0
	s_delay_alu instid0(VALU_DEP_1) | instskip(NEXT) | instid1(TRANS32_DEP_1)
	v_rcp_f32_e32 v1, v0
	v_fma_f32 v2, -v0, v1, 1.0
	s_delay_alu instid0(VALU_DEP_1) | instskip(SKIP_1) | instid1(VALU_DEP_1)
	v_fmac_f32_e32 v1, v2, v1
	v_div_scale_f32 v2, vcc_lo, 1.0, v12, 1.0
	v_mul_f32_e32 v3, v2, v1
	s_delay_alu instid0(VALU_DEP_1) | instskip(NEXT) | instid1(VALU_DEP_1)
	v_fma_f32 v8, -v0, v3, v2
	v_fmac_f32_e32 v3, v8, v1
	s_delay_alu instid0(VALU_DEP_1) | instskip(SKIP_1) | instid1(VALU_DEP_1)
	v_fma_f32 v0, -v0, v3, v2
	s_wait_alu 0xfffd
	v_div_fmas_f32 v0, v0, v1, v3
	s_delay_alu instid0(VALU_DEP_1)
	v_div_fixup_f32 v2, v0, v12, 1.0
.LBB33_36:
	v_dual_mov_b32 v9, 0 :: v_dual_add_nc_u32 v0, s2, v32
	v_lshrrev_b32_e32 v3, 16, v74
	v_cvt_f32_f16_e32 v10, v75
	v_cvt_f32_f16_e32 v11, v74
	s_delay_alu instid0(VALU_DEP_4) | instskip(NEXT) | instid1(VALU_DEP_4)
	v_mad_co_u64_u32 v[0:1], null, v0, s31, s[34:35]
	v_cvt_f32_f16_e32 v3, v3
	s_delay_alu instid0(VALU_DEP_2) | instskip(SKIP_1) | instid1(VALU_DEP_1)
	v_mad_co_u64_u32 v[0:1], null, s1, v0, s[18:19]
	v_lshrrev_b32_e32 v1, 16, v75
	v_cvt_f32_f16_e32 v1, v1
	s_delay_alu instid0(VALU_DEP_3) | instskip(NEXT) | instid1(VALU_DEP_1)
	v_lshl_add_u32 v8, v0, 7, v36
	v_lshlrev_b64_e32 v[16:17], 2, v[8:9]
	s_delay_alu instid0(VALU_DEP_3)
	v_mul_f32_e32 v9, v2, v1
	v_mul_f32_e32 v8, v2, v10
	;; [unrolled: 1-line block ×4, first 2 shown]
	v_add_co_u32 v1, vcc_lo, s24, v16
	s_wait_alu 0xfffd
	v_add_co_ci_u32_e64 v2, null, s25, v17, vcc_lo
	global_store_b128 v[1:2], v[8:11], off
	s_and_saveexec_b32 s4, s3
	s_cbranch_execz .LBB33_38
; %bb.37:
	v_ashrrev_i32_e32 v1, 31, v0
	v_mov_b32_e32 v19, v4
	s_delay_alu instid0(VALU_DEP_2) | instskip(NEXT) | instid1(VALU_DEP_1)
	v_lshlrev_b64_e32 v[0:1], 3, v[0:1]
	v_add_co_u32 v0, vcc_lo, s26, v0
	s_wait_alu 0xfffd
	s_delay_alu instid0(VALU_DEP_2)
	v_add_co_ci_u32_e64 v1, null, s27, v1, vcc_lo
	global_store_b64 v[0:1], v[19:20], off
.LBB33_38:
	s_wait_alu 0xfffe
	s_or_b32 exec_lo, exec_lo, s4
	v_cmp_gt_i32_e32 vcc_lo, s30, v31
	s_and_b32 exec_lo, exec_lo, vcc_lo
	s_cbranch_execz .LBB33_13
; %bb.39:
	v_cmp_ne_u32_e32 vcc_lo, 1, v24
	v_mov_b32_e32 v2, 1.0
	s_cbranch_vccnz .LBB33_41
; %bb.40:
	v_div_scale_f32 v0, null, v13, v13, 1.0
	s_delay_alu instid0(VALU_DEP_1) | instskip(NEXT) | instid1(TRANS32_DEP_1)
	v_rcp_f32_e32 v1, v0
	v_fma_f32 v2, -v0, v1, 1.0
	s_delay_alu instid0(VALU_DEP_1) | instskip(SKIP_1) | instid1(VALU_DEP_1)
	v_fmac_f32_e32 v1, v2, v1
	v_div_scale_f32 v2, vcc_lo, 1.0, v13, 1.0
	v_mul_f32_e32 v3, v2, v1
	s_delay_alu instid0(VALU_DEP_1) | instskip(NEXT) | instid1(VALU_DEP_1)
	v_fma_f32 v4, -v0, v3, v2
	v_fmac_f32_e32 v3, v4, v1
	s_delay_alu instid0(VALU_DEP_1) | instskip(SKIP_1) | instid1(VALU_DEP_1)
	v_fma_f32 v0, -v0, v3, v2
	s_wait_alu 0xfffd
	v_div_fmas_f32 v0, v0, v1, v3
	s_delay_alu instid0(VALU_DEP_1)
	v_div_fixup_f32 v2, v0, v13, 1.0
.LBB33_41:
	v_lshrrev_b32_e32 v8, 16, v72
	v_cvt_f32_f16_e32 v9, v73
	v_cvt_f32_f16_e32 v10, v72
	s_delay_alu instid0(VALU_DEP_3) | instskip(SKIP_1) | instid1(VALU_DEP_4)
	v_cvt_f32_f16_e32 v11, v8
	v_add_nc_u32_e32 v0, s2, v29
	v_mul_f32_e32 v8, v2, v9
	s_delay_alu instid0(VALU_DEP_4) | instskip(NEXT) | instid1(VALU_DEP_4)
	v_mul_f32_e32 v10, v2, v10
	v_mul_f32_e32 v11, v2, v11
	s_delay_alu instid0(VALU_DEP_4) | instskip(NEXT) | instid1(VALU_DEP_1)
	v_mad_co_u64_u32 v[0:1], null, v0, s31, s[0:1]
	v_mad_co_u64_u32 v[0:1], null, s1, v0, s[18:19]
	v_lshrrev_b32_e32 v1, 16, v73
	s_delay_alu instid0(VALU_DEP_1) | instskip(SKIP_1) | instid1(VALU_DEP_4)
	v_cvt_f32_f16_e32 v1, v1
	v_mov_b32_e32 v4, 0
	v_lshl_add_u32 v3, v0, 7, v36
	s_delay_alu instid0(VALU_DEP_3) | instskip(NEXT) | instid1(VALU_DEP_2)
	v_mul_f32_e32 v9, v2, v1
	v_lshlrev_b64_e32 v[3:4], 2, v[3:4]
	s_delay_alu instid0(VALU_DEP_1) | instskip(SKIP_1) | instid1(VALU_DEP_2)
	v_add_co_u32 v1, vcc_lo, s24, v3
	s_wait_alu 0xfffd
	v_add_co_ci_u32_e64 v2, null, s25, v4, vcc_lo
	global_store_b128 v[1:2], v[8:11], off
	s_and_saveexec_b32 s4, s3
	s_cbranch_execz .LBB33_43
; %bb.42:
	v_ashrrev_i32_e32 v1, 31, v0
	v_mov_b32_e32 v20, v5
	s_delay_alu instid0(VALU_DEP_2) | instskip(NEXT) | instid1(VALU_DEP_1)
	v_lshlrev_b64_e32 v[0:1], 3, v[0:1]
	v_add_co_u32 v0, vcc_lo, s26, v0
	s_wait_alu 0xfffd
	s_delay_alu instid0(VALU_DEP_2)
	v_add_co_ci_u32_e64 v1, null, s27, v1, vcc_lo
	global_store_b64 v[0:1], v[20:21], off
.LBB33_43:
	s_wait_alu 0xfffe
	s_or_b32 exec_lo, exec_lo, s4
	v_cmp_gt_i32_e32 vcc_lo, s30, v30
	s_and_b32 exec_lo, exec_lo, vcc_lo
	s_cbranch_execz .LBB33_13
; %bb.44:
	v_cmp_ne_u32_e32 vcc_lo, 1, v24
	v_mov_b32_e32 v2, 1.0
	s_cbranch_vccnz .LBB33_46
; %bb.45:
	v_div_scale_f32 v0, null, v14, v14, 1.0
	s_delay_alu instid0(VALU_DEP_1) | instskip(NEXT) | instid1(TRANS32_DEP_1)
	v_rcp_f32_e32 v1, v0
	v_fma_f32 v2, -v0, v1, 1.0
	s_delay_alu instid0(VALU_DEP_1) | instskip(SKIP_1) | instid1(VALU_DEP_1)
	v_fmac_f32_e32 v1, v2, v1
	v_div_scale_f32 v2, vcc_lo, 1.0, v14, 1.0
	v_mul_f32_e32 v3, v2, v1
	s_delay_alu instid0(VALU_DEP_1) | instskip(NEXT) | instid1(VALU_DEP_1)
	v_fma_f32 v4, -v0, v3, v2
	v_fmac_f32_e32 v3, v4, v1
	s_delay_alu instid0(VALU_DEP_1) | instskip(SKIP_1) | instid1(VALU_DEP_1)
	v_fma_f32 v0, -v0, v3, v2
	s_wait_alu 0xfffd
	v_div_fmas_f32 v0, v0, v1, v3
	s_delay_alu instid0(VALU_DEP_1)
	v_div_fixup_f32 v2, v0, v14, 1.0
.LBB33_46:
	v_add_nc_u32_e32 v0, s2, v26
	v_lshrrev_b32_e32 v5, 16, v70
	v_cvt_f32_f16_e32 v9, v70
	v_cvt_f32_f16_e32 v8, v71
	s_delay_alu instid0(VALU_DEP_4) | instskip(NEXT) | instid1(VALU_DEP_4)
	v_mad_co_u64_u32 v[0:1], null, v0, s31, s[34:35]
	v_cvt_f32_f16_e32 v5, v5
	v_mov_b32_e32 v4, 0
	v_mul_f32_e32 v10, v2, v9
	v_mul_f32_e32 v8, v2, v8
	s_delay_alu instid0(VALU_DEP_4) | instskip(SKIP_2) | instid1(VALU_DEP_1)
	v_mul_f32_e32 v11, v2, v5
	v_mad_co_u64_u32 v[0:1], null, s1, v0, s[18:19]
	v_lshrrev_b32_e32 v1, 16, v71
	v_cvt_f32_f16_e32 v1, v1
	s_delay_alu instid0(VALU_DEP_3) | instskip(NEXT) | instid1(VALU_DEP_2)
	v_lshl_add_u32 v3, v0, 7, v36
	v_mul_f32_e32 v9, v2, v1
	s_delay_alu instid0(VALU_DEP_2) | instskip(NEXT) | instid1(VALU_DEP_1)
	v_lshlrev_b64_e32 v[3:4], 2, v[3:4]
	v_add_co_u32 v1, vcc_lo, s24, v3
	s_wait_alu 0xfffd
	s_delay_alu instid0(VALU_DEP_2)
	v_add_co_ci_u32_e64 v2, null, s25, v4, vcc_lo
	global_store_b128 v[1:2], v[8:11], off
	s_and_saveexec_b32 s4, s3
	s_cbranch_execz .LBB33_48
; %bb.47:
	v_ashrrev_i32_e32 v1, 31, v0
	v_mov_b32_e32 v21, v6
	s_delay_alu instid0(VALU_DEP_2) | instskip(NEXT) | instid1(VALU_DEP_1)
	v_lshlrev_b64_e32 v[0:1], 3, v[0:1]
	v_add_co_u32 v0, vcc_lo, s26, v0
	s_wait_alu 0xfffd
	s_delay_alu instid0(VALU_DEP_2)
	v_add_co_ci_u32_e64 v1, null, s27, v1, vcc_lo
	global_store_b64 v[0:1], v[21:22], off
.LBB33_48:
	s_wait_alu 0xfffe
	s_or_b32 exec_lo, exec_lo, s4
	v_cmp_gt_i32_e32 vcc_lo, s30, v28
	s_and_b32 exec_lo, exec_lo, vcc_lo
	s_cbranch_execz .LBB33_13
; %bb.49:
	v_cmp_ne_u32_e32 vcc_lo, 1, v24
	v_mov_b32_e32 v2, 1.0
	s_cbranch_vccnz .LBB33_51
; %bb.50:
	v_div_scale_f32 v0, null, v15, v15, 1.0
	s_delay_alu instid0(VALU_DEP_1) | instskip(NEXT) | instid1(TRANS32_DEP_1)
	v_rcp_f32_e32 v1, v0
	v_fma_f32 v2, -v0, v1, 1.0
	s_delay_alu instid0(VALU_DEP_1) | instskip(SKIP_1) | instid1(VALU_DEP_1)
	v_fmac_f32_e32 v1, v2, v1
	v_div_scale_f32 v2, vcc_lo, 1.0, v15, 1.0
	v_mul_f32_e32 v3, v2, v1
	s_delay_alu instid0(VALU_DEP_1) | instskip(NEXT) | instid1(VALU_DEP_1)
	v_fma_f32 v4, -v0, v3, v2
	v_fmac_f32_e32 v3, v4, v1
	s_delay_alu instid0(VALU_DEP_1) | instskip(SKIP_1) | instid1(VALU_DEP_1)
	v_fma_f32 v0, -v0, v3, v2
	s_wait_alu 0xfffd
	v_div_fmas_f32 v0, v0, v1, v3
	s_delay_alu instid0(VALU_DEP_1)
	v_div_fixup_f32 v2, v0, v15, 1.0
.LBB33_51:
	v_cvt_f32_f16_e32 v6, v69
	v_add_nc_u32_e32 v0, s2, v27
	v_lshrrev_b32_e32 v5, 16, v68
	v_cvt_f32_f16_e32 v10, v68
	v_mov_b32_e32 v4, 0
	s_delay_alu instid0(VALU_DEP_4) | instskip(NEXT) | instid1(VALU_DEP_4)
	v_mad_co_u64_u32 v[0:1], null, v0, s31, s[0:1]
	v_cvt_f32_f16_e32 v11, v5
	s_delay_alu instid0(VALU_DEP_4) | instskip(NEXT) | instid1(VALU_DEP_3)
	v_mul_f32_e32 v5, v2, v10
	v_mad_co_u64_u32 v[0:1], null, s1, v0, s[18:19]
	v_lshrrev_b32_e32 v1, 16, v69
	s_delay_alu instid0(VALU_DEP_1) | instskip(NEXT) | instid1(VALU_DEP_3)
	v_cvt_f32_f16_e32 v1, v1
	v_lshl_add_u32 v3, v0, 7, v36
	s_delay_alu instid0(VALU_DEP_1) | instskip(NEXT) | instid1(VALU_DEP_3)
	v_lshlrev_b64_e32 v[8:9], 2, v[3:4]
	v_mul_f32_e32 v4, v2, v1
	v_mul_f32_e32 v3, v2, v6
	v_mul_f32_e32 v6, v2, v11
	s_delay_alu instid0(VALU_DEP_4)
	v_add_co_u32 v1, vcc_lo, s24, v8
	s_wait_alu 0xfffd
	v_add_co_ci_u32_e64 v2, null, s25, v9, vcc_lo
	global_store_b128 v[1:2], v[3:6], off
	s_and_b32 exec_lo, exec_lo, s3
	s_cbranch_execz .LBB33_13
; %bb.52:
	v_ashrrev_i32_e32 v1, 31, v0
	v_mov_b32_e32 v22, v7
	s_delay_alu instid0(VALU_DEP_2) | instskip(NEXT) | instid1(VALU_DEP_1)
	v_lshlrev_b64_e32 v[0:1], 3, v[0:1]
	v_add_co_u32 v0, vcc_lo, s26, v0
	s_wait_alu 0xfffd
	s_delay_alu instid0(VALU_DEP_2)
	v_add_co_ci_u32_e64 v1, null, s27, v1, vcc_lo
	global_store_b64 v[0:1], v[22:23], off
	s_nop 0
	s_sendmsg sendmsg(MSG_DEALLOC_VGPRS)
	s_endpgm
	.section	.rodata,"a",@progbits
	.p2align	6, 0x0
	.amdhsa_kernel _ZL15flash_attn_tileILi128ELi128ELi32ELi2ELb0EEvPKcS1_S1_S1_S1_PKiPfP15HIP_vector_typeIfLj2EEffffjfiS5_IjLj3EEiiiiiiiiiiiliiliiiiil
		.amdhsa_group_segment_fixed_size 33792
		.amdhsa_private_segment_fixed_size 0
		.amdhsa_kernarg_size 464
		.amdhsa_user_sgpr_count 2
		.amdhsa_user_sgpr_dispatch_ptr 0
		.amdhsa_user_sgpr_queue_ptr 0
		.amdhsa_user_sgpr_kernarg_segment_ptr 1
		.amdhsa_user_sgpr_dispatch_id 0
		.amdhsa_user_sgpr_private_segment_size 0
		.amdhsa_wavefront_size32 1
		.amdhsa_uses_dynamic_stack 0
		.amdhsa_enable_private_segment 0
		.amdhsa_system_sgpr_workgroup_id_x 1
		.amdhsa_system_sgpr_workgroup_id_y 1
		.amdhsa_system_sgpr_workgroup_id_z 1
		.amdhsa_system_sgpr_workgroup_info 0
		.amdhsa_system_vgpr_workitem_id 1
		.amdhsa_next_free_vgpr 217
		.amdhsa_next_free_sgpr 50
		.amdhsa_reserve_vcc 1
		.amdhsa_float_round_mode_32 0
		.amdhsa_float_round_mode_16_64 0
		.amdhsa_float_denorm_mode_32 3
		.amdhsa_float_denorm_mode_16_64 3
		.amdhsa_fp16_overflow 0
		.amdhsa_workgroup_processor_mode 1
		.amdhsa_memory_ordered 1
		.amdhsa_forward_progress 1
		.amdhsa_inst_pref_size 255
		.amdhsa_round_robin_scheduling 0
		.amdhsa_exception_fp_ieee_invalid_op 0
		.amdhsa_exception_fp_denorm_src 0
		.amdhsa_exception_fp_ieee_div_zero 0
		.amdhsa_exception_fp_ieee_overflow 0
		.amdhsa_exception_fp_ieee_underflow 0
		.amdhsa_exception_fp_ieee_inexact 0
		.amdhsa_exception_int_div_zero 0
	.end_amdhsa_kernel
	.section	.text._ZL15flash_attn_tileILi128ELi128ELi32ELi2ELb0EEvPKcS1_S1_S1_S1_PKiPfP15HIP_vector_typeIfLj2EEffffjfiS5_IjLj3EEiiiiiiiiiiiliiliiiiil,"axG",@progbits,_ZL15flash_attn_tileILi128ELi128ELi32ELi2ELb0EEvPKcS1_S1_S1_S1_PKiPfP15HIP_vector_typeIfLj2EEffffjfiS5_IjLj3EEiiiiiiiiiiiliiliiiiil,comdat
.Lfunc_end33:
	.size	_ZL15flash_attn_tileILi128ELi128ELi32ELi2ELb0EEvPKcS1_S1_S1_S1_PKiPfP15HIP_vector_typeIfLj2EEffffjfiS5_IjLj3EEiiiiiiiiiiiliiliiiiil, .Lfunc_end33-_ZL15flash_attn_tileILi128ELi128ELi32ELi2ELb0EEvPKcS1_S1_S1_S1_PKiPfP15HIP_vector_typeIfLj2EEffffjfiS5_IjLj3EEiiiiiiiiiiiliiliiiiil
                                        ; -- End function
	.set _ZL15flash_attn_tileILi128ELi128ELi32ELi2ELb0EEvPKcS1_S1_S1_S1_PKiPfP15HIP_vector_typeIfLj2EEffffjfiS5_IjLj3EEiiiiiiiiiiiliiliiiiil.num_vgpr, 140
	.set _ZL15flash_attn_tileILi128ELi128ELi32ELi2ELb0EEvPKcS1_S1_S1_S1_PKiPfP15HIP_vector_typeIfLj2EEffffjfiS5_IjLj3EEiiiiiiiiiiiliiliiiiil.num_agpr, 0
	.set _ZL15flash_attn_tileILi128ELi128ELi32ELi2ELb0EEvPKcS1_S1_S1_S1_PKiPfP15HIP_vector_typeIfLj2EEffffjfiS5_IjLj3EEiiiiiiiiiiiliiliiiiil.numbered_sgpr, 50
	.set _ZL15flash_attn_tileILi128ELi128ELi32ELi2ELb0EEvPKcS1_S1_S1_S1_PKiPfP15HIP_vector_typeIfLj2EEffffjfiS5_IjLj3EEiiiiiiiiiiiliiliiiiil.num_named_barrier, 0
	.set _ZL15flash_attn_tileILi128ELi128ELi32ELi2ELb0EEvPKcS1_S1_S1_S1_PKiPfP15HIP_vector_typeIfLj2EEffffjfiS5_IjLj3EEiiiiiiiiiiiliiliiiiil.private_seg_size, 0
	.set _ZL15flash_attn_tileILi128ELi128ELi32ELi2ELb0EEvPKcS1_S1_S1_S1_PKiPfP15HIP_vector_typeIfLj2EEffffjfiS5_IjLj3EEiiiiiiiiiiiliiliiiiil.uses_vcc, 1
	.set _ZL15flash_attn_tileILi128ELi128ELi32ELi2ELb0EEvPKcS1_S1_S1_S1_PKiPfP15HIP_vector_typeIfLj2EEffffjfiS5_IjLj3EEiiiiiiiiiiiliiliiiiil.uses_flat_scratch, 0
	.set _ZL15flash_attn_tileILi128ELi128ELi32ELi2ELb0EEvPKcS1_S1_S1_S1_PKiPfP15HIP_vector_typeIfLj2EEffffjfiS5_IjLj3EEiiiiiiiiiiiliiliiiiil.has_dyn_sized_stack, 0
	.set _ZL15flash_attn_tileILi128ELi128ELi32ELi2ELb0EEvPKcS1_S1_S1_S1_PKiPfP15HIP_vector_typeIfLj2EEffffjfiS5_IjLj3EEiiiiiiiiiiiliiliiiiil.has_recursion, 0
	.set _ZL15flash_attn_tileILi128ELi128ELi32ELi2ELb0EEvPKcS1_S1_S1_S1_PKiPfP15HIP_vector_typeIfLj2EEffffjfiS5_IjLj3EEiiiiiiiiiiiliiliiiiil.has_indirect_call, 0
	.section	.AMDGPU.csdata,"",@progbits
; Kernel info:
; codeLenInByte = 34140
; TotalNumSgprs: 52
; NumVgprs: 140
; ScratchSize: 0
; MemoryBound: 0
; FloatMode: 240
; IeeeMode: 1
; LDSByteSize: 33792 bytes/workgroup (compile time only)
; SGPRBlocks: 0
; VGPRBlocks: 27
; NumSGPRsForWavesPerEU: 52
; NumVGPRsForWavesPerEU: 217
; Occupancy: 6
; WaveLimiterHint : 1
; COMPUTE_PGM_RSRC2:SCRATCH_EN: 0
; COMPUTE_PGM_RSRC2:USER_SGPR: 2
; COMPUTE_PGM_RSRC2:TRAP_HANDLER: 0
; COMPUTE_PGM_RSRC2:TGID_X_EN: 1
; COMPUTE_PGM_RSRC2:TGID_Y_EN: 1
; COMPUTE_PGM_RSRC2:TGID_Z_EN: 1
; COMPUTE_PGM_RSRC2:TIDIG_COMP_CNT: 1
	.section	.text._ZL25flash_attn_mask_to_KV_maxILi32EEvPK7__half2Piiii,"axG",@progbits,_ZL25flash_attn_mask_to_KV_maxILi32EEvPK7__half2Piiii,comdat
	.globl	_ZL25flash_attn_mask_to_KV_maxILi32EEvPK7__half2Piiii ; -- Begin function _ZL25flash_attn_mask_to_KV_maxILi32EEvPK7__half2Piiii
	.p2align	8
	.type	_ZL25flash_attn_mask_to_KV_maxILi32EEvPK7__half2Piiii,@function
_ZL25flash_attn_mask_to_KV_maxILi32EEvPK7__half2Piiii: ; @_ZL25flash_attn_mask_to_KV_maxILi32EEvPK7__half2Piiii
; %bb.0:
	s_load_b64 s[8:9], s[0:1], 0x0
	s_mov_b32 s2, exec_lo
	v_cmpx_gt_u32_e32 32, v0
; %bb.1:
	v_dual_mov_b32 v2, 1 :: v_dual_lshlrev_b32 v1, 2, v0
	ds_store_b32 v1, v2
; %bb.2:
	s_or_b32 exec_lo, exec_lo, s2
	s_clause 0x2
	s_load_b96 s[4:6], s[0:1], 0x10
	s_load_b64 s[2:3], s[0:1], 0x8
	s_load_b32 s1, s[0:1], 0x20
	v_dual_mov_b32 v2, 0 :: v_dual_and_b32 v1, 31, v0
	v_lshrrev_b32_e32 v5, 3, v0
	s_wait_dscnt 0x0
	s_barrier_signal -1
	s_delay_alu instid0(VALU_DEP_2)
	v_lshlrev_b32_e32 v6, 2, v1
	s_barrier_wait -1
	global_inv scope:SCOPE_SE
	s_wait_kmcnt 0x0
	s_mul_i32 s0, ttmp9, s5
	s_mul_i32 s6, s6, ttmp7
	s_lshl_b32 s0, s0, 5
	s_delay_alu instid0(SALU_CYCLE_1) | instskip(SKIP_2) | instid1(SALU_CYCLE_1)
	s_add_co_i32 s6, s6, s0
	v_cmp_eq_u32_e64 s0, 0, v1
	s_ashr_i32 s7, s6, 31
	s_lshl_b64 s[6:7], s[6:7], 2
	s_delay_alu instid0(SALU_CYCLE_1)
	s_add_nc_u64 s[6:7], s[8:9], s[6:7]
	s_lshl_b32 s8, s4, 8
	s_branch .LBB34_4
.LBB34_3:                               ;   in Loop: Header=BB34_4 Depth=1
	s_wait_alu 0xfffe
	s_or_b32 exec_lo, exec_lo, s9
	s_wait_dscnt 0x0
	s_barrier_signal -1
	s_barrier_wait -1
	global_inv scope:SCOPE_SE
	ds_load_b32 v1, v6
	s_wait_loadcnt_dscnt 0x0
	s_barrier_signal -1
	s_barrier_wait -1
	global_inv scope:SCOPE_SE
	v_cmp_ne_u32_e32 vcc_lo, 0, v1
	s_cmp_lg_u32 vcc_lo, exec_lo
	s_cselect_b32 s9, -1, 0
	s_wait_alu 0xfffe
	s_and_b32 vcc_lo, exec_lo, s9
	s_wait_alu 0xfffe
	s_cbranch_vccnz .LBB34_132
.LBB34_4:                               ; =>This Inner Loop Header: Depth=1
	s_mov_b32 s4, s8
	s_addk_co_i32 s8, 0xff00
	s_wait_alu 0xfffe
	s_cmp_lt_i32 s8, 0
	s_cbranch_scc1 .LBB34_131
; %bb.5:                                ;   in Loop: Header=BB34_4 Depth=1
	s_lshr_b32 s9, s8, 1
	s_wait_alu 0xfffe
	v_add_nc_u32_e32 v1, s9, v0
	s_delay_alu instid0(VALU_DEP_1) | instskip(NEXT) | instid1(VALU_DEP_1)
	v_lshlrev_b64_e32 v[3:4], 2, v[1:2]
	v_add_co_u32 v3, vcc_lo, s6, v3
	s_wait_alu 0xfffd
	s_delay_alu instid0(VALU_DEP_2) | instskip(SKIP_4) | instid1(VALU_DEP_2)
	v_add_co_ci_u32_e64 v4, null, s7, v4, vcc_lo
	global_load_b32 v3, v[3:4], off
	s_wait_loadcnt 0x0
	v_lshrrev_b32_e32 v4, 16, v3
	v_cmp_class_f16_e64 s9, v3, 0x204
	v_cmp_class_f16_e64 s10, v4, 0x204
	s_and_b32 s11, s9, s10
	s_mov_b32 s10, 0
	s_wait_alu 0xfffe
	s_and_saveexec_b32 s9, s11
	s_cbranch_execz .LBB34_129
; %bb.6:                                ;   in Loop: Header=BB34_4 Depth=1
	v_add_nc_u32_e32 v3, s5, v1
	s_mov_b32 s11, 0
	s_delay_alu instid0(VALU_DEP_1) | instskip(NEXT) | instid1(VALU_DEP_1)
	v_ashrrev_i32_e32 v4, 31, v3
	v_lshlrev_b64_e32 v[7:8], 2, v[3:4]
	s_delay_alu instid0(VALU_DEP_1) | instskip(SKIP_1) | instid1(VALU_DEP_2)
	v_add_co_u32 v7, vcc_lo, s6, v7
	s_wait_alu 0xfffd
	v_add_co_ci_u32_e64 v8, null, s7, v8, vcc_lo
	global_load_b32 v1, v[7:8], off
	s_wait_loadcnt 0x0
	v_cmp_class_f16_e64 s12, v1, 0x204
	s_and_saveexec_b32 s10, s12
	s_cbranch_execz .LBB34_128
; %bb.7:                                ;   in Loop: Header=BB34_4 Depth=1
	v_lshrrev_b32_e32 v1, 16, v1
	s_mov_b32 s12, 0
	s_delay_alu instid0(VALU_DEP_1)
	v_cmp_class_f16_e64 s13, v1, 0x204
	s_and_saveexec_b32 s11, s13
	s_cbranch_execz .LBB34_127
; %bb.8:                                ;   in Loop: Header=BB34_4 Depth=1
	v_add_nc_u32_e32 v3, s5, v3
	s_mov_b32 s13, 0
	s_delay_alu instid0(VALU_DEP_1) | instskip(NEXT) | instid1(VALU_DEP_1)
	v_ashrrev_i32_e32 v4, 31, v3
	v_lshlrev_b64_e32 v[7:8], 2, v[3:4]
	s_delay_alu instid0(VALU_DEP_1) | instskip(SKIP_1) | instid1(VALU_DEP_2)
	v_add_co_u32 v7, vcc_lo, s6, v7
	s_wait_alu 0xfffd
	v_add_co_ci_u32_e64 v8, null, s7, v8, vcc_lo
	global_load_b32 v1, v[7:8], off
	s_wait_loadcnt 0x0
	v_cmp_class_f16_e64 s14, v1, 0x204
	s_and_saveexec_b32 s12, s14
	s_cbranch_execz .LBB34_126
; %bb.9:                                ;   in Loop: Header=BB34_4 Depth=1
	v_lshrrev_b32_e32 v1, 16, v1
	s_mov_b32 s14, 0
	s_delay_alu instid0(VALU_DEP_1)
	v_cmp_class_f16_e64 s15, v1, 0x204
	s_and_saveexec_b32 s13, s15
	s_cbranch_execz .LBB34_125
; %bb.10:                               ;   in Loop: Header=BB34_4 Depth=1
	v_add_nc_u32_e32 v3, s5, v3
	s_mov_b32 s15, 0
	s_delay_alu instid0(VALU_DEP_1) | instskip(NEXT) | instid1(VALU_DEP_1)
	v_ashrrev_i32_e32 v4, 31, v3
	v_lshlrev_b64_e32 v[7:8], 2, v[3:4]
	s_delay_alu instid0(VALU_DEP_1) | instskip(SKIP_1) | instid1(VALU_DEP_2)
	v_add_co_u32 v7, vcc_lo, s6, v7
	s_wait_alu 0xfffd
	v_add_co_ci_u32_e64 v8, null, s7, v8, vcc_lo
	global_load_b32 v1, v[7:8], off
	s_wait_loadcnt 0x0
	v_cmp_class_f16_e64 s16, v1, 0x204
	s_and_saveexec_b32 s14, s16
	s_cbranch_execz .LBB34_124
; %bb.11:                               ;   in Loop: Header=BB34_4 Depth=1
	v_lshrrev_b32_e32 v1, 16, v1
	s_mov_b32 s16, 0
	s_delay_alu instid0(VALU_DEP_1)
	v_cmp_class_f16_e64 s17, v1, 0x204
	s_and_saveexec_b32 s15, s17
	s_cbranch_execz .LBB34_123
; %bb.12:                               ;   in Loop: Header=BB34_4 Depth=1
	v_add_nc_u32_e32 v3, s5, v3
	s_mov_b32 s17, 0
	s_delay_alu instid0(VALU_DEP_1) | instskip(NEXT) | instid1(VALU_DEP_1)
	v_ashrrev_i32_e32 v4, 31, v3
	v_lshlrev_b64_e32 v[7:8], 2, v[3:4]
	s_delay_alu instid0(VALU_DEP_1) | instskip(SKIP_1) | instid1(VALU_DEP_2)
	v_add_co_u32 v7, vcc_lo, s6, v7
	s_wait_alu 0xfffd
	v_add_co_ci_u32_e64 v8, null, s7, v8, vcc_lo
	global_load_b32 v1, v[7:8], off
	s_wait_loadcnt 0x0
	v_cmp_class_f16_e64 s18, v1, 0x204
	s_and_saveexec_b32 s16, s18
	s_cbranch_execz .LBB34_122
; %bb.13:                               ;   in Loop: Header=BB34_4 Depth=1
	;; [unrolled: 22-line block ×28, first 2 shown]
	v_lshrrev_b32_e32 v1, 16, v1
	s_mov_b32 s71, 0
	s_delay_alu instid0(VALU_DEP_1)
	v_cmp_class_f16_e64 s72, v1, 0x204
	s_and_saveexec_b32 s70, s72
	s_cbranch_execz .LBB34_69
; %bb.66:                               ;   in Loop: Header=BB34_4 Depth=1
	v_add_nc_u32_e32 v3, s5, v3
	s_delay_alu instid0(VALU_DEP_1) | instskip(NEXT) | instid1(VALU_DEP_1)
	v_ashrrev_i32_e32 v4, 31, v3
	v_lshlrev_b64_e32 v[3:4], 2, v[3:4]
	s_delay_alu instid0(VALU_DEP_1) | instskip(SKIP_1) | instid1(VALU_DEP_2)
	v_add_co_u32 v3, vcc_lo, s6, v3
	s_wait_alu 0xfffd
	v_add_co_ci_u32_e64 v4, null, s7, v4, vcc_lo
	global_load_b32 v1, v[3:4], off
	s_wait_loadcnt 0x0
	v_cmp_class_f16_e64 s73, v1, 0x204
	s_and_saveexec_b32 s72, s73
; %bb.67:                               ;   in Loop: Header=BB34_4 Depth=1
	v_lshrrev_b32_e32 v1, 16, v1
	s_delay_alu instid0(VALU_DEP_1)
	v_cmp_class_f16_e64 s71, v1, 0x204
	s_and_b32 s71, s71, exec_lo
; %bb.68:                               ;   in Loop: Header=BB34_4 Depth=1
	s_or_b32 exec_lo, exec_lo, s72
	s_delay_alu instid0(SALU_CYCLE_1)
	s_and_b32 s71, s71, exec_lo
.LBB34_69:                              ;   in Loop: Header=BB34_4 Depth=1
	s_or_b32 exec_lo, exec_lo, s70
	s_delay_alu instid0(SALU_CYCLE_1)
	s_and_b32 s70, s71, exec_lo
.LBB34_70:                              ;   in Loop: Header=BB34_4 Depth=1
	s_or_b32 exec_lo, exec_lo, s69
	s_delay_alu instid0(SALU_CYCLE_1)
	s_and_b32 s69, s70, exec_lo
.LBB34_71:                              ;   in Loop: Header=BB34_4 Depth=1
	s_or_b32 exec_lo, exec_lo, s68
	s_delay_alu instid0(SALU_CYCLE_1)
	s_and_b32 s68, s69, exec_lo
.LBB34_72:                              ;   in Loop: Header=BB34_4 Depth=1
	s_or_b32 exec_lo, exec_lo, s67
	s_delay_alu instid0(SALU_CYCLE_1)
	s_and_b32 s67, s68, exec_lo
.LBB34_73:                              ;   in Loop: Header=BB34_4 Depth=1
	s_or_b32 exec_lo, exec_lo, s66
	s_delay_alu instid0(SALU_CYCLE_1)
	s_and_b32 s66, s67, exec_lo
.LBB34_74:                              ;   in Loop: Header=BB34_4 Depth=1
	s_or_b32 exec_lo, exec_lo, s65
	s_delay_alu instid0(SALU_CYCLE_1)
	s_and_b32 s65, s66, exec_lo
.LBB34_75:                              ;   in Loop: Header=BB34_4 Depth=1
	s_or_b32 exec_lo, exec_lo, s64
	s_delay_alu instid0(SALU_CYCLE_1)
	s_and_b32 s64, s65, exec_lo
.LBB34_76:                              ;   in Loop: Header=BB34_4 Depth=1
	s_or_b32 exec_lo, exec_lo, s63
	s_delay_alu instid0(SALU_CYCLE_1)
	s_and_b32 s63, s64, exec_lo
.LBB34_77:                              ;   in Loop: Header=BB34_4 Depth=1
	s_or_b32 exec_lo, exec_lo, s62
	s_delay_alu instid0(SALU_CYCLE_1)
	s_and_b32 s62, s63, exec_lo
.LBB34_78:                              ;   in Loop: Header=BB34_4 Depth=1
	s_or_b32 exec_lo, exec_lo, s61
	s_delay_alu instid0(SALU_CYCLE_1)
	s_and_b32 s61, s62, exec_lo
.LBB34_79:                              ;   in Loop: Header=BB34_4 Depth=1
	s_or_b32 exec_lo, exec_lo, s60
	s_delay_alu instid0(SALU_CYCLE_1)
	s_and_b32 s60, s61, exec_lo
.LBB34_80:                              ;   in Loop: Header=BB34_4 Depth=1
	s_or_b32 exec_lo, exec_lo, s59
	s_delay_alu instid0(SALU_CYCLE_1)
	s_and_b32 s59, s60, exec_lo
.LBB34_81:                              ;   in Loop: Header=BB34_4 Depth=1
	s_or_b32 exec_lo, exec_lo, s58
	s_delay_alu instid0(SALU_CYCLE_1)
	s_and_b32 s58, s59, exec_lo
.LBB34_82:                              ;   in Loop: Header=BB34_4 Depth=1
	s_or_b32 exec_lo, exec_lo, s57
	s_delay_alu instid0(SALU_CYCLE_1)
	s_and_b32 s57, s58, exec_lo
.LBB34_83:                              ;   in Loop: Header=BB34_4 Depth=1
	s_or_b32 exec_lo, exec_lo, s56
	s_delay_alu instid0(SALU_CYCLE_1)
	s_and_b32 s56, s57, exec_lo
.LBB34_84:                              ;   in Loop: Header=BB34_4 Depth=1
	s_or_b32 exec_lo, exec_lo, s55
	s_delay_alu instid0(SALU_CYCLE_1)
	s_and_b32 s55, s56, exec_lo
.LBB34_85:                              ;   in Loop: Header=BB34_4 Depth=1
	s_or_b32 exec_lo, exec_lo, s54
	s_delay_alu instid0(SALU_CYCLE_1)
	s_and_b32 s54, s55, exec_lo
.LBB34_86:                              ;   in Loop: Header=BB34_4 Depth=1
	s_or_b32 exec_lo, exec_lo, s53
	s_delay_alu instid0(SALU_CYCLE_1)
	s_and_b32 s53, s54, exec_lo
.LBB34_87:                              ;   in Loop: Header=BB34_4 Depth=1
	s_or_b32 exec_lo, exec_lo, s52
	s_delay_alu instid0(SALU_CYCLE_1)
	s_and_b32 s52, s53, exec_lo
.LBB34_88:                              ;   in Loop: Header=BB34_4 Depth=1
	s_or_b32 exec_lo, exec_lo, s51
	s_delay_alu instid0(SALU_CYCLE_1)
	s_and_b32 s51, s52, exec_lo
.LBB34_89:                              ;   in Loop: Header=BB34_4 Depth=1
	s_or_b32 exec_lo, exec_lo, s50
	s_delay_alu instid0(SALU_CYCLE_1)
	s_and_b32 s50, s51, exec_lo
.LBB34_90:                              ;   in Loop: Header=BB34_4 Depth=1
	s_or_b32 exec_lo, exec_lo, s49
	s_delay_alu instid0(SALU_CYCLE_1)
	s_and_b32 s49, s50, exec_lo
.LBB34_91:                              ;   in Loop: Header=BB34_4 Depth=1
	s_or_b32 exec_lo, exec_lo, s48
	s_delay_alu instid0(SALU_CYCLE_1)
	s_and_b32 s48, s49, exec_lo
.LBB34_92:                              ;   in Loop: Header=BB34_4 Depth=1
	s_or_b32 exec_lo, exec_lo, s47
	s_delay_alu instid0(SALU_CYCLE_1)
	s_and_b32 s47, s48, exec_lo
.LBB34_93:                              ;   in Loop: Header=BB34_4 Depth=1
	s_or_b32 exec_lo, exec_lo, s46
	s_delay_alu instid0(SALU_CYCLE_1)
	s_and_b32 s46, s47, exec_lo
.LBB34_94:                              ;   in Loop: Header=BB34_4 Depth=1
	s_or_b32 exec_lo, exec_lo, s45
	s_delay_alu instid0(SALU_CYCLE_1)
	s_and_b32 s45, s46, exec_lo
.LBB34_95:                              ;   in Loop: Header=BB34_4 Depth=1
	s_or_b32 exec_lo, exec_lo, s44
	s_delay_alu instid0(SALU_CYCLE_1)
	s_and_b32 s44, s45, exec_lo
.LBB34_96:                              ;   in Loop: Header=BB34_4 Depth=1
	s_or_b32 exec_lo, exec_lo, s43
	s_delay_alu instid0(SALU_CYCLE_1)
	s_and_b32 s43, s44, exec_lo
.LBB34_97:                              ;   in Loop: Header=BB34_4 Depth=1
	s_or_b32 exec_lo, exec_lo, s42
	s_delay_alu instid0(SALU_CYCLE_1)
	s_and_b32 s42, s43, exec_lo
.LBB34_98:                              ;   in Loop: Header=BB34_4 Depth=1
	s_or_b32 exec_lo, exec_lo, s41
	s_delay_alu instid0(SALU_CYCLE_1)
	s_and_b32 s41, s42, exec_lo
.LBB34_99:                              ;   in Loop: Header=BB34_4 Depth=1
	s_or_b32 exec_lo, exec_lo, s40
	s_delay_alu instid0(SALU_CYCLE_1)
	s_and_b32 s40, s41, exec_lo
.LBB34_100:                             ;   in Loop: Header=BB34_4 Depth=1
	s_or_b32 exec_lo, exec_lo, s39
	s_delay_alu instid0(SALU_CYCLE_1)
	s_and_b32 s39, s40, exec_lo
.LBB34_101:                             ;   in Loop: Header=BB34_4 Depth=1
	s_or_b32 exec_lo, exec_lo, s38
	s_delay_alu instid0(SALU_CYCLE_1)
	s_and_b32 s38, s39, exec_lo
.LBB34_102:                             ;   in Loop: Header=BB34_4 Depth=1
	s_or_b32 exec_lo, exec_lo, s37
	s_delay_alu instid0(SALU_CYCLE_1)
	s_and_b32 s37, s38, exec_lo
.LBB34_103:                             ;   in Loop: Header=BB34_4 Depth=1
	s_or_b32 exec_lo, exec_lo, s36
	s_delay_alu instid0(SALU_CYCLE_1)
	s_and_b32 s36, s37, exec_lo
.LBB34_104:                             ;   in Loop: Header=BB34_4 Depth=1
	s_or_b32 exec_lo, exec_lo, s35
	s_delay_alu instid0(SALU_CYCLE_1)
	s_and_b32 s35, s36, exec_lo
.LBB34_105:                             ;   in Loop: Header=BB34_4 Depth=1
	s_or_b32 exec_lo, exec_lo, s34
	s_delay_alu instid0(SALU_CYCLE_1)
	s_and_b32 s34, s35, exec_lo
.LBB34_106:                             ;   in Loop: Header=BB34_4 Depth=1
	s_or_b32 exec_lo, exec_lo, s33
	s_delay_alu instid0(SALU_CYCLE_1)
	s_and_b32 s33, s34, exec_lo
.LBB34_107:                             ;   in Loop: Header=BB34_4 Depth=1
	s_or_b32 exec_lo, exec_lo, s31
	s_delay_alu instid0(SALU_CYCLE_1)
	s_and_b32 s31, s33, exec_lo
.LBB34_108:                             ;   in Loop: Header=BB34_4 Depth=1
	s_or_b32 exec_lo, exec_lo, s30
	s_delay_alu instid0(SALU_CYCLE_1)
	s_and_b32 s30, s31, exec_lo
.LBB34_109:                             ;   in Loop: Header=BB34_4 Depth=1
	s_or_b32 exec_lo, exec_lo, s29
	s_delay_alu instid0(SALU_CYCLE_1)
	s_and_b32 s29, s30, exec_lo
.LBB34_110:                             ;   in Loop: Header=BB34_4 Depth=1
	s_or_b32 exec_lo, exec_lo, s28
	s_delay_alu instid0(SALU_CYCLE_1)
	s_and_b32 s28, s29, exec_lo
.LBB34_111:                             ;   in Loop: Header=BB34_4 Depth=1
	s_or_b32 exec_lo, exec_lo, s27
	s_delay_alu instid0(SALU_CYCLE_1)
	s_and_b32 s27, s28, exec_lo
.LBB34_112:                             ;   in Loop: Header=BB34_4 Depth=1
	s_or_b32 exec_lo, exec_lo, s26
	s_delay_alu instid0(SALU_CYCLE_1)
	s_and_b32 s26, s27, exec_lo
.LBB34_113:                             ;   in Loop: Header=BB34_4 Depth=1
	s_or_b32 exec_lo, exec_lo, s25
	s_delay_alu instid0(SALU_CYCLE_1)
	s_and_b32 s25, s26, exec_lo
.LBB34_114:                             ;   in Loop: Header=BB34_4 Depth=1
	s_or_b32 exec_lo, exec_lo, s24
	s_delay_alu instid0(SALU_CYCLE_1)
	s_and_b32 s24, s25, exec_lo
.LBB34_115:                             ;   in Loop: Header=BB34_4 Depth=1
	s_or_b32 exec_lo, exec_lo, s23
	s_delay_alu instid0(SALU_CYCLE_1)
	s_and_b32 s23, s24, exec_lo
.LBB34_116:                             ;   in Loop: Header=BB34_4 Depth=1
	s_or_b32 exec_lo, exec_lo, s22
	s_delay_alu instid0(SALU_CYCLE_1)
	s_and_b32 s22, s23, exec_lo
.LBB34_117:                             ;   in Loop: Header=BB34_4 Depth=1
	s_or_b32 exec_lo, exec_lo, s21
	s_delay_alu instid0(SALU_CYCLE_1)
	s_and_b32 s21, s22, exec_lo
.LBB34_118:                             ;   in Loop: Header=BB34_4 Depth=1
	s_or_b32 exec_lo, exec_lo, s20
	s_delay_alu instid0(SALU_CYCLE_1)
	s_and_b32 s20, s21, exec_lo
.LBB34_119:                             ;   in Loop: Header=BB34_4 Depth=1
	s_or_b32 exec_lo, exec_lo, s19
	s_delay_alu instid0(SALU_CYCLE_1)
	s_and_b32 s19, s20, exec_lo
.LBB34_120:                             ;   in Loop: Header=BB34_4 Depth=1
	s_or_b32 exec_lo, exec_lo, s18
	s_delay_alu instid0(SALU_CYCLE_1)
	s_and_b32 s18, s19, exec_lo
.LBB34_121:                             ;   in Loop: Header=BB34_4 Depth=1
	s_or_b32 exec_lo, exec_lo, s17
	s_delay_alu instid0(SALU_CYCLE_1)
	s_and_b32 s17, s18, exec_lo
.LBB34_122:                             ;   in Loop: Header=BB34_4 Depth=1
	s_or_b32 exec_lo, exec_lo, s16
	s_delay_alu instid0(SALU_CYCLE_1)
	s_and_b32 s16, s17, exec_lo
.LBB34_123:                             ;   in Loop: Header=BB34_4 Depth=1
	s_or_b32 exec_lo, exec_lo, s15
	s_delay_alu instid0(SALU_CYCLE_1)
	s_and_b32 s15, s16, exec_lo
.LBB34_124:                             ;   in Loop: Header=BB34_4 Depth=1
	s_or_b32 exec_lo, exec_lo, s14
	s_delay_alu instid0(SALU_CYCLE_1)
	s_and_b32 s14, s15, exec_lo
.LBB34_125:                             ;   in Loop: Header=BB34_4 Depth=1
	s_or_b32 exec_lo, exec_lo, s13
	s_delay_alu instid0(SALU_CYCLE_1)
	s_and_b32 s13, s14, exec_lo
.LBB34_126:                             ;   in Loop: Header=BB34_4 Depth=1
	s_or_b32 exec_lo, exec_lo, s12
	s_delay_alu instid0(SALU_CYCLE_1)
	s_and_b32 s12, s13, exec_lo
.LBB34_127:                             ;   in Loop: Header=BB34_4 Depth=1
	s_wait_alu 0xfffe
	s_or_b32 exec_lo, exec_lo, s11
	s_delay_alu instid0(SALU_CYCLE_1)
	s_and_b32 s11, s12, exec_lo
.LBB34_128:                             ;   in Loop: Header=BB34_4 Depth=1
	s_wait_alu 0xfffe
	s_or_b32 exec_lo, exec_lo, s10
	s_delay_alu instid0(SALU_CYCLE_1)
	s_and_b32 s10, s11, exec_lo
.LBB34_129:                             ;   in Loop: Header=BB34_4 Depth=1
	s_wait_alu 0xfffe
	s_or_b32 exec_lo, exec_lo, s9
	v_cndmask_b32_e64 v1, 0, 1, s10
	s_mov_b32 s11, exec_lo
	s_delay_alu instid0(VALU_DEP_1)
	v_cmp_ne_u32_e32 vcc_lo, 0, v1
	s_and_saveexec_b32 s9, s0
	s_cbranch_execz .LBB34_3
; %bb.130:                              ;   in Loop: Header=BB34_4 Depth=1
	s_wait_alu 0xfffe
	s_cmp_eq_u32 vcc_lo, s11
	s_cselect_b32 s10, -1, 0
	s_wait_alu 0xfffe
	v_cndmask_b32_e64 v1, 0, 1, s10
	ds_store_b32 v5, v1
	s_branch .LBB34_3
.LBB34_131:                             ;   in Loop: Header=BB34_4 Depth=1
	s_cbranch_execz .LBB34_4
.LBB34_132:
	s_mov_b32 s0, exec_lo
	v_cmpx_eq_u32_e32 0, v0
	s_cbranch_execz .LBB34_134
; %bb.133:
	s_mul_i32 s0, s1, ttmp7
	v_dual_mov_b32 v0, 0 :: v_dual_mov_b32 v1, s4
	s_add_co_i32 s0, s0, ttmp9
	s_delay_alu instid0(SALU_CYCLE_1) | instskip(NEXT) | instid1(SALU_CYCLE_1)
	s_ashr_i32 s1, s0, 31
	s_lshl_b64 s[0:1], s[0:1], 2
	s_delay_alu instid0(SALU_CYCLE_1)
	s_add_nc_u64 s[0:1], s[2:3], s[0:1]
	global_store_b32 v0, v1, s[0:1]
.LBB34_134:
	s_endpgm
	.section	.rodata,"a",@progbits
	.p2align	6, 0x0
	.amdhsa_kernel _ZL25flash_attn_mask_to_KV_maxILi32EEvPK7__half2Piiii
		.amdhsa_group_segment_fixed_size 128
		.amdhsa_private_segment_fixed_size 0
		.amdhsa_kernarg_size 288
		.amdhsa_user_sgpr_count 2
		.amdhsa_user_sgpr_dispatch_ptr 0
		.amdhsa_user_sgpr_queue_ptr 0
		.amdhsa_user_sgpr_kernarg_segment_ptr 1
		.amdhsa_user_sgpr_dispatch_id 0
		.amdhsa_user_sgpr_private_segment_size 0
		.amdhsa_wavefront_size32 1
		.amdhsa_uses_dynamic_stack 0
		.amdhsa_enable_private_segment 0
		.amdhsa_system_sgpr_workgroup_id_x 1
		.amdhsa_system_sgpr_workgroup_id_y 1
		.amdhsa_system_sgpr_workgroup_id_z 0
		.amdhsa_system_sgpr_workgroup_info 0
		.amdhsa_system_vgpr_workitem_id 0
		.amdhsa_next_free_vgpr 9
		.amdhsa_next_free_sgpr 74
		.amdhsa_reserve_vcc 1
		.amdhsa_float_round_mode_32 0
		.amdhsa_float_round_mode_16_64 0
		.amdhsa_float_denorm_mode_32 3
		.amdhsa_float_denorm_mode_16_64 3
		.amdhsa_fp16_overflow 0
		.amdhsa_workgroup_processor_mode 1
		.amdhsa_memory_ordered 1
		.amdhsa_forward_progress 1
		.amdhsa_inst_pref_size 37
		.amdhsa_round_robin_scheduling 0
		.amdhsa_exception_fp_ieee_invalid_op 0
		.amdhsa_exception_fp_denorm_src 0
		.amdhsa_exception_fp_ieee_div_zero 0
		.amdhsa_exception_fp_ieee_overflow 0
		.amdhsa_exception_fp_ieee_underflow 0
		.amdhsa_exception_fp_ieee_inexact 0
		.amdhsa_exception_int_div_zero 0
	.end_amdhsa_kernel
	.section	.text._ZL25flash_attn_mask_to_KV_maxILi32EEvPK7__half2Piiii,"axG",@progbits,_ZL25flash_attn_mask_to_KV_maxILi32EEvPK7__half2Piiii,comdat
.Lfunc_end34:
	.size	_ZL25flash_attn_mask_to_KV_maxILi32EEvPK7__half2Piiii, .Lfunc_end34-_ZL25flash_attn_mask_to_KV_maxILi32EEvPK7__half2Piiii
                                        ; -- End function
	.set _ZL25flash_attn_mask_to_KV_maxILi32EEvPK7__half2Piiii.num_vgpr, 9
	.set _ZL25flash_attn_mask_to_KV_maxILi32EEvPK7__half2Piiii.num_agpr, 0
	.set _ZL25flash_attn_mask_to_KV_maxILi32EEvPK7__half2Piiii.numbered_sgpr, 74
	.set _ZL25flash_attn_mask_to_KV_maxILi32EEvPK7__half2Piiii.num_named_barrier, 0
	.set _ZL25flash_attn_mask_to_KV_maxILi32EEvPK7__half2Piiii.private_seg_size, 0
	.set _ZL25flash_attn_mask_to_KV_maxILi32EEvPK7__half2Piiii.uses_vcc, 1
	.set _ZL25flash_attn_mask_to_KV_maxILi32EEvPK7__half2Piiii.uses_flat_scratch, 0
	.set _ZL25flash_attn_mask_to_KV_maxILi32EEvPK7__half2Piiii.has_dyn_sized_stack, 0
	.set _ZL25flash_attn_mask_to_KV_maxILi32EEvPK7__half2Piiii.has_recursion, 0
	.set _ZL25flash_attn_mask_to_KV_maxILi32EEvPK7__half2Piiii.has_indirect_call, 0
	.section	.AMDGPU.csdata,"",@progbits
; Kernel info:
; codeLenInByte = 4720
; TotalNumSgprs: 76
; NumVgprs: 9
; ScratchSize: 0
; MemoryBound: 0
; FloatMode: 240
; IeeeMode: 1
; LDSByteSize: 128 bytes/workgroup (compile time only)
; SGPRBlocks: 0
; VGPRBlocks: 1
; NumSGPRsForWavesPerEU: 76
; NumVGPRsForWavesPerEU: 9
; Occupancy: 16
; WaveLimiterHint : 0
; COMPUTE_PGM_RSRC2:SCRATCH_EN: 0
; COMPUTE_PGM_RSRC2:USER_SGPR: 2
; COMPUTE_PGM_RSRC2:TRAP_HANDLER: 0
; COMPUTE_PGM_RSRC2:TGID_X_EN: 1
; COMPUTE_PGM_RSRC2:TGID_Y_EN: 1
; COMPUTE_PGM_RSRC2:TGID_Z_EN: 0
; COMPUTE_PGM_RSRC2:TIDIG_COMP_CNT: 0
	.section	.text._ZL33flash_attn_stream_k_fixup_uniformILi128ELi32ELi2EEvPfPK15HIP_vector_typeIfLj2EEiiiiiiS1_IjLj3EES5_S5_,"axG",@progbits,_ZL33flash_attn_stream_k_fixup_uniformILi128ELi32ELi2EEvPfPK15HIP_vector_typeIfLj2EEiiiiiiS1_IjLj3EES5_S5_,comdat
	.globl	_ZL33flash_attn_stream_k_fixup_uniformILi128ELi32ELi2EEvPfPK15HIP_vector_typeIfLj2EEiiiiiiS1_IjLj3EES5_S5_ ; -- Begin function _ZL33flash_attn_stream_k_fixup_uniformILi128ELi32ELi2EEvPfPK15HIP_vector_typeIfLj2EEiiiiiiS1_IjLj3EES5_S5_
	.p2align	8
	.type	_ZL33flash_attn_stream_k_fixup_uniformILi128ELi32ELi2EEvPfPK15HIP_vector_typeIfLj2EEiiiiiiS1_IjLj3EES5_S5_,@function
_ZL33flash_attn_stream_k_fixup_uniformILi128ELi32ELi2EEvPfPK15HIP_vector_typeIfLj2EEiiiiiiS1_IjLj3EES5_S5_: ; @_ZL33flash_attn_stream_k_fixup_uniformILi128ELi32ELi2EEvPfPK15HIP_vector_typeIfLj2EEiiiiiiS1_IjLj3EES5_S5_
; %bb.0:
	s_clause 0x1
	s_load_b256 s[4:11], s[0:1], 0x1c
	s_load_b128 s[12:15], s[0:1], 0x3c
	s_wait_kmcnt 0x0
	s_mul_hi_u32 s2, s7, ttmp9
	s_delay_alu instid0(SALU_CYCLE_1) | instskip(NEXT) | instid1(SALU_CYCLE_1)
	s_add_co_i32 s2, ttmp9, s2
	s_lshr_b32 s2, s2, s8
	s_delay_alu instid0(SALU_CYCLE_1) | instskip(SKIP_2) | instid1(SALU_CYCLE_1)
	s_mul_i32 s3, s2, s9
	s_load_b64 s[8:9], s[0:1], 0x10
	s_sub_co_i32 s7, ttmp9, s3
	s_mul_hi_u32 s3, s7, s10
	s_delay_alu instid0(SALU_CYCLE_1) | instskip(NEXT) | instid1(SALU_CYCLE_1)
	s_add_co_i32 s3, s7, s3
	s_lshr_b32 s3, s3, s11
	s_delay_alu instid0(SALU_CYCLE_1) | instskip(NEXT) | instid1(SALU_CYCLE_1)
	s_mul_i32 s10, s3, s12
	s_sub_co_i32 s7, s7, s10
	s_delay_alu instid0(SALU_CYCLE_1) | instskip(NEXT) | instid1(SALU_CYCLE_1)
	s_mul_hi_u32 s10, s7, s13
	s_add_co_i32 s10, s7, s10
	s_delay_alu instid0(SALU_CYCLE_1) | instskip(NEXT) | instid1(SALU_CYCLE_1)
	s_lshr_b32 s12, s10, s14
	s_mul_i32 s10, s12, s15
	s_lshl_b32 s12, s12, 1
	s_sub_co_i32 s11, s7, s10
	s_and_b32 s7, ttmp7, 0xffff
	s_lshl_b32 s13, s11, 5
	s_lshr_b32 s10, ttmp7, 16
	s_add_co_i32 s13, s13, s7
	s_wait_kmcnt 0x0
	s_cmp_lt_i32 s13, s8
	s_cselect_b32 s13, -1, 0
	s_add_co_i32 s14, s12, s10
	s_delay_alu instid0(SALU_CYCLE_1) | instskip(SKIP_1) | instid1(SALU_CYCLE_1)
	s_cmp_lt_i32 s14, s5
	s_cselect_b32 s14, -1, 0
	s_and_b32 s13, s13, s14
	s_delay_alu instid0(SALU_CYCLE_1)
	s_and_not1_b32 vcc_lo, exec_lo, s13
	s_cbranch_vccnz .LBB35_6
; %bb.1:
	s_mul_i32 s2, s2, s8
	s_mul_i32 s5, s3, s5
	s_add_co_i32 s2, s2, s7
	s_delay_alu instid0(SALU_CYCLE_1) | instskip(NEXT) | instid1(SALU_CYCLE_1)
	s_mul_i32 s2, s2, s9
	s_add_co_i32 s8, s2, s10
	s_load_b128 s[0:3], s[0:1], 0x0
	s_add_co_i32 s5, s8, s5
	s_mul_i32 s8, s9, s11
	s_add_co_i32 s5, s5, s12
	s_lshl_b32 s8, s8, 12
	s_lshl_b32 s5, s5, 7
	s_delay_alu instid0(SALU_CYCLE_1)
	s_add_co_i32 s8, s8, s5
	s_lshl_b32 s5, s7, 1
	v_or_b32_e32 v1, s8, v0
	s_mul_i32 s8, s6, ttmp9
	s_wait_alu 0xfffe
	s_add_co_i32 s9, s8, s6
	s_wait_alu 0xfffe
	s_add_co_i32 s12, s9, -2
	v_ashrrev_i32_e32 v2, 31, v1
	s_delay_alu instid0(VALU_DEP_1) | instskip(SKIP_1) | instid1(VALU_DEP_1)
	v_lshlrev_b64_e32 v[1:2], 2, v[1:2]
	s_wait_kmcnt 0x0
	v_add_co_u32 v1, vcc_lo, s0, v1
	s_delay_alu instid0(VALU_DEP_1)
	v_add_co_ci_u32_e64 v2, null, s1, v2, vcc_lo
	s_add_co_i32 s0, s5, s10
	s_lshl_b32 s1, s9, 6
	global_load_b32 v5, v[1:2], off
	s_wait_alu 0xfffe
	s_add_co_i32 s0, s0, s1
	s_wait_alu 0xfffe
	s_sub_co_i32 s0, s0, 64
	s_wait_alu 0xfffe
	s_ashr_i32 s1, s0, 31
	s_wait_alu 0xfffe
	s_lshl_b64 s[0:1], s[0:1], 3
	s_cmp_lt_i32 s12, s8
	s_wait_alu 0xfffe
	s_add_nc_u64 s[0:1], s[2:3], s[0:1]
	s_load_b32 s11, s[0:1], 0x4
	s_cbranch_scc1 .LBB35_4
; %bb.2:
	s_load_b32 s0, s[0:1], 0x0
	s_add_co_i32 s13, ttmp9, 1
	s_lshl_b32 s12, s4, 8
	s_mul_i32 s1, s6, s13
	s_lshl_b32 s6, s7, 8
	s_lshl_b32 s7, s10, 7
	s_wait_alu 0xfffe
	s_lshl_b32 s14, s1, 13
	s_add_co_i32 s6, s7, s6
	s_lshl_b32 s1, s1, 6
	s_add_co_i32 s14, s6, s14
	s_wait_alu 0xfffe
	s_add_co_i32 s1, s10, s1
	v_or_b32_e32 v0, s14, v0
	s_lshl_b32 s4, s4, 6
	s_ashr_i32 s13, s12, 31
	s_wait_alu 0xfffe
	s_add_co_i32 s1, s1, s4
	s_wait_kmcnt 0x0
	v_dual_mov_b32 v6, s11 :: v_dual_add_nc_u32 v3, 0xffffc000, v0
	s_lshl_b64 s[6:7], s[12:13], 2
	s_wait_alu 0xfffe
	s_add_co_i32 s4, s1, s5
	s_add_nc_u64 s[6:7], s[2:3], s[6:7]
	s_add_co_i32 s1, s9, -1
	s_addk_co_i32 s4, 0xff80
.LBB35_3:                               ; =>This Inner Loop Header: Depth=1
	v_ashrrev_i32_e32 v4, 31, v3
	s_ashr_i32 s5, s4, 31
	v_mov_b32_e32 v10, v6
	s_lshl_b64 s[10:11], s[4:5], 3
	s_wait_loadcnt 0x0
	v_mov_b32_e32 v9, v5
	v_lshlrev_b64_e32 v[7:8], 2, v[3:4]
	s_wait_alu 0xfffe
	s_add_nc_u64 s[10:11], s[2:3], s[10:11]
	v_max_num_f32_e64 v4, s0, s0
	s_load_b64 s[10:11], s[10:11], 0x0
	v_add_nc_u32_e32 v3, 0xffffe000, v3
	v_add_co_u32 v7, vcc_lo, s6, v7
	s_wait_alu 0xfffd
	v_add_co_ci_u32_e64 v8, null, s7, v8, vcc_lo
	v_readfirstlane_b32 s5, v4
	global_load_b32 v0, v[7:8], off
	s_wait_kmcnt 0x0
	v_max_num_f32_e64 v4, s10, s10
	s_delay_alu instid0(VALU_DEP_1) | instskip(SKIP_1) | instid1(SALU_CYCLE_3)
	v_readfirstlane_b32 s9, v4
	s_max_num_f32 s5, s5, s9
	s_sub_f32 s0, s0, s5
	s_sub_f32 s9, s10, s5
	s_wait_alu 0xfffe
	s_delay_alu instid0(SALU_CYCLE_1) | instskip(NEXT) | instid1(SALU_CYCLE_1)
	s_mul_f32 s10, s0, 0x3fb8aa3b
	s_mul_f32 s12, s9, 0x3fb8aa3b
	s_wait_alu 0xfffe
	s_delay_alu instid0(SALU_CYCLE_1)
	s_xor_b32 s13, s10, 0x80000000
	s_rndne_f32 s14, s10
	s_fmamk_f32 s13, s0, 0x3fb8aa3b, s13
	s_cmp_nlt_f32 s0, 0xc2ce8ed0
	s_rndne_f32 s15, s12
	s_wait_alu 0xfffe
	s_sub_f32 s10, s10, s14
	s_fmamk_f32 s13, s0, 0x32a5705f, s13
	s_cvt_i32_f32 s14, s14
	s_cselect_b32 vcc_lo, -1, 0
	s_cmp_ngt_f32 s0, 0x42b17218
	s_wait_alu 0xfffe
	s_add_f32 s10, s10, s13
	s_sub_f32 s13, s12, s15
	s_wait_alu 0xfffe
	s_delay_alu instid0(SALU_CYCLE_1) | instskip(SKIP_1) | instid1(TRANS32_DEP_1)
	v_s_exp_f32 s10, s10
	s_wait_alu 0xf1ff
	v_ldexp_f32 v4, s10, s14
	s_cvt_i32_f32 s10, s15
	s_delay_alu instid0(VALU_DEP_1) | instskip(SKIP_3) | instid1(VALU_DEP_1)
	v_cndmask_b32_e32 v4, 0, v4, vcc_lo
	s_cselect_b32 vcc_lo, -1, 0
	s_cmp_ge_f32 s0, 0xc1a00000
	s_wait_alu 0xfffe
	v_cndmask_b32_e32 v4, 0x7f800000, v4, vcc_lo
	s_cselect_b32 vcc_lo, -1, 0
	s_xor_b32 s0, s12, 0x80000000
	s_cmp_nlt_f32 s9, 0xc2ce8ed0
	s_wait_alu 0xfffe
	s_fmamk_f32 s0, s9, 0x3fb8aa3b, s0
	s_wait_alu 0xfffe
	s_delay_alu instid0(SALU_CYCLE_2) | instskip(SKIP_1) | instid1(SALU_CYCLE_2)
	s_fmamk_f32 s0, s9, 0x32a5705f, s0
	s_wait_alu 0xfffe
	s_add_f32 s0, s13, s0
	s_wait_alu 0xfffe
	s_delay_alu instid0(SALU_CYCLE_2) | instskip(SKIP_1) | instid1(TRANS32_DEP_1)
	v_s_exp_f32 s0, s0
	s_wait_alu 0xf1ff
	v_ldexp_f32 v7, s0, s10
	s_cselect_b32 s0, -1, 0
	s_cmp_ngt_f32 s9, 0x42b17218
	s_wait_alu 0xfffe
	s_delay_alu instid0(VALU_DEP_1) | instskip(SKIP_3) | instid1(VALU_DEP_1)
	v_cndmask_b32_e64 v7, 0, v7, s0
	s_cselect_b32 s0, -1, 0
	s_cmp_ge_f32 s9, 0xc1a00000
	s_wait_alu 0xfffe
	v_cndmask_b32_e64 v7, 0x7f800000, v7, s0
	s_cselect_b32 s0, -1, 0
	s_add_co_i32 s1, s1, -1
	s_sub_co_i32 s4, s4, 64
	s_wait_alu 0xfffe
	s_cmp_le_i32 s1, s8
	v_cndmask_b32_e64 v7, 0, v7, s0
	s_mov_b32 s0, s5
	s_wait_loadcnt 0x0
	s_delay_alu instid0(VALU_DEP_1) | instskip(NEXT) | instid1(VALU_DEP_1)
	v_dual_mul_f32 v5, v0, v7 :: v_dual_cndmask_b32 v4, 0, v4
	v_dual_mul_f32 v8, s11, v7 :: v_dual_fmac_f32 v5, v9, v4
	s_delay_alu instid0(VALU_DEP_1) | instskip(NEXT) | instid1(VALU_DEP_1)
	v_mov_b32_e32 v6, v8
	v_fmac_f32_e32 v6, v10, v4
	s_cbranch_scc0 .LBB35_3
	s_branch .LBB35_5
.LBB35_4:
	s_wait_kmcnt 0x0
	v_mov_b32_e32 v6, s11
.LBB35_5:
	s_wait_loadcnt 0x0
	s_delay_alu instid0(VALU_DEP_1) | instskip(NEXT) | instid1(VALU_DEP_1)
	v_div_scale_f32 v0, null, v6, v6, v5
	v_rcp_f32_e32 v3, v0
	s_delay_alu instid0(TRANS32_DEP_1) | instskip(NEXT) | instid1(VALU_DEP_1)
	v_fma_f32 v4, -v0, v3, 1.0
	v_fmac_f32_e32 v3, v4, v3
	v_div_scale_f32 v4, vcc_lo, v5, v6, v5
	s_delay_alu instid0(VALU_DEP_1) | instskip(NEXT) | instid1(VALU_DEP_1)
	v_mul_f32_e32 v7, v4, v3
	v_fma_f32 v8, -v0, v7, v4
	s_delay_alu instid0(VALU_DEP_1) | instskip(NEXT) | instid1(VALU_DEP_1)
	v_fmac_f32_e32 v7, v8, v3
	v_fma_f32 v0, -v0, v7, v4
	s_wait_alu 0xfffd
	s_delay_alu instid0(VALU_DEP_1) | instskip(NEXT) | instid1(VALU_DEP_1)
	v_div_fmas_f32 v0, v0, v3, v7
	v_div_fixup_f32 v0, v0, v6, v5
	global_store_b32 v[1:2], v0, off
.LBB35_6:
	s_endpgm
	.section	.rodata,"a",@progbits
	.p2align	6, 0x0
	.amdhsa_kernel _ZL33flash_attn_stream_k_fixup_uniformILi128ELi32ELi2EEvPfPK15HIP_vector_typeIfLj2EEiiiiiiS1_IjLj3EES5_S5_
		.amdhsa_group_segment_fixed_size 0
		.amdhsa_private_segment_fixed_size 0
		.amdhsa_kernarg_size 76
		.amdhsa_user_sgpr_count 2
		.amdhsa_user_sgpr_dispatch_ptr 0
		.amdhsa_user_sgpr_queue_ptr 0
		.amdhsa_user_sgpr_kernarg_segment_ptr 1
		.amdhsa_user_sgpr_dispatch_id 0
		.amdhsa_user_sgpr_private_segment_size 0
		.amdhsa_wavefront_size32 1
		.amdhsa_uses_dynamic_stack 0
		.amdhsa_enable_private_segment 0
		.amdhsa_system_sgpr_workgroup_id_x 1
		.amdhsa_system_sgpr_workgroup_id_y 1
		.amdhsa_system_sgpr_workgroup_id_z 1
		.amdhsa_system_sgpr_workgroup_info 0
		.amdhsa_system_vgpr_workitem_id 0
		.amdhsa_next_free_vgpr 11
		.amdhsa_next_free_sgpr 16
		.amdhsa_reserve_vcc 1
		.amdhsa_float_round_mode_32 0
		.amdhsa_float_round_mode_16_64 0
		.amdhsa_float_denorm_mode_32 3
		.amdhsa_float_denorm_mode_16_64 3
		.amdhsa_fp16_overflow 0
		.amdhsa_workgroup_processor_mode 1
		.amdhsa_memory_ordered 1
		.amdhsa_forward_progress 1
		.amdhsa_inst_pref_size 9
		.amdhsa_round_robin_scheduling 0
		.amdhsa_exception_fp_ieee_invalid_op 0
		.amdhsa_exception_fp_denorm_src 0
		.amdhsa_exception_fp_ieee_div_zero 0
		.amdhsa_exception_fp_ieee_overflow 0
		.amdhsa_exception_fp_ieee_underflow 0
		.amdhsa_exception_fp_ieee_inexact 0
		.amdhsa_exception_int_div_zero 0
	.end_amdhsa_kernel
	.section	.text._ZL33flash_attn_stream_k_fixup_uniformILi128ELi32ELi2EEvPfPK15HIP_vector_typeIfLj2EEiiiiiiS1_IjLj3EES5_S5_,"axG",@progbits,_ZL33flash_attn_stream_k_fixup_uniformILi128ELi32ELi2EEvPfPK15HIP_vector_typeIfLj2EEiiiiiiS1_IjLj3EES5_S5_,comdat
.Lfunc_end35:
	.size	_ZL33flash_attn_stream_k_fixup_uniformILi128ELi32ELi2EEvPfPK15HIP_vector_typeIfLj2EEiiiiiiS1_IjLj3EES5_S5_, .Lfunc_end35-_ZL33flash_attn_stream_k_fixup_uniformILi128ELi32ELi2EEvPfPK15HIP_vector_typeIfLj2EEiiiiiiS1_IjLj3EES5_S5_
                                        ; -- End function
	.set _ZL33flash_attn_stream_k_fixup_uniformILi128ELi32ELi2EEvPfPK15HIP_vector_typeIfLj2EEiiiiiiS1_IjLj3EES5_S5_.num_vgpr, 11
	.set _ZL33flash_attn_stream_k_fixup_uniformILi128ELi32ELi2EEvPfPK15HIP_vector_typeIfLj2EEiiiiiiS1_IjLj3EES5_S5_.num_agpr, 0
	.set _ZL33flash_attn_stream_k_fixup_uniformILi128ELi32ELi2EEvPfPK15HIP_vector_typeIfLj2EEiiiiiiS1_IjLj3EES5_S5_.numbered_sgpr, 16
	.set _ZL33flash_attn_stream_k_fixup_uniformILi128ELi32ELi2EEvPfPK15HIP_vector_typeIfLj2EEiiiiiiS1_IjLj3EES5_S5_.num_named_barrier, 0
	.set _ZL33flash_attn_stream_k_fixup_uniformILi128ELi32ELi2EEvPfPK15HIP_vector_typeIfLj2EEiiiiiiS1_IjLj3EES5_S5_.private_seg_size, 0
	.set _ZL33flash_attn_stream_k_fixup_uniformILi128ELi32ELi2EEvPfPK15HIP_vector_typeIfLj2EEiiiiiiS1_IjLj3EES5_S5_.uses_vcc, 1
	.set _ZL33flash_attn_stream_k_fixup_uniformILi128ELi32ELi2EEvPfPK15HIP_vector_typeIfLj2EEiiiiiiS1_IjLj3EES5_S5_.uses_flat_scratch, 0
	.set _ZL33flash_attn_stream_k_fixup_uniformILi128ELi32ELi2EEvPfPK15HIP_vector_typeIfLj2EEiiiiiiS1_IjLj3EES5_S5_.has_dyn_sized_stack, 0
	.set _ZL33flash_attn_stream_k_fixup_uniformILi128ELi32ELi2EEvPfPK15HIP_vector_typeIfLj2EEiiiiiiS1_IjLj3EES5_S5_.has_recursion, 0
	.set _ZL33flash_attn_stream_k_fixup_uniformILi128ELi32ELi2EEvPfPK15HIP_vector_typeIfLj2EEiiiiiiS1_IjLj3EES5_S5_.has_indirect_call, 0
	.section	.AMDGPU.csdata,"",@progbits
; Kernel info:
; codeLenInByte = 1140
; TotalNumSgprs: 18
; NumVgprs: 11
; ScratchSize: 0
; MemoryBound: 0
; FloatMode: 240
; IeeeMode: 1
; LDSByteSize: 0 bytes/workgroup (compile time only)
; SGPRBlocks: 0
; VGPRBlocks: 1
; NumSGPRsForWavesPerEU: 18
; NumVGPRsForWavesPerEU: 11
; Occupancy: 16
; WaveLimiterHint : 0
; COMPUTE_PGM_RSRC2:SCRATCH_EN: 0
; COMPUTE_PGM_RSRC2:USER_SGPR: 2
; COMPUTE_PGM_RSRC2:TRAP_HANDLER: 0
; COMPUTE_PGM_RSRC2:TGID_X_EN: 1
; COMPUTE_PGM_RSRC2:TGID_Y_EN: 1
; COMPUTE_PGM_RSRC2:TGID_Z_EN: 1
; COMPUTE_PGM_RSRC2:TIDIG_COMP_CNT: 0
	.section	.text._ZL33flash_attn_stream_k_fixup_generalILi128ELi32ELi2EEvPfPK15HIP_vector_typeIfLj2EEiiiiS1_IjLj3EES5_S5_S5_,"axG",@progbits,_ZL33flash_attn_stream_k_fixup_generalILi128ELi32ELi2EEvPfPK15HIP_vector_typeIfLj2EEiiiiS1_IjLj3EES5_S5_S5_,comdat
	.globl	_ZL33flash_attn_stream_k_fixup_generalILi128ELi32ELi2EEvPfPK15HIP_vector_typeIfLj2EEiiiiS1_IjLj3EES5_S5_S5_ ; -- Begin function _ZL33flash_attn_stream_k_fixup_generalILi128ELi32ELi2EEvPfPK15HIP_vector_typeIfLj2EEiiiiS1_IjLj3EES5_S5_S5_
	.p2align	8
	.type	_ZL33flash_attn_stream_k_fixup_generalILi128ELi32ELi2EEvPfPK15HIP_vector_typeIfLj2EEiiiiS1_IjLj3EES5_S5_S5_,@function
_ZL33flash_attn_stream_k_fixup_generalILi128ELi32ELi2EEvPfPK15HIP_vector_typeIfLj2EEiiiiS1_IjLj3EES5_S5_S5_: ; @_ZL33flash_attn_stream_k_fixup_generalILi128ELi32ELi2EEvPfPK15HIP_vector_typeIfLj2EEiiiiS1_IjLj3EES5_S5_S5_
; %bb.0:
	s_clause 0x1
	s_load_b128 s[4:7], s[0:1], 0x10
	s_load_b32 s16, s[0:1], 0x50
	s_mov_b32 s2, ttmp9
	s_ashr_i32 s3, ttmp9, 31
	s_mov_b32 s17, 0
	s_delay_alu instid0(SALU_CYCLE_1) | instskip(SKIP_3) | instid1(SALU_CYCLE_1)
	s_mov_b32 s8, s17
	s_wait_kmcnt 0x0
	s_ashr_i32 s19, s7, 31
	s_mov_b32 s18, s7
	s_mul_u64 s[2:3], s[18:19], s[2:3]
	s_delay_alu instid0(SALU_CYCLE_1) | instskip(NEXT) | instid1(SALU_CYCLE_1)
	s_mov_b32 s9, s3
	s_cmp_lg_u64 s[8:9], 0
	s_cbranch_scc0 .LBB36_21
; %bb.1:
	s_add_nc_u64 s[8:9], s[16:17], 0
	s_mov_b32 s15, s17
	s_xor_b64 s[8:9], s[8:9], 0
	s_mov_b32 s23, s17
	s_cvt_f32_u32 s7, s8
	s_cvt_f32_u32 s10, s9
	s_sub_nc_u64 s[12:13], 0, s[8:9]
	s_delay_alu instid0(SALU_CYCLE_2) | instskip(NEXT) | instid1(SALU_CYCLE_3)
	s_fmamk_f32 s7, s10, 0x4f800000, s7
	v_s_rcp_f32 s7, s7
	s_delay_alu instid0(TRANS32_DEP_1) | instskip(SKIP_1) | instid1(SALU_CYCLE_2)
	s_mul_f32 s7, s7, 0x5f7ffffc
	s_wait_alu 0xfffe
	s_mul_f32 s10, s7, 0x2f800000
	s_delay_alu instid0(SALU_CYCLE_3) | instskip(NEXT) | instid1(SALU_CYCLE_3)
	s_trunc_f32 s10, s10
	s_fmamk_f32 s7, s10, 0xcf800000, s7
	s_cvt_u32_f32 s11, s10
	s_wait_alu 0xfffe
	s_delay_alu instid0(SALU_CYCLE_1) | instskip(NEXT) | instid1(SALU_CYCLE_3)
	s_cvt_u32_f32 s10, s7
	s_mul_u64 s[20:21], s[12:13], s[10:11]
	s_delay_alu instid0(SALU_CYCLE_1)
	s_mul_hi_u32 s25, s10, s21
	s_mul_i32 s24, s10, s21
	s_mul_hi_u32 s14, s10, s20
	s_mul_i32 s22, s11, s20
	s_add_nc_u64 s[14:15], s[14:15], s[24:25]
	s_mul_hi_u32 s7, s11, s20
	s_mul_hi_u32 s26, s11, s21
	s_add_co_u32 s14, s14, s22
	s_wait_alu 0xfffe
	s_add_co_ci_u32 s22, s15, s7
	s_mul_i32 s20, s11, s21
	s_add_co_ci_u32 s21, s26, 0
	s_delay_alu instid0(SALU_CYCLE_1)
	s_add_nc_u64 s[14:15], s[22:23], s[20:21]
	s_mov_b32 s21, s17
	s_add_co_u32 s10, s10, s14
	s_cselect_b32 s7, -1, 0
	s_wait_alu 0xfffe
	s_cmp_lg_u32 s7, 0
	s_add_co_ci_u32 s11, s11, s15
	s_mov_b32 s15, s17
	s_mul_u64 s[12:13], s[12:13], s[10:11]
	s_delay_alu instid0(SALU_CYCLE_1)
	s_mul_hi_u32 s23, s10, s13
	s_mul_i32 s22, s10, s13
	s_mul_hi_u32 s14, s10, s12
	s_mul_i32 s20, s11, s12
	s_add_nc_u64 s[14:15], s[14:15], s[22:23]
	s_mul_hi_u32 s7, s11, s12
	s_mul_hi_u32 s24, s11, s13
	s_mul_i32 s12, s11, s13
	s_add_co_u32 s13, s14, s20
	s_wait_alu 0xfffe
	s_add_co_ci_u32 s20, s15, s7
	s_add_co_ci_u32 s13, s24, 0
	s_mov_b32 s15, s17
	s_add_nc_u64 s[12:13], s[20:21], s[12:13]
	s_delay_alu instid0(SALU_CYCLE_1) | instskip(SKIP_1) | instid1(SALU_CYCLE_1)
	s_add_co_u32 s7, s10, s12
	s_cselect_b32 s10, -1, 0
	s_cmp_lg_u32 s10, 0
	s_add_co_ci_u32 s20, s11, s13
	s_ashr_i32 s10, s3, 31
	s_delay_alu instid0(SALU_CYCLE_1) | instskip(NEXT) | instid1(SALU_CYCLE_1)
	s_mov_b32 s11, s10
	s_add_nc_u64 s[12:13], s[2:3], s[10:11]
	s_delay_alu instid0(SALU_CYCLE_1) | instskip(NEXT) | instid1(SALU_CYCLE_1)
	s_xor_b64 s[12:13], s[12:13], s[10:11]
	s_mul_hi_u32 s23, s12, s20
	s_mul_i32 s22, s12, s20
	s_wait_alu 0xfffe
	s_mul_hi_u32 s14, s12, s7
	s_mul_hi_u32 s24, s13, s7
	s_mul_i32 s7, s13, s7
	s_add_nc_u64 s[14:15], s[14:15], s[22:23]
	s_mul_hi_u32 s3, s13, s20
	s_wait_alu 0xfffe
	s_add_co_u32 s7, s14, s7
	s_mul_i32 s22, s13, s20
	s_add_co_ci_u32 s20, s15, s24
	s_add_co_ci_u32 s23, s3, 0
	s_delay_alu instid0(SALU_CYCLE_1) | instskip(NEXT) | instid1(SALU_CYCLE_1)
	s_add_nc_u64 s[14:15], s[20:21], s[22:23]
	s_mul_u64 s[20:21], s[8:9], s[14:15]
	s_delay_alu instid0(SALU_CYCLE_1)
	s_sub_co_u32 s3, s12, s20
	s_cselect_b32 s7, -1, 0
	s_sub_co_i32 s12, s13, s21
	s_wait_alu 0xfffe
	s_cmp_lg_u32 s7, 0
	s_sub_co_ci_u32 s12, s12, s9
	s_sub_co_u32 s20, s3, s8
	s_cselect_b32 s22, -1, 0
	s_delay_alu instid0(SALU_CYCLE_1) | instskip(SKIP_2) | instid1(SALU_CYCLE_1)
	s_cmp_lg_u32 s22, 0
	s_add_nc_u64 s[22:23], s[14:15], 1
	s_sub_co_ci_u32 s12, s12, 0
	s_cmp_ge_u32 s12, s9
	s_cselect_b32 s24, -1, 0
	s_cmp_ge_u32 s20, s8
	s_cselect_b32 s20, -1, 0
	s_cmp_eq_u32 s12, s9
	s_cselect_b32 s12, s20, s24
	s_add_nc_u64 s[24:25], s[14:15], 2
	s_cmp_lg_u32 s12, 0
	s_cselect_b32 s12, s24, s22
	s_cselect_b32 s20, s25, s23
	s_cmp_lg_u32 s7, 0
	s_sub_co_ci_u32 s7, s13, s21
	s_wait_alu 0xfffe
	s_cmp_ge_u32 s7, s9
	s_cselect_b32 s13, -1, 0
	s_cmp_ge_u32 s3, s8
	s_cselect_b32 s3, -1, 0
	s_cmp_eq_u32 s7, s9
	s_cselect_b32 s3, s3, s13
	s_delay_alu instid0(SALU_CYCLE_1) | instskip(SKIP_4) | instid1(SALU_CYCLE_1)
	s_cmp_lg_u32 s3, 0
	s_mov_b32 s3, s17
	s_cselect_b32 s9, s20, s15
	s_cselect_b32 s8, s12, s14
	s_xor_b64 s[10:11], s[10:11], 0
	s_xor_b64 s[8:9], s[8:9], s[10:11]
	s_delay_alu instid0(SALU_CYCLE_1)
	s_sub_nc_u64 s[20:21], s[8:9], s[10:11]
	s_and_not1_b32 vcc_lo, exec_lo, s3
	s_cbranch_vccnz .LBB36_3
.LBB36_2:
	v_cvt_f32_u32_e32 v1, s16
	s_sub_co_i32 s7, 0, s16
	s_delay_alu instid0(VALU_DEP_1) | instskip(NEXT) | instid1(TRANS32_DEP_1)
	v_rcp_iflag_f32_e32 v1, v1
	v_mul_f32_e32 v1, 0x4f7ffffe, v1
	s_delay_alu instid0(VALU_DEP_1) | instskip(NEXT) | instid1(VALU_DEP_1)
	v_cvt_u32_f32_e32 v1, v1
	v_readfirstlane_b32 s3, v1
	s_wait_alu 0xfffe
	s_mul_i32 s7, s7, s3
	s_wait_alu 0xfffe
	s_mul_hi_u32 s7, s3, s7
	s_wait_alu 0xfffe
	s_add_co_i32 s3, s3, s7
	s_delay_alu instid0(SALU_CYCLE_1) | instskip(NEXT) | instid1(SALU_CYCLE_1)
	s_mul_hi_u32 s3, s2, s3
	s_mul_i32 s7, s3, s16
	s_wait_alu 0xfffe
	s_sub_co_i32 s2, s2, s7
	s_add_co_i32 s7, s3, 1
	s_sub_co_i32 s8, s2, s16
	s_cmp_ge_u32 s2, s16
	s_wait_alu 0xfffe
	s_cselect_b32 s3, s7, s3
	s_cselect_b32 s2, s8, s2
	s_add_co_i32 s7, s3, 1
	s_cmp_ge_u32 s2, s16
	s_wait_alu 0xfffe
	s_cselect_b32 s20, s7, s3
.LBB36_3:
	s_add_co_i32 s2, ttmp9, 1
	s_mov_b32 s8, 0
	s_ashr_i32 s3, s2, 31
	s_delay_alu instid0(SALU_CYCLE_1) | instskip(NEXT) | instid1(SALU_CYCLE_1)
	s_mul_u64 s[2:3], s[18:19], s[2:3]
	s_mov_b32 s9, s3
	s_delay_alu instid0(SALU_CYCLE_1)
	s_cmp_lg_u64 s[8:9], 0
	s_cbranch_scc0 .LBB36_22
; %bb.4:
	s_add_nc_u64 s[10:11], s[16:17], 0
	s_mov_b32 s23, s8
	s_xor_b64 s[10:11], s[10:11], 0
	s_mov_b32 s27, s8
	s_cvt_f32_u32 s7, s10
	s_cvt_f32_u32 s9, s11
	s_sub_nc_u64 s[14:15], 0, s[10:11]
	s_wait_alu 0xfffe
	s_delay_alu instid0(SALU_CYCLE_1) | instskip(SKIP_1) | instid1(SALU_CYCLE_2)
	s_fmamk_f32 s7, s9, 0x4f800000, s7
	s_wait_alu 0xfffe
	v_s_rcp_f32 s7, s7
	s_delay_alu instid0(TRANS32_DEP_1) | instskip(SKIP_1) | instid1(SALU_CYCLE_2)
	s_mul_f32 s7, s7, 0x5f7ffffc
	s_wait_alu 0xfffe
	s_mul_f32 s9, s7, 0x2f800000
	s_delay_alu instid0(SALU_CYCLE_3) | instskip(NEXT) | instid1(SALU_CYCLE_3)
	s_trunc_f32 s9, s9
	s_fmamk_f32 s7, s9, 0xcf800000, s7
	s_cvt_u32_f32 s13, s9
	s_wait_alu 0xfffe
	s_delay_alu instid0(SALU_CYCLE_1) | instskip(NEXT) | instid1(SALU_CYCLE_3)
	s_cvt_u32_f32 s12, s7
	s_mul_u64 s[24:25], s[14:15], s[12:13]
	s_delay_alu instid0(SALU_CYCLE_1)
	s_mul_hi_u32 s29, s12, s25
	s_mul_i32 s28, s12, s25
	s_mul_hi_u32 s22, s12, s24
	s_mul_i32 s9, s13, s24
	s_add_nc_u64 s[22:23], s[22:23], s[28:29]
	s_mul_hi_u32 s7, s13, s24
	s_mul_hi_u32 s21, s13, s25
	s_add_co_u32 s9, s22, s9
	s_wait_alu 0xfffe
	s_add_co_ci_u32 s26, s23, s7
	s_mul_i32 s24, s13, s25
	s_add_co_ci_u32 s25, s21, 0
	s_delay_alu instid0(SALU_CYCLE_1)
	s_add_nc_u64 s[22:23], s[26:27], s[24:25]
	s_mov_b32 s25, s8
	s_add_co_u32 s12, s12, s22
	s_cselect_b32 s7, -1, 0
	s_wait_alu 0xfffe
	s_cmp_lg_u32 s7, 0
	s_add_co_ci_u32 s13, s13, s23
	s_mov_b32 s23, s8
	s_mul_u64 s[14:15], s[14:15], s[12:13]
	s_delay_alu instid0(SALU_CYCLE_1)
	s_mul_hi_u32 s27, s12, s15
	s_mul_i32 s26, s12, s15
	s_mul_hi_u32 s22, s12, s14
	s_mul_i32 s9, s13, s14
	s_add_nc_u64 s[22:23], s[22:23], s[26:27]
	s_mul_hi_u32 s7, s13, s14
	s_mul_hi_u32 s21, s13, s15
	s_add_co_u32 s9, s22, s9
	s_wait_alu 0xfffe
	s_add_co_ci_u32 s24, s23, s7
	s_mul_i32 s14, s13, s15
	s_add_co_ci_u32 s15, s21, 0
	s_mov_b32 s23, s8
	s_add_nc_u64 s[14:15], s[24:25], s[14:15]
	s_delay_alu instid0(SALU_CYCLE_1) | instskip(SKIP_1) | instid1(SALU_CYCLE_1)
	s_add_co_u32 s7, s12, s14
	s_cselect_b32 s9, -1, 0
	s_cmp_lg_u32 s9, 0
	s_add_co_ci_u32 s9, s13, s15
	s_ashr_i32 s12, s3, 31
	s_delay_alu instid0(SALU_CYCLE_1) | instskip(NEXT) | instid1(SALU_CYCLE_1)
	s_mov_b32 s13, s12
	s_add_nc_u64 s[14:15], s[2:3], s[12:13]
	s_delay_alu instid0(SALU_CYCLE_1) | instskip(NEXT) | instid1(SALU_CYCLE_1)
	s_xor_b64 s[14:15], s[14:15], s[12:13]
	s_mul_hi_u32 s27, s14, s9
	s_mul_i32 s26, s14, s9
	s_wait_alu 0xfffe
	s_mul_hi_u32 s22, s14, s7
	s_mul_hi_u32 s21, s15, s7
	s_mul_i32 s7, s15, s7
	s_add_nc_u64 s[22:23], s[22:23], s[26:27]
	s_mul_hi_u32 s3, s15, s9
	s_wait_alu 0xfffe
	s_add_co_u32 s7, s22, s7
	s_add_co_ci_u32 s24, s23, s21
	s_mul_i32 s26, s15, s9
	s_add_co_ci_u32 s27, s3, 0
	s_delay_alu instid0(SALU_CYCLE_1) | instskip(NEXT) | instid1(SALU_CYCLE_1)
	s_add_nc_u64 s[22:23], s[24:25], s[26:27]
	s_mul_u64 s[24:25], s[10:11], s[22:23]
	s_add_nc_u64 s[26:27], s[22:23], 1
	s_sub_co_u32 s3, s14, s24
	s_cselect_b32 s7, -1, 0
	s_sub_co_i32 s9, s15, s25
	s_wait_alu 0xfffe
	s_cmp_lg_u32 s7, 0
	s_add_nc_u64 s[28:29], s[22:23], 2
	s_sub_co_ci_u32 s9, s9, s11
	s_sub_co_u32 s14, s3, s10
	s_cselect_b32 s21, -1, 0
	s_delay_alu instid0(SALU_CYCLE_1) | instskip(SKIP_1) | instid1(SALU_CYCLE_1)
	s_cmp_lg_u32 s21, 0
	s_sub_co_ci_u32 s9, s9, 0
	s_cmp_ge_u32 s9, s11
	s_cselect_b32 s21, -1, 0
	s_cmp_ge_u32 s14, s10
	s_cselect_b32 s14, -1, 0
	s_cmp_eq_u32 s9, s11
	s_cselect_b32 s9, s14, s21
	s_delay_alu instid0(SALU_CYCLE_1)
	s_cmp_lg_u32 s9, 0
	s_cselect_b32 s9, s28, s26
	s_cselect_b32 s14, s29, s27
	s_cmp_lg_u32 s7, 0
	s_sub_co_ci_u32 s7, s15, s25
	s_wait_alu 0xfffe
	s_cmp_ge_u32 s7, s11
	s_cselect_b32 s15, -1, 0
	s_cmp_ge_u32 s3, s10
	s_cselect_b32 s3, -1, 0
	s_cmp_eq_u32 s7, s11
	s_cselect_b32 s3, s3, s15
	s_delay_alu instid0(SALU_CYCLE_1) | instskip(SKIP_3) | instid1(SALU_CYCLE_1)
	s_cmp_lg_u32 s3, 0
	s_cselect_b32 s11, s14, s23
	s_cselect_b32 s10, s9, s22
	s_xor_b64 s[12:13], s[12:13], 0
	s_xor_b64 s[10:11], s[10:11], s[12:13]
	s_delay_alu instid0(SALU_CYCLE_1)
	s_sub_nc_u64 s[10:11], s[10:11], s[12:13]
	s_load_b96 s[12:14], s[0:1], 0x44
	s_and_not1_b32 vcc_lo, exec_lo, s8
	s_cbranch_vccnz .LBB36_6
.LBB36_5:
	v_cvt_f32_u32_e32 v1, s16
	s_sub_co_i32 s7, 0, s16
	s_delay_alu instid0(VALU_DEP_1) | instskip(NEXT) | instid1(TRANS32_DEP_1)
	v_rcp_iflag_f32_e32 v1, v1
	v_mul_f32_e32 v1, 0x4f7ffffe, v1
	s_delay_alu instid0(VALU_DEP_1) | instskip(NEXT) | instid1(VALU_DEP_1)
	v_cvt_u32_f32_e32 v1, v1
	v_readfirstlane_b32 s3, v1
	s_wait_alu 0xfffe
	s_mul_i32 s7, s7, s3
	s_wait_alu 0xfffe
	s_mul_hi_u32 s7, s3, s7
	s_wait_alu 0xfffe
	s_add_co_i32 s3, s3, s7
	s_delay_alu instid0(SALU_CYCLE_1) | instskip(NEXT) | instid1(SALU_CYCLE_1)
	s_mul_hi_u32 s3, s2, s3
	s_mul_i32 s7, s3, s16
	s_wait_alu 0xfffe
	s_sub_co_i32 s2, s2, s7
	s_add_co_i32 s7, s3, 1
	s_sub_co_i32 s8, s2, s16
	s_cmp_ge_u32 s2, s16
	s_wait_alu 0xfffe
	s_cselect_b32 s3, s7, s3
	s_cselect_b32 s2, s8, s2
	s_add_co_i32 s7, s3, 1
	s_cmp_ge_u32 s2, s16
	s_wait_alu 0xfffe
	s_cselect_b32 s10, s7, s3
.LBB36_6:
	s_mov_b32 s21, 0
	s_wait_kmcnt 0x0
	s_mov_b32 s22, s12
	s_mov_b32 s23, s21
	s_cmp_eq_u32 s20, s10
	s_mul_u64 s[2:3], s[20:21], s[22:23]
	s_cselect_b32 s7, -1, 0
	s_add_co_i32 s2, s3, s20
	s_mov_b32 s11, s21
	s_lshr_b32 s12, s2, s13
	s_mul_u64 s[2:3], s[10:11], s[22:23]
	s_mul_i32 s2, s12, s14
	s_delay_alu instid0(SALU_CYCLE_1) | instskip(SKIP_2) | instid1(SALU_CYCLE_1)
	s_cmp_eq_u32 s2, s20
	s_cselect_b32 s2, -1, 0
	s_add_co_i32 s3, s3, s10
	s_lshr_b32 s3, s3, s13
	s_delay_alu instid0(SALU_CYCLE_1)
	s_cmp_eq_u32 s12, s3
	s_mul_i32 s3, s3, s14
	s_cselect_b32 s8, -1, 0
	s_cmp_lg_u32 s3, s10
	s_cselect_b32 s3, -1, 0
	s_wait_alu 0xfffe
	s_or_b32 s2, s7, s2
	s_and_b32 s3, s8, s3
	s_delay_alu instid0(SALU_CYCLE_1) | instskip(NEXT) | instid1(SALU_CYCLE_1)
	s_or_b32 s2, s2, s3
	s_and_b32 vcc_lo, exec_lo, s2
	s_cbranch_vccnz .LBB36_24
; %bb.7:
	s_load_b256 s[24:31], s[0:1], 0x20
	s_mov_b32 s3, s21
	s_wait_kmcnt 0x0
	s_mov_b32 s2, s24
	s_delay_alu instid0(SALU_CYCLE_1) | instskip(NEXT) | instid1(SALU_CYCLE_1)
	s_mul_u64 s[2:3], s[20:21], s[2:3]
	s_add_co_i32 s2, s3, s20
	s_delay_alu instid0(SALU_CYCLE_1) | instskip(SKIP_2) | instid1(SALU_CYCLE_1)
	s_lshr_b32 s7, s2, s25
	s_load_b32 s2, s[0:1], 0x40
	s_mul_i32 s3, s7, s26
	s_sub_co_i32 s3, s20, s3
	s_delay_alu instid0(SALU_CYCLE_1) | instskip(NEXT) | instid1(SALU_CYCLE_1)
	s_mul_hi_u32 s8, s3, s27
	s_add_co_i32 s8, s3, s8
	s_delay_alu instid0(SALU_CYCLE_1) | instskip(NEXT) | instid1(SALU_CYCLE_1)
	s_lshr_b32 s8, s8, s28
	s_mul_i32 s9, s8, s29
	s_delay_alu instid0(SALU_CYCLE_1) | instskip(NEXT) | instid1(SALU_CYCLE_1)
	s_sub_co_i32 s9, s3, s9
	s_mul_hi_u32 s3, s9, s30
	s_delay_alu instid0(SALU_CYCLE_1) | instskip(NEXT) | instid1(SALU_CYCLE_1)
	s_add_co_i32 s3, s9, s3
	s_lshr_b32 s24, s3, s31
	s_mov_b32 s3, s21
	s_wait_kmcnt 0x0
	s_mul_i32 s2, s24, s2
	s_lshl_b32 s21, s24, 1
	s_sub_co_i32 s2, s9, s2
	s_delay_alu instid0(SALU_CYCLE_1) | instskip(SKIP_2) | instid1(SALU_CYCLE_1)
	s_mul_u64 s[10:11], s[2:3], s[22:23]
	s_lshr_b32 s3, ttmp7, 16
	s_add_co_i32 s2, s2, s11
	s_lshr_b32 s15, s2, s13
	s_and_b32 s2, ttmp7, 0xffff
	s_lshl_b32 s9, s15, 5
	s_delay_alu instid0(SALU_CYCLE_1) | instskip(NEXT) | instid1(SALU_CYCLE_1)
	s_add_co_i32 s9, s9, s2
	s_cmp_lt_i32 s9, s4
	s_cselect_b32 s9, -1, 0
	s_add_co_i32 s10, s21, s3
	s_delay_alu instid0(SALU_CYCLE_1) | instskip(SKIP_1) | instid1(SALU_CYCLE_1)
	s_cmp_lt_i32 s10, s6
	s_cselect_b32 s10, -1, 0
	s_and_b32 s9, s9, s10
	s_delay_alu instid0(SALU_CYCLE_1)
	s_and_not1_b32 vcc_lo, exec_lo, s9
	s_cbranch_vccnz .LBB36_24
; %bb.8:
	s_mul_i32 s4, s7, s4
	s_mul_i32 s6, s8, s6
	s_add_co_i32 s4, s4, s2
	s_load_b128 s[8:11], s[0:1], 0x0
	s_mul_i32 s4, s4, s5
	s_mul_i32 s1, s5, s15
	s_add_co_i32 s4, s4, s3
	s_lshl_b32 s1, s1, 12
	s_add_co_i32 s0, s4, s6
	s_lshl_b32 s15, s2, 1
	s_add_co_i32 s0, s0, s21
	s_add_co_i32 s15, s15, s3
	s_lshl_b32 s0, s0, 7
	v_cvt_f32_u32_e32 v4, s16
	s_add_co_i32 s1, s1, s0
	s_add_co_i32 s34, ttmp9, -1
	v_or_b32_e32 v1, s1, v0
	s_add_nc_u64 s[0:1], s[16:17], 0
	v_rcp_iflag_f32_e32 v4, v4
	s_wait_alu 0xfffe
	s_xor_b64 s[6:7], s[0:1], 0
	s_lshl_b32 s0, ttmp9, 6
	v_ashrrev_i32_e32 v2, 31, v1
	s_wait_alu 0xfffe
	s_cvt_f32_u32 s1, s6
	s_cvt_f32_u32 s2, s7
	s_add_co_i32 s0, s15, s0
	v_lshl_or_b32 v0, s15, 7, v0
	v_lshlrev_b64_e32 v[1:2], 2, v[1:2]
	s_wait_alu 0xfffe
	s_fmamk_f32 s2, s2, 0x4f800000, s1
	s_ashr_i32 s1, s0, 31
	s_sub_nc_u64 s[30:31], 0, s[6:7]
	s_wait_alu 0xfffe
	s_lshl_b64 s[0:1], s[0:1], 3
	v_s_rcp_f32 s2, s2
	s_wait_kmcnt 0x0
	v_add_co_u32 v1, vcc_lo, s8, v1
	s_delay_alu instid0(VALU_DEP_1)
	v_add_co_ci_u32_e64 v2, null, s9, v2, vcc_lo
	s_wait_alu 0xfffe
	s_add_nc_u64 s[0:1], s[10:11], s[0:1]
	s_mov_b32 s8, 0
	s_load_b64 s[26:27], s[0:1], 0x0
	global_load_b32 v3, v[1:2], off
	s_mul_f32 s2, s2, 0x5f7ffffc
	v_mul_f32_e32 v4, 0x4f7ffffe, v4
	s_lshl_b32 s0, s16, 8
	s_wait_alu 0xfffe
	s_mul_f32 s1, s2, 0x2f800000
	s_wait_alu 0xfffe
	s_delay_alu instid0(SALU_CYCLE_2)
	s_trunc_f32 s3, s1
	s_mov_b32 s1, s8
	s_wait_alu 0xfffe
	s_lshl_b64 s[0:1], s[0:1], 2
	s_fmamk_f32 s2, s3, 0xcf800000, s2
	s_cvt_u32_f32 s29, s3
	s_wait_alu 0xfffe
	s_add_nc_u64 s[24:25], s[10:11], s[0:1]
	s_cvt_u32_f32 s28, s2
	s_wait_kmcnt 0x0
	v_mov_b32_e32 v5, s27
	v_cvt_u32_f32_e32 v4, v4
.LBB36_9:                               ; =>This Inner Loop Header: Depth=1
	s_wait_alu 0xfffe
	s_ashr_i32 s35, s34, 31
	s_mov_b32 s2, -1
	s_wait_alu 0xfffe
	s_mul_u64 s[0:1], s[34:35], s[18:19]
                                        ; implicit-def: $sgpr38_sgpr39
	s_wait_alu 0xfffe
	s_mov_b32 s9, s1
	s_wait_alu 0xfffe
	s_cmp_lg_u64 s[8:9], 0
	s_cbranch_scc0 .LBB36_11
; %bb.10:                               ;   in Loop: Header=BB36_9 Depth=1
	s_mul_u64 s[2:3], s[30:31], s[28:29]
	s_mov_b32 s37, s8
	s_wait_alu 0xfffe
	s_mul_hi_u32 s5, s28, s3
	s_mul_i32 s4, s28, s3
	s_mul_hi_u32 s36, s28, s2
	s_mul_hi_u32 s9, s29, s2
	s_wait_alu 0xfffe
	s_add_nc_u64 s[4:5], s[36:37], s[4:5]
	s_mul_i32 s2, s29, s2
	s_mul_hi_u32 s17, s29, s3
	s_wait_alu 0xfffe
	s_add_co_u32 s2, s4, s2
	s_add_co_ci_u32 s2, s5, s9
	s_add_co_ci_u32 s5, s17, 0
	s_mul_i32 s4, s29, s3
	s_mov_b32 s3, s8
	s_mov_b32 s39, s8
	s_wait_alu 0xfffe
	s_add_nc_u64 s[2:3], s[2:3], s[4:5]
	s_wait_alu 0xfffe
	s_add_co_u32 s2, s28, s2
	s_cselect_b32 s4, -1, 0
	s_wait_alu 0xfffe
	s_cmp_lg_u32 s4, 0
	s_add_co_ci_u32 s3, s29, s3
	s_wait_alu 0xfffe
	s_mul_u64 s[4:5], s[30:31], s[2:3]
	s_wait_alu 0xfffe
	s_mul_hi_u32 s37, s2, s5
	s_mul_i32 s36, s2, s5
	s_mul_hi_u32 s38, s2, s4
	s_mul_hi_u32 s9, s3, s4
	s_mul_i32 s4, s3, s4
	s_wait_alu 0xfffe
	s_add_nc_u64 s[36:37], s[38:39], s[36:37]
	s_mul_hi_u32 s17, s3, s5
	s_wait_alu 0xfffe
	s_add_co_u32 s4, s36, s4
	s_add_co_ci_u32 s4, s37, s9
	s_add_co_ci_u32 s37, s17, 0
	s_mul_i32 s36, s3, s5
	s_mov_b32 s5, s8
	s_wait_alu 0xfffe
	s_add_nc_u64 s[4:5], s[4:5], s[36:37]
	s_mov_b32 s37, s8
	s_wait_alu 0xfffe
	s_add_co_u32 s9, s2, s4
	s_cselect_b32 s2, -1, 0
	s_wait_alu 0xfffe
	s_cmp_lg_u32 s2, 0
	s_add_co_ci_u32 s17, s3, s5
	s_ashr_i32 s2, s1, 31
	s_wait_alu 0xfffe
	s_mov_b32 s3, s2
	s_wait_alu 0xfffe
	s_add_nc_u64 s[4:5], s[0:1], s[2:3]
	s_wait_alu 0xfffe
	s_xor_b64 s[4:5], s[4:5], s[2:3]
	s_wait_alu 0xfffe
	s_mul_hi_u32 s39, s4, s17
	s_mul_i32 s38, s4, s17
	s_mul_hi_u32 s36, s4, s9
	s_mul_i32 s21, s5, s9
	s_wait_alu 0xfffe
	s_add_nc_u64 s[36:37], s[36:37], s[38:39]
	s_mul_hi_u32 s9, s5, s9
	s_mul_hi_u32 s1, s5, s17
	s_wait_alu 0xfffe
	s_add_co_u32 s21, s36, s21
	s_add_co_ci_u32 s36, s37, s9
	s_add_co_ci_u32 s39, s1, 0
	s_mul_i32 s38, s5, s17
	s_mov_b32 s37, s8
	s_wait_alu 0xfffe
	s_add_nc_u64 s[36:37], s[36:37], s[38:39]
	s_wait_alu 0xfffe
	s_mul_u64 s[38:39], s[6:7], s[36:37]
	s_add_nc_u64 s[40:41], s[36:37], 1
	s_sub_co_u32 s1, s4, s38
	s_cselect_b32 s4, -1, 0
	s_sub_co_i32 s9, s5, s39
	s_wait_alu 0xfffe
	s_cmp_lg_u32 s4, 0
	s_add_nc_u64 s[42:43], s[36:37], 2
	s_sub_co_ci_u32 s9, s9, s7
	s_sub_co_u32 s17, s1, s6
	s_cselect_b32 s21, -1, 0
	s_delay_alu instid0(SALU_CYCLE_1)
	s_cmp_lg_u32 s21, 0
	s_wait_alu 0xfffe
	s_sub_co_ci_u32 s9, s9, 0
	s_wait_alu 0xfffe
	s_cmp_ge_u32 s9, s7
	s_cselect_b32 s21, -1, 0
	s_cmp_ge_u32 s17, s6
	s_cselect_b32 s17, -1, 0
	s_cmp_eq_u32 s9, s7
	s_wait_alu 0xfffe
	s_cselect_b32 s9, s17, s21
	s_wait_alu 0xfffe
	s_cmp_lg_u32 s9, 0
	s_cselect_b32 s9, s42, s40
	s_cselect_b32 s17, s43, s41
	s_cmp_lg_u32 s4, 0
	s_sub_co_ci_u32 s4, s5, s39
	s_wait_alu 0xfffe
	s_cmp_ge_u32 s4, s7
	s_cselect_b32 s5, -1, 0
	s_cmp_ge_u32 s1, s6
	s_cselect_b32 s1, -1, 0
	s_cmp_eq_u32 s4, s7
	s_wait_alu 0xfffe
	s_cselect_b32 s1, s1, s5
	s_wait_alu 0xfffe
	s_cmp_lg_u32 s1, 0
	s_cselect_b32 s5, s17, s37
	s_cselect_b32 s4, s9, s36
	s_xor_b64 s[2:3], s[2:3], 0
	s_wait_alu 0xfffe
	s_xor_b64 s[4:5], s[4:5], s[2:3]
	s_wait_alu 0xfffe
	s_sub_nc_u64 s[38:39], s[4:5], s[2:3]
	s_mov_b32 s2, 0
.LBB36_11:                              ;   in Loop: Header=BB36_9 Depth=1
	s_wait_alu 0xfffe
	s_and_not1_b32 vcc_lo, exec_lo, s2
	s_wait_alu 0xfffe
	s_cbranch_vccnz .LBB36_13
; %bb.12:                               ;   in Loop: Header=BB36_9 Depth=1
	v_readfirstlane_b32 s1, v4
	s_sub_co_i32 s2, 0, s16
	s_wait_alu 0xfffe
	s_mul_i32 s2, s2, s1
	s_wait_alu 0xfffe
	s_mul_hi_u32 s2, s1, s2
	s_wait_alu 0xfffe
	s_add_co_i32 s1, s1, s2
	s_wait_alu 0xfffe
	s_mul_hi_u32 s1, s0, s1
	s_wait_alu 0xfffe
	s_mul_i32 s2, s1, s16
	s_wait_alu 0xfffe
	s_sub_co_i32 s0, s0, s2
	s_add_co_i32 s2, s1, 1
	s_wait_alu 0xfffe
	s_sub_co_i32 s3, s0, s16
	s_cmp_ge_u32 s0, s16
	s_cselect_b32 s1, s2, s1
	s_wait_alu 0xfffe
	s_cselect_b32 s0, s3, s0
	s_add_co_i32 s2, s1, 1
	s_wait_alu 0xfffe
	s_cmp_ge_u32 s0, s16
	s_cselect_b32 s38, s2, s1
.LBB36_13:                              ;   in Loop: Header=BB36_9 Depth=1
	v_readfirstlane_b32 s9, v0
	s_cmp_lg_u32 s20, s38
	s_mov_b32 s0, -1
                                        ; implicit-def: $sgpr21
                                        ; implicit-def: $vgpr6
                                        ; implicit-def: $vgpr7
                                        ; implicit-def: $sgpr17
                                        ; implicit-def: $sgpr27
	s_cbranch_scc1 .LBB36_16
; %bb.14:                               ;   in Loop: Header=BB36_9 Depth=1
	s_wait_alu 0xfffe
	s_and_not1_b32 vcc_lo, exec_lo, s0
	s_wait_alu 0xfffe
	s_cbranch_vccz .LBB36_19
.LBB36_15:                              ;   in Loop: Header=BB36_9 Depth=1
	s_and_not1_b32 vcc_lo, exec_lo, s21
	s_wait_alu 0xfffe
	s_cbranch_vccnz .LBB36_20
	s_branch .LBB36_23
.LBB36_16:                              ;   in Loop: Header=BB36_9 Depth=1
	s_add_co_i32 s0, s34, s16
	s_mov_b32 s1, s8
	s_wait_alu 0xfffe
	s_lshl_b32 s0, s0, 6
	v_max_num_f32_e64 v6, s26, s26
	s_wait_alu 0xfffe
	s_add_co_i32 s0, s0, s15
	s_mov_b32 s39, s8
	s_wait_alu 0xfffe
	s_lshl_b64 s[0:1], s[0:1], 3
	s_mul_u64 s[40:41], s[38:39], s[22:23]
	s_wait_alu 0xfffe
	s_add_nc_u64 s[0:1], s[10:11], s[0:1]
	s_mov_b32 s27, s20
	s_load_b64 s[36:37], s[0:1], 0x0
	v_readfirstlane_b32 s0, v6
	s_wait_kmcnt 0x0
	v_max_num_f32_e64 v7, s36, s36
	s_delay_alu instid0(VALU_DEP_1) | instskip(SKIP_2) | instid1(SALU_CYCLE_2)
	v_readfirstlane_b32 s1, v7
	s_max_num_f32 s9, s0, s1
	s_wait_alu 0xfffe
	s_sub_f32 s33, s26, s9
	s_sub_f32 s35, s36, s9
	s_wait_alu 0xfffe
	s_delay_alu instid0(SALU_CYCLE_1)
	s_cmp_nlt_f32 s33, 0xc2ce8ed0
	s_cselect_b32 s0, -1, 0
	s_cmp_ngt_f32 s33, 0x42b17218
	s_cselect_b32 s1, -1, 0
	s_cmp_ge_f32 s33, 0xc1a00000
	s_cselect_b32 s2, -1, 0
	s_cmp_nlt_f32 s35, 0xc2ce8ed0
	s_cselect_b32 s3, -1, 0
	s_cmp_ngt_f32 s35, 0x42b17218
	s_cselect_b32 s4, -1, 0
	s_cmp_ge_f32 s35, 0xc1a00000
	s_cselect_b32 s5, -1, 0
	s_add_co_i32 s17, s41, s38
	s_wait_alu 0xfffe
	s_lshr_b32 s17, s17, s13
	s_wait_alu 0xfffe
	s_mul_i32 s21, s17, s14
	s_delay_alu instid0(SALU_CYCLE_1)
	s_cmp_eq_u32 s21, s38
	s_cselect_b32 s21, -1, 0
	s_cmp_lt_u32 s17, s12
	s_cselect_b32 s17, -1, 0
	s_wait_alu 0xfffe
	s_or_b32 s17, s17, s21
	s_mov_b32 s21, -1
	s_wait_alu 0xfffe
	s_and_b32 vcc_lo, exec_lo, s17
	s_mov_b32 s17, s34
	s_wait_alu 0xfffe
	s_cbranch_vccnz .LBB36_18
; %bb.17:                               ;   in Loop: Header=BB36_9 Depth=1
	s_add_co_i32 s17, s34, -1
	s_mov_b32 s21, 0
	s_mov_b32 s27, s38
.LBB36_18:                              ;   in Loop: Header=BB36_9 Depth=1
	v_lshl_add_u32 v6, s34, 13, v0
	s_mul_f32 s36, s35, 0x3fb8aa3b
	s_mul_f32 s38, s33, 0x3fb8aa3b
	s_wait_alu 0xfffe
	s_delay_alu instid0(SALU_CYCLE_1)
	s_xor_b32 s39, s36, 0x80000000
	v_ashrrev_i32_e32 v7, 31, v6
	s_rndne_f32 s40, s36
	s_fmamk_f32 s39, s35, 0x3fb8aa3b, s39
	s_xor_b32 s41, s38, 0x80000000
	s_rndne_f32 s42, s38
	v_lshlrev_b64_e32 v[6:7], 2, v[6:7]
	s_sub_f32 s36, s36, s40
	s_fmamk_f32 s35, s35, 0x32a5705f, s39
	s_fmamk_f32 s39, s33, 0x3fb8aa3b, s41
	s_sub_f32 s38, s38, s42
	s_delay_alu instid0(VALU_DEP_1)
	v_add_co_u32 v6, vcc_lo, s24, v6
	s_wait_alu 0xfffd
	v_add_co_ci_u32_e64 v7, null, s25, v7, vcc_lo
	s_wait_alu 0xfffe
	s_add_f32 s35, s36, s35
	s_fmamk_f32 s33, s33, 0x32a5705f, s39
	s_cvt_i32_f32 s36, s40
	global_load_b32 v6, v[6:7], off
	s_wait_alu 0xfffe
	v_s_exp_f32 s35, s35
	s_add_f32 s33, s38, s33
	s_wait_alu 0xfffe
	s_delay_alu instid0(SALU_CYCLE_2) | instskip(NEXT) | instid1(TRANS32_DEP_2)
	v_s_exp_f32 s33, s33
	v_ldexp_f32 v7, s35, s36
	s_cvt_i32_f32 s35, s42
	s_wait_alu 0xf1fe
	s_delay_alu instid0(TRANS32_DEP_1) | instid1(SALU_CYCLE_2)
	v_ldexp_f32 v8, s33, s35
	s_delay_alu instid0(VALU_DEP_2) | instskip(NEXT) | instid1(VALU_DEP_2)
	v_cndmask_b32_e64 v7, 0, v7, s3
	v_cndmask_b32_e64 v8, 0, v8, s0
	s_delay_alu instid0(VALU_DEP_2) | instskip(NEXT) | instid1(VALU_DEP_2)
	v_cndmask_b32_e64 v7, 0x7f800000, v7, s4
	v_cndmask_b32_e64 v8, 0x7f800000, v8, s1
	;; [unrolled: 3-line block ×3, first 2 shown]
	s_wait_loadcnt 0x0
	s_delay_alu instid0(VALU_DEP_2) | instskip(SKIP_1) | instid1(VALU_DEP_1)
	v_mul_f32_e32 v6, v6, v7
	v_mul_f32_e32 v7, s37, v7
	v_fmac_f32_e32 v7, v5, v8
	s_delay_alu instid0(VALU_DEP_3)
	v_fmac_f32_e32 v6, v3, v8
	s_cbranch_execnz .LBB36_15
.LBB36_19:                              ;   in Loop: Header=BB36_9 Depth=1
	s_wait_loadcnt 0x0
	v_dual_mov_b32 v7, v5 :: v_dual_mov_b32 v6, v3
	s_add_co_i32 s17, s34, -1
	s_mov_b32 s27, s20
	s_mov_b32 s9, s26
	s_cbranch_execz .LBB36_23
.LBB36_20:                              ;   in Loop: Header=BB36_9 Depth=1
	v_mov_b32_e32 v5, v7
	s_wait_loadcnt 0x0
	v_mov_b32_e32 v3, v6
	s_wait_alu 0xfffe
	s_mov_b32 s20, s27
	s_mov_b32 s34, s17
	;; [unrolled: 1-line block ×3, first 2 shown]
	s_branch .LBB36_9
.LBB36_21:
                                        ; implicit-def: $sgpr20_sgpr21
	s_branch .LBB36_2
.LBB36_22:
                                        ; implicit-def: $sgpr10_sgpr11
	s_load_b96 s[12:14], s[0:1], 0x44
	s_branch .LBB36_5
.LBB36_23:
	v_div_scale_f32 v0, null, v7, v7, v6
	s_wait_loadcnt 0x0
	s_delay_alu instid0(VALU_DEP_1) | instskip(NEXT) | instid1(TRANS32_DEP_1)
	v_rcp_f32_e32 v3, v0
	v_fma_f32 v4, -v0, v3, 1.0
	s_delay_alu instid0(VALU_DEP_1) | instskip(SKIP_1) | instid1(VALU_DEP_1)
	v_fmac_f32_e32 v3, v4, v3
	v_div_scale_f32 v4, vcc_lo, v6, v7, v6
	v_mul_f32_e32 v5, v4, v3
	s_delay_alu instid0(VALU_DEP_1) | instskip(NEXT) | instid1(VALU_DEP_1)
	v_fma_f32 v8, -v0, v5, v4
	v_fmac_f32_e32 v5, v8, v3
	s_delay_alu instid0(VALU_DEP_1) | instskip(SKIP_1) | instid1(VALU_DEP_1)
	v_fma_f32 v0, -v0, v5, v4
	s_wait_alu 0xfffd
	v_div_fmas_f32 v0, v0, v3, v5
	s_delay_alu instid0(VALU_DEP_1)
	v_div_fixup_f32 v0, v0, v7, v6
	global_store_b32 v[1:2], v0, off
.LBB36_24:
	s_endpgm
	.section	.rodata,"a",@progbits
	.p2align	6, 0x0
	.amdhsa_kernel _ZL33flash_attn_stream_k_fixup_generalILi128ELi32ELi2EEvPfPK15HIP_vector_typeIfLj2EEiiiiS1_IjLj3EES5_S5_S5_
		.amdhsa_group_segment_fixed_size 0
		.amdhsa_private_segment_fixed_size 0
		.amdhsa_kernarg_size 336
		.amdhsa_user_sgpr_count 2
		.amdhsa_user_sgpr_dispatch_ptr 0
		.amdhsa_user_sgpr_queue_ptr 0
		.amdhsa_user_sgpr_kernarg_segment_ptr 1
		.amdhsa_user_sgpr_dispatch_id 0
		.amdhsa_user_sgpr_private_segment_size 0
		.amdhsa_wavefront_size32 1
		.amdhsa_uses_dynamic_stack 0
		.amdhsa_enable_private_segment 0
		.amdhsa_system_sgpr_workgroup_id_x 1
		.amdhsa_system_sgpr_workgroup_id_y 1
		.amdhsa_system_sgpr_workgroup_id_z 1
		.amdhsa_system_sgpr_workgroup_info 0
		.amdhsa_system_vgpr_workitem_id 0
		.amdhsa_next_free_vgpr 9
		.amdhsa_next_free_sgpr 44
		.amdhsa_reserve_vcc 1
		.amdhsa_float_round_mode_32 0
		.amdhsa_float_round_mode_16_64 0
		.amdhsa_float_denorm_mode_32 3
		.amdhsa_float_denorm_mode_16_64 3
		.amdhsa_fp16_overflow 0
		.amdhsa_workgroup_processor_mode 1
		.amdhsa_memory_ordered 1
		.amdhsa_forward_progress 1
		.amdhsa_inst_pref_size 28
		.amdhsa_round_robin_scheduling 0
		.amdhsa_exception_fp_ieee_invalid_op 0
		.amdhsa_exception_fp_denorm_src 0
		.amdhsa_exception_fp_ieee_div_zero 0
		.amdhsa_exception_fp_ieee_overflow 0
		.amdhsa_exception_fp_ieee_underflow 0
		.amdhsa_exception_fp_ieee_inexact 0
		.amdhsa_exception_int_div_zero 0
	.end_amdhsa_kernel
	.section	.text._ZL33flash_attn_stream_k_fixup_generalILi128ELi32ELi2EEvPfPK15HIP_vector_typeIfLj2EEiiiiS1_IjLj3EES5_S5_S5_,"axG",@progbits,_ZL33flash_attn_stream_k_fixup_generalILi128ELi32ELi2EEvPfPK15HIP_vector_typeIfLj2EEiiiiS1_IjLj3EES5_S5_S5_,comdat
.Lfunc_end36:
	.size	_ZL33flash_attn_stream_k_fixup_generalILi128ELi32ELi2EEvPfPK15HIP_vector_typeIfLj2EEiiiiS1_IjLj3EES5_S5_S5_, .Lfunc_end36-_ZL33flash_attn_stream_k_fixup_generalILi128ELi32ELi2EEvPfPK15HIP_vector_typeIfLj2EEiiiiS1_IjLj3EES5_S5_S5_
                                        ; -- End function
	.set _ZL33flash_attn_stream_k_fixup_generalILi128ELi32ELi2EEvPfPK15HIP_vector_typeIfLj2EEiiiiS1_IjLj3EES5_S5_S5_.num_vgpr, 9
	.set _ZL33flash_attn_stream_k_fixup_generalILi128ELi32ELi2EEvPfPK15HIP_vector_typeIfLj2EEiiiiS1_IjLj3EES5_S5_S5_.num_agpr, 0
	.set _ZL33flash_attn_stream_k_fixup_generalILi128ELi32ELi2EEvPfPK15HIP_vector_typeIfLj2EEiiiiS1_IjLj3EES5_S5_S5_.numbered_sgpr, 44
	.set _ZL33flash_attn_stream_k_fixup_generalILi128ELi32ELi2EEvPfPK15HIP_vector_typeIfLj2EEiiiiS1_IjLj3EES5_S5_S5_.num_named_barrier, 0
	.set _ZL33flash_attn_stream_k_fixup_generalILi128ELi32ELi2EEvPfPK15HIP_vector_typeIfLj2EEiiiiS1_IjLj3EES5_S5_S5_.private_seg_size, 0
	.set _ZL33flash_attn_stream_k_fixup_generalILi128ELi32ELi2EEvPfPK15HIP_vector_typeIfLj2EEiiiiS1_IjLj3EES5_S5_S5_.uses_vcc, 1
	.set _ZL33flash_attn_stream_k_fixup_generalILi128ELi32ELi2EEvPfPK15HIP_vector_typeIfLj2EEiiiiS1_IjLj3EES5_S5_S5_.uses_flat_scratch, 0
	.set _ZL33flash_attn_stream_k_fixup_generalILi128ELi32ELi2EEvPfPK15HIP_vector_typeIfLj2EEiiiiS1_IjLj3EES5_S5_S5_.has_dyn_sized_stack, 0
	.set _ZL33flash_attn_stream_k_fixup_generalILi128ELi32ELi2EEvPfPK15HIP_vector_typeIfLj2EEiiiiS1_IjLj3EES5_S5_S5_.has_recursion, 0
	.set _ZL33flash_attn_stream_k_fixup_generalILi128ELi32ELi2EEvPfPK15HIP_vector_typeIfLj2EEiiiiS1_IjLj3EES5_S5_S5_.has_indirect_call, 0
	.section	.AMDGPU.csdata,"",@progbits
; Kernel info:
; codeLenInByte = 3548
; TotalNumSgprs: 46
; NumVgprs: 9
; ScratchSize: 0
; MemoryBound: 0
; FloatMode: 240
; IeeeMode: 1
; LDSByteSize: 0 bytes/workgroup (compile time only)
; SGPRBlocks: 0
; VGPRBlocks: 1
; NumSGPRsForWavesPerEU: 46
; NumVGPRsForWavesPerEU: 9
; Occupancy: 16
; WaveLimiterHint : 0
; COMPUTE_PGM_RSRC2:SCRATCH_EN: 0
; COMPUTE_PGM_RSRC2:USER_SGPR: 2
; COMPUTE_PGM_RSRC2:TRAP_HANDLER: 0
; COMPUTE_PGM_RSRC2:TGID_X_EN: 1
; COMPUTE_PGM_RSRC2:TGID_Y_EN: 1
; COMPUTE_PGM_RSRC2:TGID_Z_EN: 1
; COMPUTE_PGM_RSRC2:TIDIG_COMP_CNT: 0
	.section	.text._ZL15flash_attn_tileILi128ELi128ELi16ELi2ELb0EEvPKcS1_S1_S1_S1_PKiPfP15HIP_vector_typeIfLj2EEffffjfiS5_IjLj3EEiiiiiiiiiiiliiliiiiil,"axG",@progbits,_ZL15flash_attn_tileILi128ELi128ELi16ELi2ELb0EEvPKcS1_S1_S1_S1_PKiPfP15HIP_vector_typeIfLj2EEffffjfiS5_IjLj3EEiiiiiiiiiiiliiliiiiil,comdat
	.globl	_ZL15flash_attn_tileILi128ELi128ELi16ELi2ELb0EEvPKcS1_S1_S1_S1_PKiPfP15HIP_vector_typeIfLj2EEffffjfiS5_IjLj3EEiiiiiiiiiiiliiliiiiil ; -- Begin function _ZL15flash_attn_tileILi128ELi128ELi16ELi2ELb0EEvPKcS1_S1_S1_S1_PKiPfP15HIP_vector_typeIfLj2EEffffjfiS5_IjLj3EEiiiiiiiiiiiliiliiiiil
	.p2align	8
	.type	_ZL15flash_attn_tileILi128ELi128ELi16ELi2ELb0EEvPKcS1_S1_S1_S1_PKiPfP15HIP_vector_typeIfLj2EEffffjfiS5_IjLj3EEiiiiiiiiiiiliiliiiiil,@function
_ZL15flash_attn_tileILi128ELi128ELi16ELi2ELb0EEvPKcS1_S1_S1_S1_PKiPfP15HIP_vector_typeIfLj2EEffffjfiS5_IjLj3EEiiiiiiiiiiiliiliiiiil: ; @_ZL15flash_attn_tileILi128ELi128ELi16ELi2ELb0EEvPKcS1_S1_S1_S1_PKiPfP15HIP_vector_typeIfLj2EEffffjfiS5_IjLj3EEiiiiiiiiiiiliiliiiiil
; %bb.0:
	s_clause 0x1
	s_load_b128 s[20:23], s[0:1], 0x5c
	s_load_b64 s[34:35], s[0:1], 0x80
	s_lshr_b32 s5, ttmp7, 16
	s_load_b64 s[38:39], s[0:1], 0xb8
	s_mov_b64 s[36:37], 0
	s_wait_kmcnt 0x0
	s_lshr_b32 s2, s23, 31
	s_delay_alu instid0(SALU_CYCLE_1) | instskip(NEXT) | instid1(SALU_CYCLE_1)
	s_add_co_i32 s2, s23, s2
	s_ashr_i32 s2, s2, 1
	s_delay_alu instid0(SALU_CYCLE_1) | instskip(SKIP_1) | instid1(SALU_CYCLE_2)
	s_cvt_f32_u32 s3, s2
	s_sub_co_i32 s4, 0, s2
	v_rcp_iflag_f32_e32 v1, s3
	s_delay_alu instid0(TRANS32_DEP_1) | instskip(SKIP_2) | instid1(SALU_CYCLE_2)
	v_readfirstlane_b32 s3, v1
	s_mul_f32 s3, s3, 0x4f7ffffe
	s_wait_alu 0xfffe
	s_cvt_u32_f32 s3, s3
	s_wait_alu 0xfffe
	s_delay_alu instid0(SALU_CYCLE_2) | instskip(NEXT) | instid1(SALU_CYCLE_1)
	s_mul_i32 s4, s4, s3
	s_mul_hi_u32 s4, s3, s4
	s_delay_alu instid0(SALU_CYCLE_1)
	s_add_co_i32 s3, s3, s4
	s_wait_alu 0xfffe
	s_mul_hi_u32 s3, s5, s3
	s_wait_alu 0xfffe
	s_mul_i32 s4, s3, s2
	s_add_co_i32 s6, s3, 1
	s_sub_co_i32 s4, s5, s4
	s_delay_alu instid0(SALU_CYCLE_1)
	s_sub_co_i32 s7, s4, s2
	s_cmp_ge_u32 s4, s2
	s_cselect_b32 s3, s6, s3
	s_cselect_b32 s4, s7, s4
	s_wait_alu 0xfffe
	s_add_co_i32 s6, s3, 1
	s_cmp_ge_u32 s4, s2
	s_cselect_b32 s30, s6, s3
	s_abs_i32 s2, s35
	s_abs_i32 s7, s23
	s_wait_alu 0xfffe
	s_cvt_f32_u32 s3, s2
	s_sub_co_i32 s4, 0, s2
	s_lshl_b32 s5, s5, 1
	s_mul_i32 s6, s30, s23
	s_wait_alu 0xfffe
	v_rcp_iflag_f32_e32 v1, s3
	s_sub_co_i32 s28, s5, s6
	s_delay_alu instid0(TRANS32_DEP_1) | instskip(SKIP_2) | instid1(SALU_CYCLE_2)
	v_readfirstlane_b32 s3, v1
	s_mul_f32 s3, s3, 0x4f7ffffe
	s_wait_alu 0xfffe
	s_cvt_u32_f32 s3, s3
	s_wait_alu 0xfffe
	s_delay_alu instid0(SALU_CYCLE_2) | instskip(NEXT) | instid1(SALU_CYCLE_1)
	s_mul_i32 s4, s4, s3
	s_mul_hi_u32 s4, s3, s4
	s_delay_alu instid0(SALU_CYCLE_1)
	s_add_co_i32 s3, s3, s4
	s_xor_b32 s4, s23, s35
	s_wait_alu 0xfffe
	s_mul_hi_u32 s3, s7, s3
	s_ashr_i32 s24, s4, 31
	s_wait_alu 0xfffe
	s_mul_i32 s5, s3, s2
	s_delay_alu instid0(SALU_CYCLE_1)
	s_sub_co_i32 s4, s7, s5
	s_add_co_i32 s5, s3, 1
	s_sub_co_i32 s6, s4, s2
	s_cmp_ge_u32 s4, s2
	s_cselect_b32 s3, s5, s3
	s_cselect_b32 s4, s6, s4
	s_wait_alu 0xfffe
	s_add_co_i32 s5, s3, 1
	s_cmp_ge_u32 s4, s2
	s_cselect_b32 s2, s5, s3
	s_load_b512 s[4:19], s[0:1], 0x0
	s_xor_b32 s2, s2, s24
	s_mov_b32 s3, 0
	s_wait_alu 0xfffe
	s_sub_co_i32 s33, s2, s24
	s_delay_alu instid0(SALU_CYCLE_1) | instskip(NEXT) | instid1(SALU_CYCLE_1)
	s_abs_i32 s29, s33
	s_cvt_f32_u32 s2, s29
	s_wait_alu 0xfffe
	s_delay_alu instid0(SALU_CYCLE_2) | instskip(SKIP_2) | instid1(TRANS32_DEP_1)
	v_rcp_iflag_f32_e32 v1, s2
	s_wait_kmcnt 0x0
	s_cmp_eq_u64 s[10:11], 0
	v_readfirstlane_b32 s2, v1
	s_cbranch_scc1 .LBB37_2
; %bb.1:
	s_abs_i32 s26, s38
	s_delay_alu instid0(SALU_CYCLE_1) | instskip(NEXT) | instid1(SALU_CYCLE_3)
	s_cvt_f32_u32 s24, s26
	v_rcp_iflag_f32_e32 v1, s24
	s_delay_alu instid0(TRANS32_DEP_1) | instskip(SKIP_2) | instid1(SALU_CYCLE_2)
	v_readfirstlane_b32 s24, v1
	s_mul_f32 s24, s24, 0x4f7ffffe
	s_wait_alu 0xfffe
	s_cvt_u32_f32 s27, s24
	s_sub_co_i32 s24, 0, s26
	s_wait_alu 0xfffe
	s_delay_alu instid0(SALU_CYCLE_1) | instskip(SKIP_4) | instid1(SALU_CYCLE_1)
	s_mul_i32 s24, s24, s27
	s_wait_alu 0xfffe
	s_mul_hi_u32 s31, s27, s24
	s_load_b64 s[24:25], s[0:1], 0xc8
	s_add_co_i32 s27, s27, s31
	s_mul_hi_u32 s27, s30, s27
	s_delay_alu instid0(SALU_CYCLE_1) | instskip(NEXT) | instid1(SALU_CYCLE_1)
	s_mul_i32 s27, s27, s26
	s_sub_co_i32 s27, s30, s27
	s_delay_alu instid0(SALU_CYCLE_1) | instskip(SKIP_2) | instid1(SALU_CYCLE_1)
	s_sub_co_i32 s31, s27, s26
	s_cmp_ge_u32 s27, s26
	s_cselect_b32 s27, s31, s27
	s_sub_co_i32 s31, s27, s26
	s_cmp_ge_u32 s27, s26
	s_cselect_b32 s26, s31, s27
	s_delay_alu instid0(SALU_CYCLE_1)
	s_ashr_i32 s27, s26, 31
	s_wait_kmcnt 0x0
	s_mul_u64 s[24:25], s[24:25], s[26:27]
	s_wait_alu 0xfffe
	s_add_nc_u64 s[36:37], s[10:11], s[24:25]
.LBB37_2:
	v_bfe_u32 v19, v0, 10, 10
	s_lshl_b32 s11, ttmp9, 4
	s_load_b96 s[24:26], s[0:1], 0x70
	v_and_b32_e32 v35, 0x3ff, v0
	s_delay_alu instid0(VALU_DEP_2) | instskip(SKIP_1) | instid1(VALU_DEP_2)
	v_lshlrev_b32_e32 v32, 1, v19
	v_lshlrev_b32_e32 v1, 2, v19
	v_add_nc_u32_e32 v34, s11, v32
	s_delay_alu instid0(VALU_DEP_2) | instskip(SKIP_1) | instid1(VALU_DEP_3)
	v_or_b32_e32 v20, 2, v1
	v_or_b32_e32 v21, 3, v1
	v_mul_hi_u32 v2, v34, s20
	s_delay_alu instid0(VALU_DEP_3) | instskip(NEXT) | instid1(VALU_DEP_3)
	v_lshrrev_b32_e32 v30, 1, v20
	v_lshrrev_b32_e32 v28, 1, v21
	s_delay_alu instid0(VALU_DEP_2) | instskip(NEXT) | instid1(VALU_DEP_2)
	v_add_nc_u32_e32 v31, s11, v30
	v_add_nc_u32_e32 v29, s11, v28
	;; [unrolled: 1-line block ×3, first 2 shown]
	s_wait_kmcnt 0x0
	s_ashr_i32 s41, s24, 31
	s_mov_b32 s40, s24
	v_mul_hi_u32 v3, v31, s20
	v_mul_hi_u32 v4, v29, s20
	v_lshrrev_b32_e32 v2, s21, v2
	s_lshr_b64 s[42:43], s[40:41], 2
	s_lshr_b32 s10, s41, 2
	s_mul_i32 s26, s30, s26
	s_mul_i32 s40, s28, s25
	v_mul_lo_u32 v2, v2, s22
	v_add_nc_u32_e32 v3, v31, v3
	v_add_nc_u32_e32 v4, v29, v4
	s_ashr_i32 s27, s26, 31
	s_ashr_i32 s41, s40, 31
	s_add_nc_u64 s[4:5], s[4:5], s[26:27]
	v_lshrrev_b32_e32 v3, s21, v3
	v_lshrrev_b32_e32 v4, s21, v4
	v_sub_nc_u32_e32 v2, v34, v2
	s_ashr_i32 s43, s25, 31
	s_add_nc_u64 s[4:5], s[4:5], s[40:41]
	v_mul_lo_u32 v5, v3, s22
	v_mul_lo_u32 v6, v4, s22
	v_mad_co_u64_u32 v[3:4], null, s42, v2, 0
	s_delay_alu instid0(VALU_DEP_3) | instskip(NEXT) | instid1(VALU_DEP_3)
	v_sub_nc_u32_e32 v11, v31, v5
	v_sub_nc_u32_e32 v12, v29, v6
	s_delay_alu instid0(VALU_DEP_3) | instskip(NEXT) | instid1(VALU_DEP_3)
	v_mov_b32_e32 v0, v4
	v_mad_co_u64_u32 v[5:6], null, s42, v11, 0
	s_delay_alu instid0(VALU_DEP_3) | instskip(SKIP_1) | instid1(VALU_DEP_3)
	v_mad_co_u64_u32 v[7:8], null, s42, v12, 0
	s_wait_alu 0xfffe
	v_mad_co_u64_u32 v[9:10], null, s10, v2, v[0:1]
	s_and_b32 s42, s25, -4
	s_cmp_eq_u64 s[14:15], 0
	v_mov_b32_e32 v0, v6
	s_wait_alu 0xfffe
	s_add_nc_u64 s[24:25], s[4:5], s[42:43]
	v_mov_b32_e32 v6, v8
	v_mov_b32_e32 v4, v9
	v_mad_co_u64_u32 v[8:9], null, s10, v11, v[0:1]
	s_delay_alu instid0(VALU_DEP_3) | instskip(NEXT) | instid1(VALU_DEP_3)
	v_mad_co_u64_u32 v[9:10], null, s10, v12, v[6:7]
	v_lshlrev_b64_e32 v[3:4], 2, v[3:4]
	s_delay_alu instid0(VALU_DEP_3) | instskip(SKIP_4) | instid1(VALU_DEP_1)
	v_mov_b32_e32 v6, v8
	v_lshlrev_b32_e32 v0, 4, v35
	v_lshlrev_b32_e32 v36, 3, v35
	v_mov_b32_e32 v8, v9
	v_add_co_u32 v9, vcc_lo, s4, v3
	v_add_co_ci_u32_e64 v10, null, s5, v4, vcc_lo
	s_wait_alu 0xfffe
	v_add_co_u32 v13, vcc_lo, s24, v3
	s_wait_alu 0xfffd
	v_add_co_ci_u32_e64 v14, null, s25, v4, vcc_lo
	v_add_co_u32 v3, vcc_lo, v9, v0
	v_lshlrev_b64_e32 v[11:12], 2, v[5:6]
	s_wait_alu 0xfffd
	v_add_co_ci_u32_e64 v4, null, 0, v10, vcc_lo
	v_add_co_u32 v9, vcc_lo, v13, v0
	s_wait_alu 0xfffd
	v_add_co_ci_u32_e64 v10, null, 0, v14, vcc_lo
	v_lshlrev_b64_e32 v[13:14], 2, v[7:8]
	v_add_co_u32 v11, vcc_lo, s4, v11
	s_clause 0x1
	global_load_b128 v[3:6], v[3:4], off
	global_load_b128 v[7:10], v[9:10], off
	s_wait_alu 0xfffd
	v_add_co_ci_u32_e64 v12, null, s5, v12, vcc_lo
	v_add_co_u32 v13, vcc_lo, s24, v13
	s_wait_alu 0xfffd
	v_add_co_ci_u32_e64 v14, null, s25, v14, vcc_lo
	v_add_co_u32 v11, vcc_lo, v11, v0
	;; [unrolled: 3-line block ×3, first 2 shown]
	s_wait_alu 0xfffd
	v_add_co_ci_u32_e64 v16, null, 0, v14, vcc_lo
	s_clause 0x1
	global_load_b128 v[11:14], v[11:12], off
	global_load_b128 v[15:18], v[15:16], off
	s_load_b32 s4, s[0:1], 0x40
	v_lshlrev_b32_e32 v0, 10, v19
	v_add_nc_u32_e32 v19, 0x6800, v36
	s_delay_alu instid0(VALU_DEP_1)
	v_add_nc_u32_e32 v22, v19, v0
	v_lshl_add_u32 v20, v20, 8, v19
	v_lshl_add_u32 v19, v21, 8, v19
	s_wait_loadcnt 0x3
	s_wait_kmcnt 0x0
	v_fma_mixlo_f16 v3, s4, v3, 0
	v_fma_mixlo_f16 v4, s4, v4, 0
	;; [unrolled: 1-line block ×4, first 2 shown]
	s_wait_loadcnt 0x2
	v_fma_mixlo_f16 v7, s4, v7, 0
	v_fma_mixlo_f16 v8, s4, v8, 0
	;; [unrolled: 1-line block ×4, first 2 shown]
	v_lshlrev_b32_e32 v4, 16, v4
	v_and_b32_e32 v3, 0xffff, v3
	v_lshlrev_b32_e32 v6, 16, v6
	v_and_b32_e32 v5, 0xffff, v5
	;; [unrolled: 2-line block ×4, first 2 shown]
	v_or_b32_e32 v3, v4, v3
	v_or3_b32 v4, v6, v5, 0
	v_or_b32_e32 v5, v8, v7
	s_wait_loadcnt 0x1
	v_fma_mixlo_f16 v7, s4, v11, 0
	v_fma_mixlo_f16 v8, s4, v12, 0
	s_wait_loadcnt 0x0
	v_fma_mixlo_f16 v11, s4, v15, 0
	v_fma_mixlo_f16 v12, s4, v16, 0
	v_or3_b32 v6, v10, v9, 0
	v_fma_mixlo_f16 v9, s4, v13, 0
	v_fma_mixlo_f16 v10, s4, v14, 0
	v_lshlrev_b32_e32 v8, 16, v8
	v_and_b32_e32 v7, 0xffff, v7
	v_fma_mixlo_f16 v13, s4, v17, 0
	v_fma_mixlo_f16 v14, s4, v18, 0
	v_lshlrev_b32_e32 v12, 16, v12
	v_and_b32_e32 v11, 0xffff, v11
	v_lshlrev_b32_e32 v10, 16, v10
	v_and_b32_e32 v9, 0xffff, v9
	v_or_b32_e32 v7, v8, v7
	v_lshlrev_b32_e32 v14, 16, v14
	v_and_b32_e32 v13, 0xffff, v13
	v_or_b32_e32 v11, v12, v11
	v_or3_b32 v3, 0, 0, v3
	v_or3_b32 v5, 0, 0, v5
	;; [unrolled: 1-line block ×6, first 2 shown]
	ds_store_2addr_b64 v22, v[3:4], v[5:6] offset1:32
	ds_store_b64 v20, v[7:8]
	ds_store_b64 v19, v[9:10]
	s_wait_dscnt 0x0
	s_barrier_signal -1
	s_barrier_wait -1
	global_inv scope:SCOPE_SE
	s_cbranch_scc1 .LBB37_4
; %bb.3:
	s_load_b32 s4, s[0:1], 0xd0
	s_mov_b32 s5, 0
	s_wait_kmcnt 0x0
	s_mul_i32 s4, s4, s30
	s_wait_alu 0xfffe
	s_add_co_i32 s4, s4, ttmp9
	s_wait_alu 0xfffe
	s_lshl_b64 s[4:5], s[4:5], 2
	s_wait_alu 0xfffe
	s_add_nc_u64 s[4:5], s[14:15], s[4:5]
	s_load_b32 s34, s[4:5], 0x0
.LBB37_4:
	s_and_b32 s10, ttmp7, 0xffff
	v_mbcnt_lo_u32_b32 v37, -1, 0
	s_wait_alu 0xfffe
	s_lshl_b32 s14, s10, 7
	s_wait_kmcnt 0x0
	s_cmp_lt_i32 s14, s34
	s_cbranch_scc1 .LBB37_7
; %bb.5:
	v_mbcnt_lo_u32_b32 v4, -1, 0
	v_mov_b32_e32 v38, 32
	s_delay_alu instid0(VALU_DEP_2)
	v_xor_b32_e32 v43, 16, v4
	v_xor_b32_e32 v42, 8, v4
	;; [unrolled: 1-line block ×5, first 2 shown]
	v_lshlrev_b32_e32 v33, 2, v35
	s_mov_b32 s31, 0
	s_cbranch_execz .LBB37_8
; %bb.6:
	v_dual_mov_b32 v77, 0 :: v_dual_mov_b32 v44, 0
	v_dual_mov_b32 v3, 0xfeffffff :: v_dual_mov_b32 v2, 0xfeffffff
	;; [unrolled: 1-line block ×8, first 2 shown]
	s_branch .LBB37_11
.LBB37_7:
                                        ; implicit-def: $vgpr4
                                        ; implicit-def: $vgpr38
                                        ; implicit-def: $vgpr43
                                        ; implicit-def: $vgpr42
                                        ; implicit-def: $vgpr41
                                        ; implicit-def: $vgpr40
                                        ; implicit-def: $vgpr39
	v_lshlrev_b32_e32 v33, 2, v35
	s_mov_b32 s31, 0
.LBB37_8:
	s_mul_f32 s2, s2, 0x4f7ffffe
	s_clause 0x1
	s_load_b128 s[24:27], s[0:1], 0x98
	s_load_b64 s[4:5], s[0:1], 0x8c
	s_sub_co_i32 s35, 0, s29
	s_mov_b32 s41, s3
	s_cvt_u32_f32 s15, s2
	s_abs_i32 s2, s28
	s_load_b64 s[42:43], s[0:1], 0xa8
	s_ashr_i32 s38, s28, 31
	s_mul_i32 s35, s35, s15
	s_ashr_i32 s33, s33, 31
	s_mul_hi_u32 s35, s15, s35
	s_xor_b32 s33, s38, s33
	s_add_co_i32 s40, s15, s35
	s_ashr_i32 s15, s39, 1
	s_mul_u64 s[40:41], s[2:3], s[40:41]
	v_lshrrev_b32_e32 v3, 3, v35
	s_mul_i32 s3, s41, s29
	s_add_co_i32 s35, s41, 1
	s_wait_alu 0xfffe
	s_sub_co_i32 s2, s2, s3
	v_and_b32_e32 v7, 28, v33
	s_wait_kmcnt 0x0
	s_ashr_i32 s26, s26, 2
	s_ashr_i32 s38, s4, 2
	s_wait_alu 0xfffe
	s_sub_co_i32 s3, s2, s29
	s_cmp_ge_u32 s2, s29
	v_add3_u32 v8, s11, v32, 1
	s_cselect_b32 s4, s35, s41
	s_wait_alu 0xfffe
	s_cselect_b32 s2, s3, s2
	s_add_co_i32 s3, s4, 1
	s_wait_alu 0xfffe
	s_cmp_ge_u32 s2, s29
	v_dual_mov_b32 v38, 32 :: v_dual_add_nc_u32 v1, v3, v1
	s_cselect_b32 s4, s3, s4
	v_dual_mov_b32 v47, 0 :: v_dual_add_nc_u32 v52, 0x6800, v0
	v_dual_mov_b32 v46, 0 :: v_dual_add_nc_u32 v57, 0x4800, v0
	v_mov_b32_e32 v0, 0xfeffffff
	v_dual_mov_b32 v71, 0 :: v_dual_lshlrev_b32 v4, 2, v7
	s_wait_alu 0xfffe
	s_xor_b32 s4, s4, s33
	v_mul_lo_u32 v3, s38, v1
	s_wait_alu 0xfffe
	s_sub_co_i32 s29, s4, s33
	v_mul_hi_u32 v6, s20, v8
	s_mul_u64 s[2:3], s[24:25], s[30:31]
	s_mul_i32 s4, s29, s5
	v_mad_u32_u24 v48, 0x90, v1, v4
	v_lshrrev_b32_e32 v1, 4, v35
	s_mul_u64 s[24:25], s[42:43], s[30:31]
	s_wait_alu 0xfffe
	s_add_nc_u64 s[2:3], s[6:7], s[2:3]
	s_ashr_i32 s5, s4, 31
	s_add_nc_u64 s[6:7], s[8:9], s[24:25]
	s_wait_alu 0xfffe
	s_add_nc_u64 s[24:25], s[2:3], s[4:5]
	s_lshl_b32 s2, s38, 5
	v_dual_mov_b32 v75, 0 :: v_dual_add_nc_u32 v10, v1, v32
	s_wait_alu 0xfffe
	v_dual_mov_b32 v72, 0 :: v_dual_add_nc_u32 v5, s2, v3
	v_dual_mov_b32 v74, 0 :: v_dual_add_nc_u32 v9, v8, v6
	s_delay_alu instid0(VALU_DEP_3) | instskip(NEXT) | instid1(VALU_DEP_3)
	v_mul_lo_u32 v1, s26, v10
	v_dual_mov_b32 v73, 0 :: v_dual_add_nc_u32 v12, s2, v5
	s_delay_alu instid0(VALU_DEP_3) | instskip(SKIP_2) | instid1(VALU_DEP_4)
	v_lshrrev_b32_e32 v9, s21, v9
	v_mov_b32_e32 v45, 0
	v_ashrrev_i32_e32 v4, 31, v3
	v_add_nc_u32_e32 v14, s2, v12
	s_lshl_b32 s2, s26, 4
	v_mul_lo_u32 v9, v9, s22
	s_wait_alu 0xfffe
	v_add_nc_u32_e32 v18, s2, v1
	v_and_b32_e32 v24, 60, v33
	v_mul_lo_u32 v54, v2, s15
	v_ashrrev_i32_e32 v2, 31, v1
	v_ashrrev_i32_e32 v6, 31, v5
	v_add_nc_u32_e32 v20, s2, v18
	v_ashrrev_i32_e32 v13, 31, v12
	v_sub_nc_u32_e32 v8, v8, v9
	v_ashrrev_i32_e32 v19, 31, v18
	v_lshlrev_b64_e32 v[16:17], 2, v[1:2]
	v_add_nc_u32_e32 v22, s2, v20
	v_ashrrev_i32_e32 v21, 31, v20
	v_mul_lo_u32 v56, v8, s15
	v_lshlrev_b64_e32 v[8:9], 2, v[3:4]
	v_mov_b32_e32 v3, 0xfeffffff
	v_dual_mov_b32 v2, 0xfeffffff :: v_dual_lshlrev_b32 v11, 2, v24
	v_ashrrev_i32_e32 v23, 31, v22
	v_mov_b32_e32 v1, 0xfeffffff
	v_ashrrev_i32_e32 v15, 31, v14
	s_delay_alu instid0(VALU_DEP_4)
	v_lshl_or_b32 v55, v10, 8, v11
	s_mul_i32 s8, s29, s27
	v_lshlrev_b64_e32 v[10:11], 2, v[5:6]
	v_lshlrev_b64_e32 v[12:13], 2, v[12:13]
	;; [unrolled: 1-line block ×6, first 2 shown]
	v_dual_mov_b32 v76, 0 :: v_dual_add_nc_u32 v49, 0x1200, v48
	v_dual_mov_b32 v77, 0 :: v_dual_add_nc_u32 v50, 0x2400, v48
	;; [unrolled: 1-line block ×3, first 2 shown]
	v_mul_u32_u24_e32 v53, 0x90, v35
	v_add_nc_u32_e32 v58, 0x1000, v55
	v_dual_mov_b32 v44, 0 :: v_dual_add_nc_u32 v59, 0x2000, v55
	v_add_nc_u32_e32 v60, 0x3000, v55
	v_lshlrev_b32_e32 v61, 2, v7
	v_xor_b32_e32 v43, 16, v37
	v_xor_b32_e32 v42, 8, v37
	;; [unrolled: 1-line block ×5, first 2 shown]
	v_add_nc_u32_e32 v62, v57, v36
	v_lshlrev_b32_e32 v63, 2, v24
	v_add_nc_u32_e32 v64, 0x800, v36
	v_add_nc_u32_e32 v65, 0x1000, v36
	;; [unrolled: 1-line block ×7, first 2 shown]
	s_ashr_i32 s9, s8, 31
	s_ashr_i32 s39, s38, 31
	s_add_nc_u64 s[40:41], s[6:7], s[8:9]
	s_ashr_i32 s27, s26, 31
	s_add_nc_u64 s[20:21], s[0:1], 0xd0
.LBB37_9:                               ; =>This Inner Loop Header: Depth=1
	s_ashr_i32 s15, s14, 31
	v_mov_b32_e32 v87, 0
	s_wait_alu 0xfffe
	s_mul_u64 s[2:3], s[14:15], s[38:39]
	v_mov_b32_e32 v86, 0
	s_wait_alu 0xfffe
	s_lshl_b64 s[2:3], s[2:3], 2
	v_dual_mov_b32 v94, 0 :: v_dual_mov_b32 v93, 0
	s_wait_alu 0xfffe
	s_add_nc_u64 s[2:3], s[24:25], s[2:3]
	v_mov_b32_e32 v92, 0
	s_wait_alu 0xfffe
	v_add_co_u32 v4, vcc_lo, s2, v8
	s_wait_alu 0xfffd
	v_add_co_ci_u32_e64 v5, null, s3, v9, vcc_lo
	s_delay_alu instid0(VALU_DEP_2) | instskip(SKIP_1) | instid1(VALU_DEP_2)
	v_add_co_u32 v4, vcc_lo, v4, v61
	s_wait_alu 0xfffd
	v_add_co_ci_u32_e64 v5, null, 0, v5, vcc_lo
	v_add_co_u32 v6, vcc_lo, s2, v10
	s_wait_alu 0xfffd
	v_add_co_ci_u32_e64 v7, null, s3, v11, vcc_lo
	global_load_b128 v[24:27], v[4:5], off
	v_add_co_u32 v6, vcc_lo, v6, v61
	s_wait_alu 0xfffd
	v_add_co_ci_u32_e64 v7, null, 0, v7, vcc_lo
	s_wait_loadcnt 0x0
	ds_store_b128 v48, v[24:27]
	global_load_b128 v[24:27], v[6:7], off
	s_wait_loadcnt 0x0
	ds_store_b128 v49, v[24:27]
	v_add_co_u32 v24, vcc_lo, s2, v12
	s_wait_alu 0xfffd
	v_add_co_ci_u32_e64 v25, null, s3, v13, vcc_lo
	s_delay_alu instid0(VALU_DEP_2) | instskip(SKIP_1) | instid1(VALU_DEP_2)
	v_add_co_u32 v24, vcc_lo, v24, v61
	s_wait_alu 0xfffd
	v_add_co_ci_u32_e64 v25, null, 0, v25, vcc_lo
	v_add_co_u32 v26, vcc_lo, s2, v14
	s_wait_alu 0xfffd
	v_add_co_ci_u32_e64 v27, null, s3, v15, vcc_lo
	global_load_b128 v[79:82], v[24:25], off
	v_add_co_u32 v26, vcc_lo, v26, v61
	s_wait_alu 0xfffd
	v_add_co_ci_u32_e64 v27, null, 0, v27, vcc_lo
	s_wait_loadcnt 0x0
	ds_store_b128 v50, v[79:82]
	global_load_b128 v[79:82], v[26:27], off
	s_wait_loadcnt 0x0
	ds_store_b128 v51, v[79:82]
	s_wait_dscnt 0x0
	s_barrier_signal -1
	s_barrier_wait -1
	global_inv scope:SCOPE_SE
	ds_load_b128 v[82:85], v53
	ds_load_b128 v[95:98], v52
	ds_load_b128 v[99:102], v52 offset:256
	ds_load_b128 v[103:106], v52 offset:512
	;; [unrolled: 1-line block ×6, first 2 shown]
	v_dual_mov_b32 v80, 0 :: v_dual_mov_b32 v81, 0
	s_wait_dscnt 0x6
	;;#ASMSTART
	v_dot2_f32_f16 v87, v82, v95, v87
	;;#ASMEND
	;;#ASMSTART
	v_dot2_f32_f16 v87, v83, v96, v87
	;;#ASMEND
	;; [unrolled: 3-line block ×4, first 2 shown]
	s_wait_dscnt 0x5
	;;#ASMSTART
	v_dot2_f32_f16 v81, v82, v99, v81
	;;#ASMEND
	;;#ASMSTART
	v_dot2_f32_f16 v81, v83, v100, v81
	;;#ASMEND
	;; [unrolled: 3-line block ×4, first 2 shown]
	s_wait_dscnt 0x4
	;;#ASMSTART
	v_dot2_f32_f16 v80, v82, v103, v80
	;;#ASMEND
	;;#ASMSTART
	v_dot2_f32_f16 v80, v83, v104, v80
	;;#ASMEND
	;; [unrolled: 3-line block ×3, first 2 shown]
	v_mov_b32_e32 v79, 0
	;;#ASMSTART
	v_dot2_f32_f16 v80, v85, v106, v80
	;;#ASMEND
	s_wait_dscnt 0x3
	;;#ASMSTART
	v_dot2_f32_f16 v79, v82, v107, v79
	;;#ASMEND
	;;#ASMSTART
	v_dot2_f32_f16 v79, v83, v108, v79
	;;#ASMEND
	;; [unrolled: 3-line block ×4, first 2 shown]
	s_wait_dscnt 0x2
	;;#ASMSTART
	v_dot2_f32_f16 v92, v88, v95, v92
	;;#ASMEND
	;;#ASMSTART
	v_dot2_f32_f16 v92, v89, v96, v92
	;;#ASMEND
	;;#ASMSTART
	v_dot2_f32_f16 v92, v90, v97, v92
	;;#ASMEND
	v_mov_b32_e32 v84, 0
	;;#ASMSTART
	v_dot2_f32_f16 v92, v91, v98, v92
	;;#ASMEND
	;;#ASMSTART
	v_dot2_f32_f16 v84, v88, v99, v84
	;;#ASMEND
	;; [unrolled: 3-line block ×4, first 2 shown]
	v_dual_mov_b32 v83, 0 :: v_dual_mov_b32 v82, 0
	;;#ASMSTART
	v_dot2_f32_f16 v84, v91, v102, v84
	;;#ASMEND
	;;#ASMSTART
	v_dot2_f32_f16 v83, v88, v103, v83
	;;#ASMEND
	;; [unrolled: 3-line block ×9, first 2 shown]
	v_dual_mov_b32 v91, 0 :: v_dual_mov_b32 v88, 0
	s_wait_dscnt 0x1
	;;#ASMSTART
	v_dot2_f32_f16 v91, v111, v95, v91
	;;#ASMEND
	;;#ASMSTART
	v_dot2_f32_f16 v91, v112, v96, v91
	;;#ASMEND
	;; [unrolled: 3-line block ×8, first 2 shown]
	v_mov_b32_e32 v85, 0
	;;#ASMSTART
	v_dot2_f32_f16 v86, v111, v103, v86
	;;#ASMEND
	;;#ASMSTART
	v_dot2_f32_f16 v86, v112, v104, v86
	;;#ASMEND
	;; [unrolled: 3-line block ×8, first 2 shown]
	s_wait_dscnt 0x0
	;;#ASMSTART
	v_dot2_f32_f16 v94, v115, v95, v94
	;;#ASMEND
	;;#ASMSTART
	v_dot2_f32_f16 v94, v116, v96, v94
	;;#ASMEND
	;; [unrolled: 3-line block ×7, first 2 shown]
	v_dual_mov_b32 v90, 0 :: v_dual_mov_b32 v89, 0
	;;#ASMSTART
	v_dot2_f32_f16 v93, v118, v102, v93
	;;#ASMEND
	;;#ASMSTART
	v_dot2_f32_f16 v90, v115, v103, v90
	;;#ASMEND
	;; [unrolled: 3-line block ×9, first 2 shown]
	ds_load_b128 v[95:98], v53 offset:16
	ds_load_b128 v[99:102], v52 offset:16
	;; [unrolled: 1-line block ×8, first 2 shown]
	s_wait_dscnt 0x6
	;;#ASMSTART
	v_dot2_f32_f16 v87, v95, v99, v87
	;;#ASMEND
	;;#ASMSTART
	v_dot2_f32_f16 v87, v96, v100, v87
	;;#ASMEND
	;;#ASMSTART
	v_dot2_f32_f16 v87, v97, v101, v87
	;;#ASMEND
	;;#ASMSTART
	v_dot2_f32_f16 v87, v98, v102, v87
	;;#ASMEND
	s_wait_dscnt 0x5
	;;#ASMSTART
	v_dot2_f32_f16 v81, v95, v103, v81
	;;#ASMEND
	;;#ASMSTART
	v_dot2_f32_f16 v81, v96, v104, v81
	;;#ASMEND
	;;#ASMSTART
	v_dot2_f32_f16 v81, v97, v105, v81
	;;#ASMEND
	;;#ASMSTART
	v_dot2_f32_f16 v81, v98, v106, v81
	;;#ASMEND
	;; [unrolled: 13-line block ×5, first 2 shown]
	;;#ASMSTART
	v_dot2_f32_f16 v84, v115, v103, v84
	;;#ASMEND
	;;#ASMSTART
	v_dot2_f32_f16 v84, v116, v104, v84
	;;#ASMEND
	;; [unrolled: 3-line block ×12, first 2 shown]
	s_wait_dscnt 0x1
	;;#ASMSTART
	v_dot2_f32_f16 v91, v119, v99, v91
	;;#ASMEND
	;;#ASMSTART
	v_dot2_f32_f16 v91, v120, v100, v91
	;;#ASMEND
	;; [unrolled: 3-line block ×16, first 2 shown]
	s_wait_dscnt 0x0
	;;#ASMSTART
	v_dot2_f32_f16 v94, v123, v99, v94
	;;#ASMEND
	;;#ASMSTART
	v_dot2_f32_f16 v94, v124, v100, v94
	;;#ASMEND
	;; [unrolled: 3-line block ×16, first 2 shown]
	ds_load_b128 v[95:98], v53 offset:32
	ds_load_b128 v[99:102], v52 offset:32
	;; [unrolled: 1-line block ×8, first 2 shown]
	s_wait_dscnt 0x6
	;;#ASMSTART
	v_dot2_f32_f16 v87, v95, v99, v87
	;;#ASMEND
	;;#ASMSTART
	v_dot2_f32_f16 v87, v96, v100, v87
	;;#ASMEND
	;;#ASMSTART
	v_dot2_f32_f16 v87, v97, v101, v87
	;;#ASMEND
	;;#ASMSTART
	v_dot2_f32_f16 v87, v98, v102, v87
	;;#ASMEND
	s_wait_dscnt 0x5
	;;#ASMSTART
	v_dot2_f32_f16 v81, v95, v103, v81
	;;#ASMEND
	;;#ASMSTART
	v_dot2_f32_f16 v81, v96, v104, v81
	;;#ASMEND
	;;#ASMSTART
	v_dot2_f32_f16 v81, v97, v105, v81
	;;#ASMEND
	;;#ASMSTART
	v_dot2_f32_f16 v81, v98, v106, v81
	;;#ASMEND
	;; [unrolled: 13-line block ×5, first 2 shown]
	;;#ASMSTART
	v_dot2_f32_f16 v84, v115, v103, v84
	;;#ASMEND
	;;#ASMSTART
	v_dot2_f32_f16 v84, v116, v104, v84
	;;#ASMEND
	;; [unrolled: 3-line block ×12, first 2 shown]
	s_wait_dscnt 0x1
	;;#ASMSTART
	v_dot2_f32_f16 v91, v119, v99, v91
	;;#ASMEND
	;;#ASMSTART
	v_dot2_f32_f16 v91, v120, v100, v91
	;;#ASMEND
	;; [unrolled: 3-line block ×16, first 2 shown]
	s_wait_dscnt 0x0
	;;#ASMSTART
	v_dot2_f32_f16 v94, v123, v99, v94
	;;#ASMEND
	;;#ASMSTART
	v_dot2_f32_f16 v94, v124, v100, v94
	;;#ASMEND
	;; [unrolled: 3-line block ×16, first 2 shown]
	ds_load_b128 v[95:98], v53 offset:48
	ds_load_b128 v[99:102], v52 offset:48
	;; [unrolled: 1-line block ×8, first 2 shown]
	s_wait_dscnt 0x6
	;;#ASMSTART
	v_dot2_f32_f16 v87, v95, v99, v87
	;;#ASMEND
	;;#ASMSTART
	v_dot2_f32_f16 v87, v96, v100, v87
	;;#ASMEND
	;;#ASMSTART
	v_dot2_f32_f16 v87, v97, v101, v87
	;;#ASMEND
	;;#ASMSTART
	v_dot2_f32_f16 v87, v98, v102, v87
	;;#ASMEND
	s_wait_dscnt 0x5
	;;#ASMSTART
	v_dot2_f32_f16 v81, v95, v103, v81
	;;#ASMEND
	;;#ASMSTART
	v_dot2_f32_f16 v81, v96, v104, v81
	;;#ASMEND
	;;#ASMSTART
	v_dot2_f32_f16 v81, v97, v105, v81
	;;#ASMEND
	;;#ASMSTART
	v_dot2_f32_f16 v81, v98, v106, v81
	;;#ASMEND
	;; [unrolled: 13-line block ×5, first 2 shown]
	;;#ASMSTART
	v_dot2_f32_f16 v84, v115, v103, v84
	;;#ASMEND
	;;#ASMSTART
	v_dot2_f32_f16 v84, v116, v104, v84
	;;#ASMEND
	;; [unrolled: 3-line block ×12, first 2 shown]
	s_wait_dscnt 0x1
	;;#ASMSTART
	v_dot2_f32_f16 v91, v119, v99, v91
	;;#ASMEND
	;;#ASMSTART
	v_dot2_f32_f16 v91, v120, v100, v91
	;;#ASMEND
	;; [unrolled: 3-line block ×16, first 2 shown]
	s_wait_dscnt 0x0
	;;#ASMSTART
	v_dot2_f32_f16 v94, v123, v99, v94
	;;#ASMEND
	;;#ASMSTART
	v_dot2_f32_f16 v94, v124, v100, v94
	;;#ASMEND
	;;#ASMSTART
	v_dot2_f32_f16 v94, v125, v101, v94
	;;#ASMEND
	;;#ASMSTART
	v_dot2_f32_f16 v94, v126, v102, v94
	;;#ASMEND
	;;#ASMSTART
	v_dot2_f32_f16 v93, v123, v103, v93
	;;#ASMEND
	;;#ASMSTART
	v_dot2_f32_f16 v93, v124, v104, v93
	;;#ASMEND
	;;#ASMSTART
	v_dot2_f32_f16 v93, v125, v105, v93
	;;#ASMEND
	;;#ASMSTART
	v_dot2_f32_f16 v93, v126, v106, v93
	;;#ASMEND
	;;#ASMSTART
	v_dot2_f32_f16 v90, v123, v107, v90
	;;#ASMEND
	;;#ASMSTART
	v_dot2_f32_f16 v90, v124, v108, v90
	;;#ASMEND
	;;#ASMSTART
	v_dot2_f32_f16 v90, v125, v109, v90
	;;#ASMEND
	;;#ASMSTART
	v_dot2_f32_f16 v90, v126, v110, v90
	;;#ASMEND
	;;#ASMSTART
	v_dot2_f32_f16 v89, v123, v111, v89
	;;#ASMEND
	;;#ASMSTART
	v_dot2_f32_f16 v89, v124, v112, v89
	;;#ASMEND
	;;#ASMSTART
	v_dot2_f32_f16 v89, v125, v113, v89
	;;#ASMEND
	;;#ASMSTART
	v_dot2_f32_f16 v89, v126, v114, v89
	;;#ASMEND
	ds_load_b128 v[95:98], v53 offset:64
	ds_load_b128 v[99:102], v52 offset:64
	;; [unrolled: 1-line block ×8, first 2 shown]
	s_wait_dscnt 0x6
	;;#ASMSTART
	v_dot2_f32_f16 v87, v95, v99, v87
	;;#ASMEND
	;;#ASMSTART
	v_dot2_f32_f16 v87, v96, v100, v87
	;;#ASMEND
	;;#ASMSTART
	v_dot2_f32_f16 v87, v97, v101, v87
	;;#ASMEND
	;;#ASMSTART
	v_dot2_f32_f16 v87, v98, v102, v87
	;;#ASMEND
	s_wait_dscnt 0x5
	;;#ASMSTART
	v_dot2_f32_f16 v81, v95, v103, v81
	;;#ASMEND
	;;#ASMSTART
	v_dot2_f32_f16 v81, v96, v104, v81
	;;#ASMEND
	;;#ASMSTART
	v_dot2_f32_f16 v81, v97, v105, v81
	;;#ASMEND
	;;#ASMSTART
	v_dot2_f32_f16 v81, v98, v106, v81
	;;#ASMEND
	;; [unrolled: 13-line block ×5, first 2 shown]
	;;#ASMSTART
	v_dot2_f32_f16 v84, v115, v103, v84
	;;#ASMEND
	;;#ASMSTART
	v_dot2_f32_f16 v84, v116, v104, v84
	;;#ASMEND
	;; [unrolled: 3-line block ×12, first 2 shown]
	s_wait_dscnt 0x1
	;;#ASMSTART
	v_dot2_f32_f16 v91, v119, v99, v91
	;;#ASMEND
	;;#ASMSTART
	v_dot2_f32_f16 v91, v120, v100, v91
	;;#ASMEND
	;; [unrolled: 3-line block ×16, first 2 shown]
	s_wait_dscnt 0x0
	;;#ASMSTART
	v_dot2_f32_f16 v94, v123, v99, v94
	;;#ASMEND
	;;#ASMSTART
	v_dot2_f32_f16 v94, v124, v100, v94
	;;#ASMEND
	;;#ASMSTART
	v_dot2_f32_f16 v94, v125, v101, v94
	;;#ASMEND
	;;#ASMSTART
	v_dot2_f32_f16 v94, v126, v102, v94
	;;#ASMEND
	;;#ASMSTART
	v_dot2_f32_f16 v93, v123, v103, v93
	;;#ASMEND
	;;#ASMSTART
	v_dot2_f32_f16 v93, v124, v104, v93
	;;#ASMEND
	;;#ASMSTART
	v_dot2_f32_f16 v93, v125, v105, v93
	;;#ASMEND
	;;#ASMSTART
	v_dot2_f32_f16 v93, v126, v106, v93
	;;#ASMEND
	;;#ASMSTART
	v_dot2_f32_f16 v90, v123, v107, v90
	;;#ASMEND
	;;#ASMSTART
	v_dot2_f32_f16 v90, v124, v108, v90
	;;#ASMEND
	;;#ASMSTART
	v_dot2_f32_f16 v90, v125, v109, v90
	;;#ASMEND
	;;#ASMSTART
	v_dot2_f32_f16 v90, v126, v110, v90
	;;#ASMEND
	;;#ASMSTART
	v_dot2_f32_f16 v89, v123, v111, v89
	;;#ASMEND
	;;#ASMSTART
	v_dot2_f32_f16 v89, v124, v112, v89
	;;#ASMEND
	;;#ASMSTART
	v_dot2_f32_f16 v89, v125, v113, v89
	;;#ASMEND
	;;#ASMSTART
	v_dot2_f32_f16 v89, v126, v114, v89
	;;#ASMEND
	ds_load_b128 v[95:98], v53 offset:80
	ds_load_b128 v[99:102], v52 offset:80
	;; [unrolled: 1-line block ×8, first 2 shown]
	s_wait_dscnt 0x6
	;;#ASMSTART
	v_dot2_f32_f16 v87, v95, v99, v87
	;;#ASMEND
	;;#ASMSTART
	v_dot2_f32_f16 v87, v96, v100, v87
	;;#ASMEND
	;;#ASMSTART
	v_dot2_f32_f16 v87, v97, v101, v87
	;;#ASMEND
	;;#ASMSTART
	v_dot2_f32_f16 v87, v98, v102, v87
	;;#ASMEND
	s_wait_dscnt 0x5
	;;#ASMSTART
	v_dot2_f32_f16 v81, v95, v103, v81
	;;#ASMEND
	;;#ASMSTART
	v_dot2_f32_f16 v81, v96, v104, v81
	;;#ASMEND
	;;#ASMSTART
	v_dot2_f32_f16 v81, v97, v105, v81
	;;#ASMEND
	;;#ASMSTART
	v_dot2_f32_f16 v81, v98, v106, v81
	;;#ASMEND
	;; [unrolled: 13-line block ×5, first 2 shown]
	;;#ASMSTART
	v_dot2_f32_f16 v84, v115, v103, v84
	;;#ASMEND
	;;#ASMSTART
	v_dot2_f32_f16 v84, v116, v104, v84
	;;#ASMEND
	;; [unrolled: 3-line block ×12, first 2 shown]
	s_wait_dscnt 0x1
	;;#ASMSTART
	v_dot2_f32_f16 v91, v119, v99, v91
	;;#ASMEND
	;;#ASMSTART
	v_dot2_f32_f16 v91, v120, v100, v91
	;;#ASMEND
	;; [unrolled: 3-line block ×16, first 2 shown]
	s_wait_dscnt 0x0
	;;#ASMSTART
	v_dot2_f32_f16 v94, v123, v99, v94
	;;#ASMEND
	;;#ASMSTART
	v_dot2_f32_f16 v94, v124, v100, v94
	;;#ASMEND
	;;#ASMSTART
	v_dot2_f32_f16 v94, v125, v101, v94
	;;#ASMEND
	;;#ASMSTART
	v_dot2_f32_f16 v94, v126, v102, v94
	;;#ASMEND
	;;#ASMSTART
	v_dot2_f32_f16 v93, v123, v103, v93
	;;#ASMEND
	;;#ASMSTART
	v_dot2_f32_f16 v93, v124, v104, v93
	;;#ASMEND
	;;#ASMSTART
	v_dot2_f32_f16 v93, v125, v105, v93
	;;#ASMEND
	;;#ASMSTART
	v_dot2_f32_f16 v93, v126, v106, v93
	;;#ASMEND
	;;#ASMSTART
	v_dot2_f32_f16 v90, v123, v107, v90
	;;#ASMEND
	;;#ASMSTART
	v_dot2_f32_f16 v90, v124, v108, v90
	;;#ASMEND
	;;#ASMSTART
	v_dot2_f32_f16 v90, v125, v109, v90
	;;#ASMEND
	;;#ASMSTART
	v_dot2_f32_f16 v90, v126, v110, v90
	;;#ASMEND
	;;#ASMSTART
	v_dot2_f32_f16 v89, v123, v111, v89
	;;#ASMEND
	;;#ASMSTART
	v_dot2_f32_f16 v89, v124, v112, v89
	;;#ASMEND
	;;#ASMSTART
	v_dot2_f32_f16 v89, v125, v113, v89
	;;#ASMEND
	;;#ASMSTART
	v_dot2_f32_f16 v89, v126, v114, v89
	;;#ASMEND
	ds_load_b128 v[95:98], v53 offset:96
	ds_load_b128 v[99:102], v52 offset:96
	;; [unrolled: 1-line block ×8, first 2 shown]
	s_wait_dscnt 0x6
	;;#ASMSTART
	v_dot2_f32_f16 v87, v95, v99, v87
	;;#ASMEND
	;;#ASMSTART
	v_dot2_f32_f16 v87, v96, v100, v87
	;;#ASMEND
	;;#ASMSTART
	v_dot2_f32_f16 v87, v97, v101, v87
	;;#ASMEND
	;;#ASMSTART
	v_dot2_f32_f16 v87, v98, v102, v87
	;;#ASMEND
	s_wait_dscnt 0x5
	;;#ASMSTART
	v_dot2_f32_f16 v81, v95, v103, v81
	;;#ASMEND
	;;#ASMSTART
	v_dot2_f32_f16 v81, v96, v104, v81
	;;#ASMEND
	;;#ASMSTART
	v_dot2_f32_f16 v81, v97, v105, v81
	;;#ASMEND
	;;#ASMSTART
	v_dot2_f32_f16 v81, v98, v106, v81
	;;#ASMEND
	;; [unrolled: 13-line block ×5, first 2 shown]
	;;#ASMSTART
	v_dot2_f32_f16 v84, v115, v103, v84
	;;#ASMEND
	;;#ASMSTART
	v_dot2_f32_f16 v84, v116, v104, v84
	;;#ASMEND
	;; [unrolled: 3-line block ×12, first 2 shown]
	s_wait_dscnt 0x1
	;;#ASMSTART
	v_dot2_f32_f16 v91, v119, v99, v91
	;;#ASMEND
	;;#ASMSTART
	v_dot2_f32_f16 v91, v120, v100, v91
	;;#ASMEND
	;; [unrolled: 3-line block ×16, first 2 shown]
	s_wait_dscnt 0x0
	;;#ASMSTART
	v_dot2_f32_f16 v94, v123, v99, v94
	;;#ASMEND
	;;#ASMSTART
	v_dot2_f32_f16 v94, v124, v100, v94
	;;#ASMEND
	;; [unrolled: 3-line block ×16, first 2 shown]
	ds_load_b128 v[95:98], v53 offset:112
	ds_load_b128 v[99:102], v52 offset:112
	;; [unrolled: 1-line block ×8, first 2 shown]
	s_wait_dscnt 0x6
	;;#ASMSTART
	v_dot2_f32_f16 v87, v95, v99, v87
	;;#ASMEND
	;;#ASMSTART
	v_dot2_f32_f16 v87, v96, v100, v87
	;;#ASMEND
	;;#ASMSTART
	v_dot2_f32_f16 v87, v97, v101, v87
	;;#ASMEND
	;;#ASMSTART
	v_dot2_f32_f16 v87, v98, v102, v87
	;;#ASMEND
	s_wait_dscnt 0x5
	;;#ASMSTART
	v_dot2_f32_f16 v81, v95, v103, v81
	;;#ASMEND
	;;#ASMSTART
	v_dot2_f32_f16 v81, v96, v104, v81
	;;#ASMEND
	;;#ASMSTART
	v_dot2_f32_f16 v81, v97, v105, v81
	;;#ASMEND
	;;#ASMSTART
	v_dot2_f32_f16 v81, v98, v106, v81
	;;#ASMEND
	;; [unrolled: 13-line block ×5, first 2 shown]
	;;#ASMSTART
	v_dot2_f32_f16 v84, v115, v103, v84
	;;#ASMEND
	;;#ASMSTART
	v_dot2_f32_f16 v84, v116, v104, v84
	;;#ASMEND
	;; [unrolled: 3-line block ×12, first 2 shown]
	s_wait_dscnt 0x1
	;;#ASMSTART
	v_dot2_f32_f16 v91, v119, v99, v91
	;;#ASMEND
	;;#ASMSTART
	v_dot2_f32_f16 v91, v120, v100, v91
	;;#ASMEND
	;; [unrolled: 3-line block ×16, first 2 shown]
	s_wait_dscnt 0x0
	;;#ASMSTART
	v_dot2_f32_f16 v94, v123, v99, v94
	;;#ASMEND
	;;#ASMSTART
	v_dot2_f32_f16 v94, v124, v100, v94
	;;#ASMEND
	;; [unrolled: 3-line block ×16, first 2 shown]
	s_wait_loadcnt 0x0
	s_barrier_signal -1
	s_barrier_wait -1
	global_inv scope:SCOPE_SE
	s_clause 0x1
	global_load_b128 v[95:98], v[4:5], off offset:128
	global_load_b128 v[4:7], v[6:7], off offset:128
	s_wait_loadcnt 0x1
	ds_store_b128 v48, v[95:98]
	s_wait_loadcnt 0x0
	ds_store_b128 v49, v[4:7]
	global_load_b128 v[4:7], v[24:25], off offset:128
	s_wait_loadcnt 0x0
	ds_store_b128 v50, v[4:7]
	global_load_b128 v[4:7], v[26:27], off offset:128
	s_wait_loadcnt 0x0
	ds_store_b128 v51, v[4:7]
	s_wait_dscnt 0x0
	s_barrier_signal -1
	s_barrier_wait -1
	global_inv scope:SCOPE_SE
	ds_load_b128 v[4:7], v53
	ds_load_b128 v[24:27], v52 offset:128
	ds_load_b128 v[95:98], v52 offset:384
	;; [unrolled: 1-line block ×7, first 2 shown]
	s_wait_dscnt 0x6
	;;#ASMSTART
	v_dot2_f32_f16 v87, v4, v24, v87
	;;#ASMEND
	;;#ASMSTART
	v_dot2_f32_f16 v87, v5, v25, v87
	;;#ASMEND
	;;#ASMSTART
	v_dot2_f32_f16 v87, v6, v26, v87
	;;#ASMEND
	;;#ASMSTART
	v_dot2_f32_f16 v87, v7, v27, v87
	;;#ASMEND
	s_wait_dscnt 0x5
	;;#ASMSTART
	v_dot2_f32_f16 v81, v4, v95, v81
	;;#ASMEND
	;;#ASMSTART
	v_dot2_f32_f16 v81, v5, v96, v81
	;;#ASMEND
	;;#ASMSTART
	v_dot2_f32_f16 v81, v6, v97, v81
	;;#ASMEND
	;;#ASMSTART
	v_dot2_f32_f16 v81, v7, v98, v81
	;;#ASMEND
	;; [unrolled: 13-line block ×5, first 2 shown]
	;;#ASMSTART
	v_dot2_f32_f16 v84, v107, v95, v84
	;;#ASMEND
	;;#ASMSTART
	v_dot2_f32_f16 v84, v108, v96, v84
	;;#ASMEND
	;; [unrolled: 3-line block ×12, first 2 shown]
	s_wait_dscnt 0x1
	;;#ASMSTART
	v_dot2_f32_f16 v91, v111, v24, v91
	;;#ASMEND
	;;#ASMSTART
	v_dot2_f32_f16 v91, v112, v25, v91
	;;#ASMEND
	;; [unrolled: 3-line block ×16, first 2 shown]
	s_wait_dscnt 0x0
	;;#ASMSTART
	v_dot2_f32_f16 v94, v115, v24, v94
	;;#ASMEND
	;;#ASMSTART
	v_dot2_f32_f16 v94, v116, v25, v94
	;;#ASMEND
	;; [unrolled: 3-line block ×16, first 2 shown]
	ds_load_b128 v[4:7], v53 offset:16
	ds_load_b128 v[24:27], v52 offset:144
	;; [unrolled: 1-line block ×8, first 2 shown]
	s_wait_dscnt 0x6
	;;#ASMSTART
	v_dot2_f32_f16 v87, v4, v24, v87
	;;#ASMEND
	;;#ASMSTART
	v_dot2_f32_f16 v87, v5, v25, v87
	;;#ASMEND
	;;#ASMSTART
	v_dot2_f32_f16 v87, v6, v26, v87
	;;#ASMEND
	;;#ASMSTART
	v_dot2_f32_f16 v87, v7, v27, v87
	;;#ASMEND
	s_wait_dscnt 0x5
	;;#ASMSTART
	v_dot2_f32_f16 v81, v4, v95, v81
	;;#ASMEND
	;;#ASMSTART
	v_dot2_f32_f16 v81, v5, v96, v81
	;;#ASMEND
	;;#ASMSTART
	v_dot2_f32_f16 v81, v6, v97, v81
	;;#ASMEND
	;;#ASMSTART
	v_dot2_f32_f16 v81, v7, v98, v81
	;;#ASMEND
	;; [unrolled: 13-line block ×5, first 2 shown]
	;;#ASMSTART
	v_dot2_f32_f16 v84, v107, v95, v84
	;;#ASMEND
	;;#ASMSTART
	v_dot2_f32_f16 v84, v108, v96, v84
	;;#ASMEND
	;; [unrolled: 3-line block ×12, first 2 shown]
	s_wait_dscnt 0x1
	;;#ASMSTART
	v_dot2_f32_f16 v91, v111, v24, v91
	;;#ASMEND
	;;#ASMSTART
	v_dot2_f32_f16 v91, v112, v25, v91
	;;#ASMEND
	;; [unrolled: 3-line block ×16, first 2 shown]
	s_wait_dscnt 0x0
	;;#ASMSTART
	v_dot2_f32_f16 v94, v115, v24, v94
	;;#ASMEND
	;;#ASMSTART
	v_dot2_f32_f16 v94, v116, v25, v94
	;;#ASMEND
	;; [unrolled: 3-line block ×16, first 2 shown]
	ds_load_b128 v[4:7], v53 offset:32
	ds_load_b128 v[24:27], v52 offset:160
	;; [unrolled: 1-line block ×8, first 2 shown]
	s_wait_dscnt 0x6
	;;#ASMSTART
	v_dot2_f32_f16 v87, v4, v24, v87
	;;#ASMEND
	;;#ASMSTART
	v_dot2_f32_f16 v87, v5, v25, v87
	;;#ASMEND
	;;#ASMSTART
	v_dot2_f32_f16 v87, v6, v26, v87
	;;#ASMEND
	;;#ASMSTART
	v_dot2_f32_f16 v87, v7, v27, v87
	;;#ASMEND
	s_wait_dscnt 0x5
	;;#ASMSTART
	v_dot2_f32_f16 v81, v4, v95, v81
	;;#ASMEND
	;;#ASMSTART
	v_dot2_f32_f16 v81, v5, v96, v81
	;;#ASMEND
	;;#ASMSTART
	v_dot2_f32_f16 v81, v6, v97, v81
	;;#ASMEND
	;;#ASMSTART
	v_dot2_f32_f16 v81, v7, v98, v81
	;;#ASMEND
	;; [unrolled: 13-line block ×5, first 2 shown]
	;;#ASMSTART
	v_dot2_f32_f16 v84, v107, v95, v84
	;;#ASMEND
	;;#ASMSTART
	v_dot2_f32_f16 v84, v108, v96, v84
	;;#ASMEND
	;;#ASMSTART
	v_dot2_f32_f16 v84, v109, v97, v84
	;;#ASMEND
	;;#ASMSTART
	v_dot2_f32_f16 v84, v110, v98, v84
	;;#ASMEND
	;;#ASMSTART
	v_dot2_f32_f16 v83, v107, v99, v83
	;;#ASMEND
	;;#ASMSTART
	v_dot2_f32_f16 v83, v108, v100, v83
	;;#ASMEND
	;;#ASMSTART
	v_dot2_f32_f16 v83, v109, v101, v83
	;;#ASMEND
	;;#ASMSTART
	v_dot2_f32_f16 v83, v110, v102, v83
	;;#ASMEND
	;;#ASMSTART
	v_dot2_f32_f16 v82, v107, v103, v82
	;;#ASMEND
	;;#ASMSTART
	v_dot2_f32_f16 v82, v108, v104, v82
	;;#ASMEND
	;;#ASMSTART
	v_dot2_f32_f16 v82, v109, v105, v82
	;;#ASMEND
	;;#ASMSTART
	v_dot2_f32_f16 v82, v110, v106, v82
	;;#ASMEND
	s_wait_dscnt 0x1
	;;#ASMSTART
	v_dot2_f32_f16 v91, v111, v24, v91
	;;#ASMEND
	;;#ASMSTART
	v_dot2_f32_f16 v91, v112, v25, v91
	;;#ASMEND
	;; [unrolled: 3-line block ×16, first 2 shown]
	s_wait_dscnt 0x0
	;;#ASMSTART
	v_dot2_f32_f16 v94, v115, v24, v94
	;;#ASMEND
	;;#ASMSTART
	v_dot2_f32_f16 v94, v116, v25, v94
	;;#ASMEND
	;; [unrolled: 3-line block ×16, first 2 shown]
	ds_load_b128 v[4:7], v53 offset:48
	ds_load_b128 v[24:27], v52 offset:176
	;; [unrolled: 1-line block ×8, first 2 shown]
	s_wait_dscnt 0x6
	;;#ASMSTART
	v_dot2_f32_f16 v87, v4, v24, v87
	;;#ASMEND
	;;#ASMSTART
	v_dot2_f32_f16 v87, v5, v25, v87
	;;#ASMEND
	;;#ASMSTART
	v_dot2_f32_f16 v87, v6, v26, v87
	;;#ASMEND
	;;#ASMSTART
	v_dot2_f32_f16 v87, v7, v27, v87
	;;#ASMEND
	s_wait_dscnt 0x5
	;;#ASMSTART
	v_dot2_f32_f16 v81, v4, v95, v81
	;;#ASMEND
	;;#ASMSTART
	v_dot2_f32_f16 v81, v5, v96, v81
	;;#ASMEND
	;;#ASMSTART
	v_dot2_f32_f16 v81, v6, v97, v81
	;;#ASMEND
	;;#ASMSTART
	v_dot2_f32_f16 v81, v7, v98, v81
	;;#ASMEND
	s_wait_dscnt 0x4
	;;#ASMSTART
	v_dot2_f32_f16 v80, v4, v99, v80
	;;#ASMEND
	;;#ASMSTART
	v_dot2_f32_f16 v80, v5, v100, v80
	;;#ASMEND
	;;#ASMSTART
	v_dot2_f32_f16 v80, v6, v101, v80
	;;#ASMEND
	;;#ASMSTART
	v_dot2_f32_f16 v80, v7, v102, v80
	;;#ASMEND
	s_wait_dscnt 0x3
	;;#ASMSTART
	v_dot2_f32_f16 v79, v4, v103, v79
	;;#ASMEND
	;;#ASMSTART
	v_dot2_f32_f16 v79, v5, v104, v79
	;;#ASMEND
	;;#ASMSTART
	v_dot2_f32_f16 v79, v6, v105, v79
	;;#ASMEND
	;;#ASMSTART
	v_dot2_f32_f16 v79, v7, v106, v79
	;;#ASMEND
	s_wait_dscnt 0x2
	;;#ASMSTART
	v_dot2_f32_f16 v92, v107, v24, v92
	;;#ASMEND
	;;#ASMSTART
	v_dot2_f32_f16 v92, v108, v25, v92
	;;#ASMEND
	;;#ASMSTART
	v_dot2_f32_f16 v92, v109, v26, v92
	;;#ASMEND
	;;#ASMSTART
	v_dot2_f32_f16 v92, v110, v27, v92
	;;#ASMEND
	;;#ASMSTART
	v_dot2_f32_f16 v84, v107, v95, v84
	;;#ASMEND
	;;#ASMSTART
	v_dot2_f32_f16 v84, v108, v96, v84
	;;#ASMEND
	;; [unrolled: 3-line block ×12, first 2 shown]
	s_wait_dscnt 0x1
	;;#ASMSTART
	v_dot2_f32_f16 v91, v111, v24, v91
	;;#ASMEND
	;;#ASMSTART
	v_dot2_f32_f16 v91, v112, v25, v91
	;;#ASMEND
	;; [unrolled: 3-line block ×16, first 2 shown]
	s_wait_dscnt 0x0
	;;#ASMSTART
	v_dot2_f32_f16 v94, v115, v24, v94
	;;#ASMEND
	;;#ASMSTART
	v_dot2_f32_f16 v94, v116, v25, v94
	;;#ASMEND
	;; [unrolled: 3-line block ×16, first 2 shown]
	ds_load_b128 v[4:7], v53 offset:64
	ds_load_b128 v[24:27], v52 offset:192
	;; [unrolled: 1-line block ×8, first 2 shown]
	s_wait_dscnt 0x6
	;;#ASMSTART
	v_dot2_f32_f16 v87, v4, v24, v87
	;;#ASMEND
	;;#ASMSTART
	v_dot2_f32_f16 v87, v5, v25, v87
	;;#ASMEND
	;;#ASMSTART
	v_dot2_f32_f16 v87, v6, v26, v87
	;;#ASMEND
	;;#ASMSTART
	v_dot2_f32_f16 v87, v7, v27, v87
	;;#ASMEND
	s_wait_dscnt 0x5
	;;#ASMSTART
	v_dot2_f32_f16 v81, v4, v95, v81
	;;#ASMEND
	;;#ASMSTART
	v_dot2_f32_f16 v81, v5, v96, v81
	;;#ASMEND
	;;#ASMSTART
	v_dot2_f32_f16 v81, v6, v97, v81
	;;#ASMEND
	;;#ASMSTART
	v_dot2_f32_f16 v81, v7, v98, v81
	;;#ASMEND
	;; [unrolled: 13-line block ×5, first 2 shown]
	;;#ASMSTART
	v_dot2_f32_f16 v84, v107, v95, v84
	;;#ASMEND
	;;#ASMSTART
	v_dot2_f32_f16 v84, v108, v96, v84
	;;#ASMEND
	;; [unrolled: 3-line block ×12, first 2 shown]
	s_wait_dscnt 0x1
	;;#ASMSTART
	v_dot2_f32_f16 v91, v111, v24, v91
	;;#ASMEND
	;;#ASMSTART
	v_dot2_f32_f16 v91, v112, v25, v91
	;;#ASMEND
	;;#ASMSTART
	v_dot2_f32_f16 v91, v113, v26, v91
	;;#ASMEND
	;;#ASMSTART
	v_dot2_f32_f16 v91, v114, v27, v91
	;;#ASMEND
	;;#ASMSTART
	v_dot2_f32_f16 v88, v111, v95, v88
	;;#ASMEND
	;;#ASMSTART
	v_dot2_f32_f16 v88, v112, v96, v88
	;;#ASMEND
	;;#ASMSTART
	v_dot2_f32_f16 v88, v113, v97, v88
	;;#ASMEND
	;;#ASMSTART
	v_dot2_f32_f16 v88, v114, v98, v88
	;;#ASMEND
	;;#ASMSTART
	v_dot2_f32_f16 v86, v111, v99, v86
	;;#ASMEND
	;;#ASMSTART
	v_dot2_f32_f16 v86, v112, v100, v86
	;;#ASMEND
	;;#ASMSTART
	v_dot2_f32_f16 v86, v113, v101, v86
	;;#ASMEND
	;;#ASMSTART
	v_dot2_f32_f16 v86, v114, v102, v86
	;;#ASMEND
	;;#ASMSTART
	v_dot2_f32_f16 v85, v111, v103, v85
	;;#ASMEND
	;;#ASMSTART
	v_dot2_f32_f16 v85, v112, v104, v85
	;;#ASMEND
	;;#ASMSTART
	v_dot2_f32_f16 v85, v113, v105, v85
	;;#ASMEND
	;;#ASMSTART
	v_dot2_f32_f16 v85, v114, v106, v85
	;;#ASMEND
	s_wait_dscnt 0x0
	;;#ASMSTART
	v_dot2_f32_f16 v94, v115, v24, v94
	;;#ASMEND
	;;#ASMSTART
	v_dot2_f32_f16 v94, v116, v25, v94
	;;#ASMEND
	;; [unrolled: 3-line block ×16, first 2 shown]
	ds_load_b128 v[4:7], v53 offset:80
	ds_load_b128 v[24:27], v52 offset:208
	;; [unrolled: 1-line block ×8, first 2 shown]
	s_wait_dscnt 0x6
	;;#ASMSTART
	v_dot2_f32_f16 v87, v4, v24, v87
	;;#ASMEND
	;;#ASMSTART
	v_dot2_f32_f16 v87, v5, v25, v87
	;;#ASMEND
	;;#ASMSTART
	v_dot2_f32_f16 v87, v6, v26, v87
	;;#ASMEND
	;;#ASMSTART
	v_dot2_f32_f16 v87, v7, v27, v87
	;;#ASMEND
	s_wait_dscnt 0x5
	;;#ASMSTART
	v_dot2_f32_f16 v81, v4, v95, v81
	;;#ASMEND
	;;#ASMSTART
	v_dot2_f32_f16 v81, v5, v96, v81
	;;#ASMEND
	;;#ASMSTART
	v_dot2_f32_f16 v81, v6, v97, v81
	;;#ASMEND
	;;#ASMSTART
	v_dot2_f32_f16 v81, v7, v98, v81
	;;#ASMEND
	;; [unrolled: 13-line block ×5, first 2 shown]
	;;#ASMSTART
	v_dot2_f32_f16 v84, v107, v95, v84
	;;#ASMEND
	;;#ASMSTART
	v_dot2_f32_f16 v84, v108, v96, v84
	;;#ASMEND
	;; [unrolled: 3-line block ×12, first 2 shown]
	s_wait_dscnt 0x1
	;;#ASMSTART
	v_dot2_f32_f16 v91, v111, v24, v91
	;;#ASMEND
	;;#ASMSTART
	v_dot2_f32_f16 v91, v112, v25, v91
	;;#ASMEND
	;; [unrolled: 3-line block ×16, first 2 shown]
	s_wait_dscnt 0x0
	;;#ASMSTART
	v_dot2_f32_f16 v94, v115, v24, v94
	;;#ASMEND
	;;#ASMSTART
	v_dot2_f32_f16 v94, v116, v25, v94
	;;#ASMEND
	;; [unrolled: 3-line block ×16, first 2 shown]
	ds_load_b128 v[4:7], v53 offset:96
	ds_load_b128 v[24:27], v52 offset:224
	;; [unrolled: 1-line block ×8, first 2 shown]
	s_wait_dscnt 0x6
	;;#ASMSTART
	v_dot2_f32_f16 v87, v4, v24, v87
	;;#ASMEND
	;;#ASMSTART
	v_dot2_f32_f16 v87, v5, v25, v87
	;;#ASMEND
	;;#ASMSTART
	v_dot2_f32_f16 v87, v6, v26, v87
	;;#ASMEND
	;;#ASMSTART
	v_dot2_f32_f16 v87, v7, v27, v87
	;;#ASMEND
	s_wait_dscnt 0x5
	;;#ASMSTART
	v_dot2_f32_f16 v81, v4, v95, v81
	;;#ASMEND
	;;#ASMSTART
	v_dot2_f32_f16 v81, v5, v96, v81
	;;#ASMEND
	;;#ASMSTART
	v_dot2_f32_f16 v81, v6, v97, v81
	;;#ASMEND
	;;#ASMSTART
	v_dot2_f32_f16 v81, v7, v98, v81
	;;#ASMEND
	;; [unrolled: 13-line block ×5, first 2 shown]
	;;#ASMSTART
	v_dot2_f32_f16 v84, v107, v95, v84
	;;#ASMEND
	;;#ASMSTART
	v_dot2_f32_f16 v84, v108, v96, v84
	;;#ASMEND
	;; [unrolled: 3-line block ×12, first 2 shown]
	s_wait_dscnt 0x1
	;;#ASMSTART
	v_dot2_f32_f16 v91, v111, v24, v91
	;;#ASMEND
	;;#ASMSTART
	v_dot2_f32_f16 v91, v112, v25, v91
	;;#ASMEND
	;; [unrolled: 3-line block ×16, first 2 shown]
	s_wait_dscnt 0x0
	;;#ASMSTART
	v_dot2_f32_f16 v94, v115, v24, v94
	;;#ASMEND
	;;#ASMSTART
	v_dot2_f32_f16 v94, v116, v25, v94
	;;#ASMEND
	;; [unrolled: 3-line block ×16, first 2 shown]
	ds_load_b128 v[4:7], v53 offset:112
	ds_load_b128 v[24:27], v52 offset:240
	;; [unrolled: 1-line block ×8, first 2 shown]
	s_wait_dscnt 0x6
	;;#ASMSTART
	v_dot2_f32_f16 v87, v4, v24, v87
	;;#ASMEND
	;;#ASMSTART
	v_dot2_f32_f16 v87, v5, v25, v87
	;;#ASMEND
	;;#ASMSTART
	v_dot2_f32_f16 v87, v6, v26, v87
	;;#ASMEND
	;;#ASMSTART
	v_dot2_f32_f16 v87, v7, v27, v87
	;;#ASMEND
	s_wait_dscnt 0x5
	;;#ASMSTART
	v_dot2_f32_f16 v81, v4, v95, v81
	;;#ASMEND
	;;#ASMSTART
	v_dot2_f32_f16 v81, v5, v96, v81
	;;#ASMEND
	;;#ASMSTART
	v_dot2_f32_f16 v81, v6, v97, v81
	;;#ASMEND
	;;#ASMSTART
	v_dot2_f32_f16 v81, v7, v98, v81
	;;#ASMEND
	;; [unrolled: 13-line block ×5, first 2 shown]
	;;#ASMSTART
	v_dot2_f32_f16 v84, v107, v95, v84
	;;#ASMEND
	;;#ASMSTART
	v_dot2_f32_f16 v84, v108, v96, v84
	;;#ASMEND
	;;#ASMSTART
	v_dot2_f32_f16 v84, v109, v97, v84
	;;#ASMEND
	;;#ASMSTART
	v_dot2_f32_f16 v84, v110, v98, v84
	;;#ASMEND
	;;#ASMSTART
	v_dot2_f32_f16 v83, v107, v99, v83
	;;#ASMEND
	;;#ASMSTART
	v_dot2_f32_f16 v83, v108, v100, v83
	;;#ASMEND
	;;#ASMSTART
	v_dot2_f32_f16 v83, v109, v101, v83
	;;#ASMEND
	v_dual_mov_b32 v4, v3 :: v_dual_mov_b32 v5, v2
	v_add_nc_u32_e32 v2, s14, v35
	;;#ASMSTART
	v_dot2_f32_f16 v83, v110, v102, v83
	;;#ASMEND
	;;#ASMSTART
	v_dot2_f32_f16 v82, v107, v103, v82
	;;#ASMEND
	;; [unrolled: 3-line block ×5, first 2 shown]
	s_wait_dscnt 0x1
	;;#ASMSTART
	v_dot2_f32_f16 v91, v111, v24, v91
	;;#ASMEND
	;;#ASMSTART
	v_dot2_f32_f16 v91, v112, v25, v91
	;;#ASMEND
	v_dual_mov_b32 v6, v1 :: v_dual_mov_b32 v7, v0
	v_add_nc_u32_e32 v0, v2, v54
	;;#ASMSTART
	v_dot2_f32_f16 v91, v113, v26, v91
	;;#ASMEND
	;;#ASMSTART
	v_dot2_f32_f16 v91, v114, v27, v91
	;;#ASMEND
	;; [unrolled: 3-line block ×7, first 2 shown]
	v_ashrrev_i32_e32 v1, 31, v0
	;;#ASMSTART
	v_dot2_f32_f16 v86, v112, v100, v86
	;;#ASMEND
	;;#ASMSTART
	v_dot2_f32_f16 v86, v113, v101, v86
	;;#ASMEND
	;; [unrolled: 3-line block ×6, first 2 shown]
	v_lshlrev_b64_e32 v[0:1], 1, v[0:1]
	;;#ASMSTART
	v_dot2_f32_f16 v85, v114, v106, v85
	;;#ASMEND
	s_wait_dscnt 0x0
	;;#ASMSTART
	v_dot2_f32_f16 v94, v115, v24, v94
	;;#ASMEND
	;;#ASMSTART
	v_dot2_f32_f16 v94, v116, v25, v94
	;;#ASMEND
	;; [unrolled: 3-line block ×7, first 2 shown]
	v_add_co_u32 v0, vcc_lo, s36, v0
	;;#ASMSTART
	v_dot2_f32_f16 v93, v118, v98, v93
	;;#ASMEND
	;;#ASMSTART
	v_dot2_f32_f16 v90, v115, v99, v90
	;;#ASMEND
	;; [unrolled: 3-line block ×3, first 2 shown]
	s_wait_alu 0xfffd
	v_add_co_ci_u32_e64 v1, null, s37, v1, vcc_lo
	;;#ASMSTART
	v_dot2_f32_f16 v90, v117, v101, v90
	;;#ASMEND
	;;#ASMSTART
	v_dot2_f32_f16 v90, v118, v102, v90
	;;#ASMEND
	;; [unrolled: 3-line block ×6, first 2 shown]
	s_clause 0x3
	global_load_u16 v24, v[0:1], off
	global_load_u16 v25, v[0:1], off offset:64
	global_load_u16 v26, v[0:1], off offset:128
	;; [unrolled: 1-line block ×3, first 2 shown]
	s_wait_loadcnt 0x3
	v_cvt_f32_f16_e32 v1, v24
	s_wait_loadcnt 0x2
	v_cvt_f32_f16_e32 v24, v25
	;; [unrolled: 2-line block ×4, first 2 shown]
	v_dual_add_f32 v25, v87, v1 :: v_dual_add_f32 v92, v92, v24
	s_delay_alu instid0(VALU_DEP_3) | instskip(NEXT) | instid1(VALU_DEP_2)
	v_dual_add_f32 v91, v91, v26 :: v_dual_add_nc_u32 v2, v2, v56
	v_add_f32_e32 v27, 0x40051340, v25
	s_delay_alu instid0(VALU_DEP_3) | instskip(NEXT) | instid1(VALU_DEP_3)
	v_add_f32_e32 v87, 0x40051340, v92
	v_ashrrev_i32_e32 v3, 31, v2
	s_delay_alu instid0(VALU_DEP_2) | instskip(SKIP_1) | instid1(VALU_DEP_3)
	v_max3_num_f32 v27, v7, v27, v87
	v_dual_add_f32 v87, v94, v0 :: v_dual_add_f32 v94, 0x40051340, v91
	v_lshlrev_b64_e32 v[2:3], 1, v[2:3]
	s_delay_alu instid0(VALU_DEP_2) | instskip(NEXT) | instid1(VALU_DEP_2)
	v_add_f32_e32 v95, 0x40051340, v87
	v_add_co_u32 v2, vcc_lo, s36, v2
	s_delay_alu instid0(VALU_DEP_2)
	v_max3_num_f32 v27, v27, v94, v95
	v_add_f32_e32 v95, v84, v24
	v_add_f32_e32 v84, v88, v26
	;; [unrolled: 1-line block ×4, first 2 shown]
	s_wait_alu 0xfffd
	v_add_co_ci_u32_e64 v3, null, s37, v3, vcc_lo
	v_cmp_gt_i32_e32 vcc_lo, 32, v43
	v_add_f32_e32 v24, 0x40051340, v88
	v_dual_add_f32 v0, 0x40051340, v81 :: v_dual_add_f32 v1, 0x40051340, v95
	s_delay_alu instid0(VALU_DEP_1) | instskip(SKIP_1) | instid1(VALU_DEP_1)
	v_max3_num_f32 v0, v6, v0, v1
	v_add_f32_e32 v1, 0x40051340, v84
	v_max3_num_f32 v0, v0, v1, v24
	s_clause 0x3
	global_load_u16 v1, v[2:3], off
	global_load_u16 v24, v[2:3], off offset:64
	global_load_u16 v26, v[2:3], off offset:128
	;; [unrolled: 1-line block ×3, first 2 shown]
	s_wait_loadcnt 0x0
	s_barrier_signal -1
	s_barrier_wait -1
	global_inv scope:SCOPE_SE
	v_cvt_f32_f16_e32 v1, v1
	v_cvt_f32_f16_e32 v3, v24
	v_cvt_f32_f16_e32 v26, v26
	v_cvt_f32_f16_e32 v2, v2
	s_delay_alu instid0(VALU_DEP_4) | instskip(NEXT) | instid1(VALU_DEP_4)
	v_add_f32_e32 v24, v80, v1
	v_add_f32_e32 v80, v83, v3
	s_delay_alu instid0(VALU_DEP_3) | instskip(SKIP_1) | instid1(VALU_DEP_3)
	v_dual_add_f32 v79, v79, v1 :: v_dual_add_f32 v90, v90, v2
	v_dual_add_f32 v82, v82, v3 :: v_dual_add_f32 v85, v85, v26
	v_add_f32_e32 v93, 0x40051340, v80
	s_delay_alu instid0(VALU_DEP_3) | instskip(SKIP_1) | instid1(VALU_DEP_4)
	v_dual_add_f32 v83, 0x40051340, v24 :: v_dual_add_f32 v94, 0x40051340, v90
	v_add_f32_e32 v89, v89, v2
	v_dual_add_f32 v1, 0x40051340, v79 :: v_dual_add_f32 v2, 0x40051340, v82
	s_delay_alu instid0(VALU_DEP_3) | instskip(SKIP_1) | instid1(VALU_DEP_4)
	v_max3_num_f32 v93, v5, v83, v93
	v_add_f32_e32 v83, v86, v26
	v_add_f32_e32 v3, 0x40051340, v89
	s_delay_alu instid0(VALU_DEP_4) | instskip(SKIP_1) | instid1(VALU_DEP_4)
	v_max3_num_f32 v1, v4, v1, v2
	v_add_f32_e32 v2, 0x40051340, v85
	v_add_f32_e32 v86, 0x40051340, v83
	s_delay_alu instid0(VALU_DEP_2) | instskip(SKIP_4) | instid1(VALU_DEP_3)
	v_max3_num_f32 v3, v1, v2, v3
	s_wait_alu 0xfffd
	v_cndmask_b32_e32 v1, v37, v43, vcc_lo
	v_cmp_gt_i32_e32 vcc_lo, 32, v42
	v_max3_num_f32 v86, v93, v86, v94
	v_lshlrev_b32_e32 v26, 2, v1
	ds_bpermute_b32 v1, v26, v27
	ds_bpermute_b32 v2, v26, v0
	s_wait_dscnt 0x0
	v_dual_max_num_f32 v2, v2, v2 :: v_dual_max_num_f32 v1, v1, v1
	s_delay_alu instid0(VALU_DEP_1) | instskip(SKIP_3) | instid1(VALU_DEP_2)
	v_dual_max_num_f32 v0, v0, v2 :: v_dual_max_num_f32 v1, v27, v1
	s_wait_alu 0xfffd
	v_cndmask_b32_e32 v2, v37, v42, vcc_lo
	v_cmp_gt_i32_e32 vcc_lo, 32, v41
	v_lshlrev_b32_e32 v27, 2, v2
	ds_bpermute_b32 v2, v27, v1
	s_wait_dscnt 0x0
	v_max_num_f32_e32 v2, v2, v2
	s_delay_alu instid0(VALU_DEP_1) | instskip(SKIP_3) | instid1(VALU_DEP_1)
	v_max_num_f32_e32 v1, v1, v2
	ds_bpermute_b32 v2, v27, v0
	s_wait_dscnt 0x0
	v_max_num_f32_e32 v2, v2, v2
	v_max_num_f32_e32 v0, v0, v2
	s_wait_alu 0xfffd
	v_cndmask_b32_e32 v2, v37, v41, vcc_lo
	v_cmp_gt_i32_e32 vcc_lo, 32, v40
	s_delay_alu instid0(VALU_DEP_2) | instskip(SKIP_3) | instid1(VALU_DEP_1)
	v_lshlrev_b32_e32 v93, 2, v2
	ds_bpermute_b32 v2, v93, v1
	s_wait_dscnt 0x0
	v_max_num_f32_e32 v2, v2, v2
	v_max_num_f32_e32 v1, v1, v2
	ds_bpermute_b32 v2, v93, v0
	s_wait_dscnt 0x0
	v_max_num_f32_e32 v2, v2, v2
	s_delay_alu instid0(VALU_DEP_1) | instskip(SKIP_3) | instid1(VALU_DEP_2)
	v_max_num_f32_e32 v0, v0, v2
	s_wait_alu 0xfffd
	v_cndmask_b32_e32 v2, v37, v40, vcc_lo
	v_cmp_gt_i32_e32 vcc_lo, 32, v39
	v_lshlrev_b32_e32 v94, 2, v2
	ds_bpermute_b32 v2, v94, v1
	s_wait_dscnt 0x0
	v_max_num_f32_e32 v2, v2, v2
	s_delay_alu instid0(VALU_DEP_1) | instskip(SKIP_3) | instid1(VALU_DEP_1)
	v_max_num_f32_e32 v1, v1, v2
	ds_bpermute_b32 v2, v94, v0
	s_wait_dscnt 0x0
	v_max_num_f32_e32 v2, v2, v2
	v_max_num_f32_e32 v2, v0, v2
	s_wait_alu 0xfffd
	v_cndmask_b32_e32 v0, v37, v39, vcc_lo
	s_delay_alu instid0(VALU_DEP_1) | instskip(SKIP_4) | instid1(VALU_DEP_1)
	v_lshlrev_b32_e32 v96, 2, v0
	ds_bpermute_b32 v0, v96, v1
	ds_bpermute_b32 v97, v96, v2
	s_wait_dscnt 0x0
	v_dual_max_num_f32 v0, v0, v0 :: v_dual_max_num_f32 v97, v97, v97
	v_dual_max_num_f32 v0, v1, v0 :: v_dual_max_num_f32 v1, v2, v97
	ds_bpermute_b32 v2, v26, v86
	ds_bpermute_b32 v26, v26, v3
	v_sub_f32_e32 v84, v84, v1
	v_sub_f32_e32 v6, v6, v1
	s_wait_dscnt 0x1
	v_max_num_f32_e32 v2, v2, v2
	s_wait_dscnt 0x0
	v_max_num_f32_e32 v26, v26, v26
	s_delay_alu instid0(VALU_DEP_2) | instskip(NEXT) | instid1(VALU_DEP_2)
	v_max_num_f32_e32 v2, v86, v2
	v_max_num_f32_e32 v3, v3, v26
	ds_bpermute_b32 v86, v27, v2
	ds_bpermute_b32 v26, v27, v3
	s_wait_dscnt 0x0
	v_max_num_f32_e32 v26, v26, v26
	s_delay_alu instid0(VALU_DEP_1)
	v_max_num_f32_e32 v3, v3, v26
	v_sub_f32_e32 v25, v25, v0
	v_sub_f32_e32 v87, v87, v0
	;; [unrolled: 1-line block ×3, first 2 shown]
	ds_bpermute_b32 v26, v93, v3
	v_cmp_ngt_f32_e32 vcc_lo, 0xc2ce8ed0, v25
	v_max_num_f32_e32 v86, v86, v86
	v_cmp_nlt_f32_e64 s2, 0x42b17218, v25
	s_delay_alu instid0(VALU_DEP_2) | instskip(SKIP_3) | instid1(VALU_DEP_1)
	v_max_num_f32_e32 v2, v2, v86
	ds_bpermute_b32 v86, v93, v2
	s_wait_dscnt 0x1
	v_max_num_f32_e32 v26, v26, v26
	v_max_num_f32_e32 v3, v3, v26
	ds_bpermute_b32 v26, v94, v3
	s_wait_dscnt 0x1
	v_max_num_f32_e32 v86, v86, v86
	s_delay_alu instid0(VALU_DEP_1) | instskip(SKIP_3) | instid1(VALU_DEP_1)
	v_max_num_f32_e32 v2, v2, v86
	ds_bpermute_b32 v86, v94, v2
	s_wait_dscnt 0x1
	v_max_num_f32_e32 v26, v26, v26
	v_max_num_f32_e32 v3, v3, v26
	ds_bpermute_b32 v26, v96, v3
	s_wait_dscnt 0x1
	v_max_num_f32_e32 v86, v86, v86
	s_delay_alu instid0(VALU_DEP_1) | instskip(SKIP_3) | instid1(VALU_DEP_1)
	v_max_num_f32_e32 v2, v2, v86
	ds_bpermute_b32 v86, v96, v2
	s_wait_dscnt 0x1
	v_max_num_f32_e32 v26, v26, v26
	v_dual_max_num_f32 v3, v3, v26 :: v_dual_mul_f32 v26, 0x3fb8aa3b, v25
	s_delay_alu instid0(VALU_DEP_1) | instskip(SKIP_1) | instid1(VALU_DEP_1)
	v_fma_f32 v27, 0x3fb8aa3b, v25, -v26
	s_wait_dscnt 0x0
	v_dual_max_num_f32 v86, v86, v86 :: v_dual_fmac_f32 v27, 0x32a5705f, v25
	s_delay_alu instid0(VALU_DEP_1) | instskip(NEXT) | instid1(VALU_DEP_1)
	v_dual_sub_f32 v25, v81, v1 :: v_dual_max_num_f32 v2, v2, v86
	v_dual_mul_f32 v81, 0x3fb8aa3b, v25 :: v_dual_sub_f32 v24, v24, v2
	v_cmp_ngt_f32_e64 s3, 0xc2ce8ed0, v25
	v_cmp_nlt_f32_e64 s4, 0x42b17218, v25
	s_delay_alu instid0(VALU_DEP_3) | instskip(NEXT) | instid1(VALU_DEP_4)
	v_fma_f32 v86, 0x3fb8aa3b, v25, -v81
	v_cmp_ngt_f32_e64 s5, 0xc2ce8ed0, v24
	v_cmp_nlt_f32_e64 s6, 0x42b17218, v24
	s_delay_alu instid0(VALU_DEP_3) | instskip(SKIP_1) | instid1(VALU_DEP_1)
	v_fmac_f32_e32 v86, 0x32a5705f, v25
	v_mul_f32_e32 v25, 0x3fb8aa3b, v24
	v_fma_f32 v93, 0x3fb8aa3b, v24, -v25
	s_delay_alu instid0(VALU_DEP_1) | instskip(NEXT) | instid1(VALU_DEP_1)
	v_dual_fmac_f32 v93, 0x32a5705f, v24 :: v_dual_sub_f32 v24, v79, v3
	v_mul_f32_e32 v79, 0x3fb8aa3b, v24
	v_cmp_ngt_f32_e64 s7, 0xc2ce8ed0, v24
	v_cmp_nlt_f32_e64 s8, 0x42b17218, v24
	s_delay_alu instid0(VALU_DEP_3) | instskip(NEXT) | instid1(VALU_DEP_1)
	v_fma_f32 v94, 0x3fb8aa3b, v24, -v79
	v_fmac_f32_e32 v94, 0x32a5705f, v24
	v_rndne_f32_e32 v24, v26
	s_delay_alu instid0(VALU_DEP_1) | instskip(SKIP_2) | instid1(VALU_DEP_3)
	v_sub_f32_e32 v26, v26, v24
	v_cvt_i32_f32_e32 v24, v24
	v_sub_f32_e32 v4, v4, v3
	v_add_f32_e32 v26, v26, v27
	v_rndne_f32_e32 v27, v81
	s_delay_alu instid0(VALU_DEP_1) | instskip(SKIP_1) | instid1(VALU_DEP_2)
	v_sub_f32_e32 v81, v81, v27
	v_cvt_i32_f32_e32 v27, v27
	v_add_f32_e32 v81, v81, v86
	v_rndne_f32_e32 v86, v25
	s_delay_alu instid0(VALU_DEP_1) | instskip(SKIP_1) | instid1(VALU_DEP_1)
	v_sub_f32_e32 v25, v25, v86
	v_exp_f32_e32 v26, v26
	v_add_f32_e32 v25, v25, v93
	v_rndne_f32_e32 v93, v79
	s_delay_alu instid0(VALU_DEP_2) | instskip(NEXT) | instid1(VALU_DEP_1)
	v_exp_f32_e32 v25, v25
	v_sub_f32_e32 v79, v79, v93
	s_delay_alu instid0(TRANS32_DEP_2) | instskip(SKIP_1) | instid1(VALU_DEP_3)
	v_ldexp_f32 v24, v26, v24
	v_cvt_i32_f32_e32 v26, v86
	v_add_f32_e32 v79, v79, v94
	s_delay_alu instid0(TRANS32_DEP_1) | instid1(VALU_DEP_2)
	v_ldexp_f32 v25, v25, v26
	s_delay_alu instid0(VALU_DEP_2) | instskip(SKIP_2) | instid1(VALU_DEP_2)
	v_exp_f32_e32 v79, v79
	v_cvt_i32_f32_e32 v26, v93
	s_wait_alu 0xf1ff
	v_cndmask_b32_e64 v25, 0, v25, s5
	s_delay_alu instid0(TRANS32_DEP_1) | instid1(VALU_DEP_2)
	v_ldexp_f32 v26, v79, v26
	v_exp_f32_e32 v79, v81
	s_delay_alu instid0(VALU_DEP_1) | instskip(NEXT) | instid1(TRANS32_DEP_1)
	v_cndmask_b32_e64 v26, 0, v26, s7
	v_ldexp_f32 v27, v79, v27
	s_wait_alu 0xfffd
	v_cndmask_b32_e32 v79, 0, v24, vcc_lo
	v_cndmask_b32_e64 v24, 0x7f800000, v25, s6
	v_cndmask_b32_e64 v25, 0x7f800000, v26, s8
	;; [unrolled: 1-line block ×3, first 2 shown]
	s_delay_alu instid0(VALU_DEP_4) | instskip(NEXT) | instid1(VALU_DEP_4)
	v_cndmask_b32_e64 v27, 0x7f800000, v79, s2
	v_cvt_f16_f32_e32 v79, v24
	s_delay_alu instid0(VALU_DEP_3) | instskip(SKIP_1) | instid1(VALU_DEP_1)
	v_cndmask_b32_e64 v26, 0x7f800000, v81, s4
	v_cvt_f16_f32_e32 v81, v25
	v_pack_b32_f16 v94, v79, v81
	v_cvt_f16_f32_e32 v79, v27
	s_delay_alu instid0(VALU_DEP_4) | instskip(NEXT) | instid1(VALU_DEP_1)
	v_cvt_f16_f32_e32 v81, v26
	v_pack_b32_f16 v93, v79, v81
	v_sub_f32_e32 v79, v92, v0
	s_delay_alu instid0(VALU_DEP_1) | instskip(SKIP_2) | instid1(VALU_DEP_3)
	v_mul_f32_e32 v81, 0x3fb8aa3b, v79
	v_cmp_ngt_f32_e32 vcc_lo, 0xc2ce8ed0, v79
	v_cmp_nlt_f32_e64 s2, 0x42b17218, v79
	v_fma_f32 v86, 0x3fb8aa3b, v79, -v81
	s_delay_alu instid0(VALU_DEP_1) | instskip(NEXT) | instid1(VALU_DEP_1)
	v_dual_fmac_f32 v86, 0x32a5705f, v79 :: v_dual_sub_f32 v79, v95, v1
	v_mul_f32_e32 v92, 0x3fb8aa3b, v79
	v_cmp_ngt_f32_e64 s3, 0xc2ce8ed0, v79
	v_cmp_nlt_f32_e64 s4, 0x42b17218, v79
	s_delay_alu instid0(VALU_DEP_3) | instskip(NEXT) | instid1(VALU_DEP_1)
	v_fma_f32 v95, 0x3fb8aa3b, v79, -v92
	v_fmac_f32_e32 v95, 0x32a5705f, v79
	v_sub_f32_e32 v79, v80, v2
	s_delay_alu instid0(VALU_DEP_1) | instskip(SKIP_2) | instid1(VALU_DEP_3)
	v_mul_f32_e32 v80, 0x3fb8aa3b, v79
	v_cmp_ngt_f32_e64 s5, 0xc2ce8ed0, v79
	v_cmp_nlt_f32_e64 s6, 0x42b17218, v79
	v_fma_f32 v96, 0x3fb8aa3b, v79, -v80
	s_delay_alu instid0(VALU_DEP_1) | instskip(SKIP_1) | instid1(VALU_DEP_1)
	v_fmac_f32_e32 v96, 0x32a5705f, v79
	v_sub_f32_e32 v79, v82, v3
	v_mul_f32_e32 v82, 0x3fb8aa3b, v79
	v_cmp_ngt_f32_e64 s7, 0xc2ce8ed0, v79
	v_cmp_nlt_f32_e64 s8, 0x42b17218, v79
	s_delay_alu instid0(VALU_DEP_3) | instskip(NEXT) | instid1(VALU_DEP_1)
	v_fma_f32 v97, 0x3fb8aa3b, v79, -v82
	v_fmac_f32_e32 v97, 0x32a5705f, v79
	v_rndne_f32_e32 v79, v81
	s_delay_alu instid0(VALU_DEP_1) | instskip(SKIP_1) | instid1(VALU_DEP_2)
	v_sub_f32_e32 v81, v81, v79
	v_cvt_i32_f32_e32 v79, v79
	v_add_f32_e32 v81, v81, v86
	v_rndne_f32_e32 v86, v92
	s_delay_alu instid0(VALU_DEP_2) | instskip(NEXT) | instid1(VALU_DEP_1)
	v_exp_f32_e32 v81, v81
	v_sub_f32_e32 v92, v92, v86
	s_delay_alu instid0(VALU_DEP_1) | instskip(SKIP_1) | instid1(TRANS32_DEP_1)
	v_add_f32_e32 v92, v92, v95
	v_rndne_f32_e32 v95, v80
	v_ldexp_f32 v79, v81, v79
	s_delay_alu instid0(VALU_DEP_2) | instskip(SKIP_1) | instid1(VALU_DEP_2)
	v_sub_f32_e32 v80, v80, v95
	v_cvt_i32_f32_e32 v81, v95
	v_add_f32_e32 v80, v80, v96
	v_rndne_f32_e32 v96, v82
	s_delay_alu instid0(VALU_DEP_2) | instskip(NEXT) | instid1(VALU_DEP_1)
	v_exp_f32_e32 v80, v80
	v_sub_f32_e32 v82, v82, v96
	s_delay_alu instid0(VALU_DEP_1) | instskip(NEXT) | instid1(TRANS32_DEP_1)
	v_add_f32_e32 v82, v82, v97
	v_ldexp_f32 v80, v80, v81
	s_delay_alu instid0(VALU_DEP_2) | instskip(SKIP_2) | instid1(VALU_DEP_2)
	v_exp_f32_e32 v82, v82
	v_cvt_i32_f32_e32 v81, v96
	s_wait_alu 0xf1ff
	v_cndmask_b32_e64 v80, 0, v80, s5
	s_delay_alu instid0(VALU_DEP_1)
	v_cndmask_b32_e64 v80, 0x7f800000, v80, s6
	s_delay_alu instid0(TRANS32_DEP_1) | instid1(VALU_DEP_3)
	v_ldexp_f32 v81, v82, v81
	v_cvt_i32_f32_e32 v82, v86
	v_exp_f32_e32 v86, v92
	s_delay_alu instid0(VALU_DEP_2) | instskip(NEXT) | instid1(TRANS32_DEP_1)
	v_cndmask_b32_e64 v81, 0, v81, s7
	v_ldexp_f32 v82, v86, v82
	s_wait_alu 0xfffd
	v_cndmask_b32_e32 v86, 0, v79, vcc_lo
	s_delay_alu instid0(VALU_DEP_3) | instskip(NEXT) | instid1(VALU_DEP_3)
	v_cndmask_b32_e64 v79, 0x7f800000, v81, s8
	v_cndmask_b32_e64 v92, 0, v82, s3
	s_delay_alu instid0(VALU_DEP_3) | instskip(SKIP_2) | instid1(VALU_DEP_4)
	v_cndmask_b32_e64 v82, 0x7f800000, v86, s2
	v_cvt_f16_f32_e32 v86, v80
	v_cmp_ngt_f32_e64 s3, 0xc2ce8ed0, v84
	v_cndmask_b32_e64 v81, 0x7f800000, v92, s4
	v_cvt_f16_f32_e32 v92, v79
	v_cmp_nlt_f32_e64 s4, 0x42b17218, v84
	s_delay_alu instid0(VALU_DEP_2) | instskip(SKIP_2) | instid1(VALU_DEP_1)
	v_pack_b32_f16 v96, v86, v92
	v_cvt_f16_f32_e32 v86, v82
	v_cvt_f16_f32_e32 v92, v81
	v_pack_b32_f16 v95, v86, v92
	v_sub_f32_e32 v86, v91, v0
	ds_store_2addr_b64 v62, v[93:94], v[95:96] offset1:32
	v_mul_f32_e32 v91, 0x3fb8aa3b, v86
	v_cmp_ngt_f32_e32 vcc_lo, 0xc2ce8ed0, v86
	v_cmp_nlt_f32_e64 s2, 0x42b17218, v86
	s_delay_alu instid0(VALU_DEP_3) | instskip(NEXT) | instid1(VALU_DEP_1)
	v_fma_f32 v92, 0x3fb8aa3b, v86, -v91
	v_fmac_f32_e32 v92, 0x32a5705f, v86
	v_mul_f32_e32 v86, 0x3fb8aa3b, v84
	s_delay_alu instid0(VALU_DEP_1) | instskip(NEXT) | instid1(VALU_DEP_1)
	v_fma_f32 v93, 0x3fb8aa3b, v84, -v86
	v_fmac_f32_e32 v93, 0x32a5705f, v84
	v_sub_f32_e32 v83, v83, v2
	s_delay_alu instid0(VALU_DEP_1) | instskip(SKIP_2) | instid1(VALU_DEP_3)
	v_dual_sub_f32 v5, v5, v2 :: v_dual_mul_f32 v84, 0x3fb8aa3b, v83
	v_cmp_ngt_f32_e64 s5, 0xc2ce8ed0, v83
	v_cmp_nlt_f32_e64 s6, 0x42b17218, v83
	v_fma_f32 v94, 0x3fb8aa3b, v83, -v84
	s_delay_alu instid0(VALU_DEP_1) | instskip(SKIP_1) | instid1(VALU_DEP_1)
	v_fmac_f32_e32 v94, 0x32a5705f, v83
	v_sub_f32_e32 v83, v85, v3
	v_mul_f32_e32 v85, 0x3fb8aa3b, v83
	v_cmp_ngt_f32_e64 s7, 0xc2ce8ed0, v83
	v_cmp_nlt_f32_e64 s8, 0x42b17218, v83
	s_delay_alu instid0(VALU_DEP_3) | instskip(NEXT) | instid1(VALU_DEP_1)
	v_fma_f32 v95, 0x3fb8aa3b, v83, -v85
	v_fmac_f32_e32 v95, 0x32a5705f, v83
	v_rndne_f32_e32 v83, v91
	s_delay_alu instid0(VALU_DEP_1) | instskip(SKIP_1) | instid1(VALU_DEP_2)
	v_sub_f32_e32 v91, v91, v83
	v_cvt_i32_f32_e32 v83, v83
	v_add_f32_e32 v91, v91, v92
	v_rndne_f32_e32 v92, v86
	s_delay_alu instid0(VALU_DEP_2) | instskip(NEXT) | instid1(VALU_DEP_1)
	v_exp_f32_e32 v91, v91
	v_sub_f32_e32 v86, v86, v92
	s_delay_alu instid0(VALU_DEP_1) | instskip(SKIP_1) | instid1(TRANS32_DEP_1)
	v_add_f32_e32 v86, v86, v93
	v_rndne_f32_e32 v93, v84
	v_ldexp_f32 v83, v91, v83
	s_delay_alu instid0(VALU_DEP_3) | instskip(NEXT) | instid1(VALU_DEP_2)
	v_exp_f32_e32 v86, v86
	v_sub_f32_e32 v84, v84, v93
	v_cvt_i32_f32_e32 v91, v93
	s_delay_alu instid0(VALU_DEP_2) | instskip(SKIP_1) | instid1(VALU_DEP_2)
	v_add_f32_e32 v84, v84, v94
	v_rndne_f32_e32 v94, v85
	v_exp_f32_e32 v84, v84
	s_delay_alu instid0(VALU_DEP_1) | instskip(NEXT) | instid1(VALU_DEP_1)
	v_sub_f32_e32 v85, v85, v94
	v_add_f32_e32 v85, v85, v95
	s_delay_alu instid0(TRANS32_DEP_1) | instskip(NEXT) | instid1(VALU_DEP_2)
	v_ldexp_f32 v84, v84, v91
	v_exp_f32_e32 v85, v85
	v_cvt_i32_f32_e32 v91, v94
	s_wait_alu 0xf1ff
	s_delay_alu instid0(VALU_DEP_2) | instskip(NEXT) | instid1(VALU_DEP_1)
	v_cndmask_b32_e64 v84, 0, v84, s5
	v_cndmask_b32_e64 v84, 0x7f800000, v84, s6
	s_delay_alu instid0(TRANS32_DEP_1) | instid1(VALU_DEP_3)
	v_ldexp_f32 v85, v85, v91
	v_cvt_i32_f32_e32 v91, v92
	s_delay_alu instid0(VALU_DEP_2) | instskip(NEXT) | instid1(VALU_DEP_2)
	v_cndmask_b32_e64 v85, 0, v85, s7
	v_ldexp_f32 v86, v86, v91
	s_wait_alu 0xfffd
	v_cndmask_b32_e32 v91, 0, v83, vcc_lo
	v_cmp_ngt_f32_e32 vcc_lo, 0xc2ce8ed0, v87
	v_cndmask_b32_e64 v83, 0x7f800000, v85, s8
	v_cndmask_b32_e64 v92, 0, v86, s3
	s_delay_alu instid0(VALU_DEP_4) | instskip(SKIP_2) | instid1(VALU_DEP_4)
	v_cndmask_b32_e64 v86, 0x7f800000, v91, s2
	v_cvt_f16_f32_e32 v91, v84
	v_cmp_nlt_f32_e64 s2, 0x42b17218, v87
	v_cndmask_b32_e64 v85, 0x7f800000, v92, s4
	v_cvt_f16_f32_e32 v92, v83
	s_delay_alu instid0(VALU_DEP_2) | instskip(NEXT) | instid1(VALU_DEP_2)
	v_cvt_f16_f32_e32 v93, v85
	v_pack_b32_f16 v92, v91, v92
	v_cvt_f16_f32_e32 v91, v86
	s_delay_alu instid0(VALU_DEP_1) | instskip(SKIP_1) | instid1(VALU_DEP_1)
	v_pack_b32_f16 v91, v91, v93
	v_mul_f32_e32 v93, 0x3fb8aa3b, v87
	v_fma_f32 v94, 0x3fb8aa3b, v87, -v93
	s_delay_alu instid0(VALU_DEP_1) | instskip(NEXT) | instid1(VALU_DEP_1)
	v_dual_fmac_f32 v94, 0x32a5705f, v87 :: v_dual_sub_f32 v87, v88, v1
	v_mul_f32_e32 v88, 0x3fb8aa3b, v87
	v_cmp_ngt_f32_e64 s3, 0xc2ce8ed0, v87
	v_cmp_nlt_f32_e64 s4, 0x42b17218, v87
	s_delay_alu instid0(VALU_DEP_3) | instskip(NEXT) | instid1(VALU_DEP_1)
	v_fma_f32 v95, 0x3fb8aa3b, v87, -v88
	v_fmac_f32_e32 v95, 0x32a5705f, v87
	v_sub_f32_e32 v87, v90, v2
	s_delay_alu instid0(VALU_DEP_1) | instskip(SKIP_2) | instid1(VALU_DEP_3)
	v_mul_f32_e32 v90, 0x3fb8aa3b, v87
	v_cmp_ngt_f32_e64 s5, 0xc2ce8ed0, v87
	v_cmp_nlt_f32_e64 s6, 0x42b17218, v87
	v_fma_f32 v96, 0x3fb8aa3b, v87, -v90
	s_delay_alu instid0(VALU_DEP_1) | instskip(SKIP_1) | instid1(VALU_DEP_1)
	v_fmac_f32_e32 v96, 0x32a5705f, v87
	v_sub_f32_e32 v87, v89, v3
	v_mul_f32_e32 v89, 0x3fb8aa3b, v87
	v_cmp_ngt_f32_e64 s7, 0xc2ce8ed0, v87
	v_cmp_nlt_f32_e64 s8, 0x42b17218, v87
	s_delay_alu instid0(VALU_DEP_3) | instskip(NEXT) | instid1(VALU_DEP_1)
	v_fma_f32 v97, 0x3fb8aa3b, v87, -v89
	v_fmac_f32_e32 v97, 0x32a5705f, v87
	v_rndne_f32_e32 v87, v93
	s_delay_alu instid0(VALU_DEP_1) | instskip(SKIP_1) | instid1(VALU_DEP_2)
	v_sub_f32_e32 v93, v93, v87
	v_cvt_i32_f32_e32 v87, v87
	v_add_f32_e32 v93, v93, v94
	v_rndne_f32_e32 v94, v88
	s_delay_alu instid0(VALU_DEP_2) | instskip(NEXT) | instid1(VALU_DEP_1)
	v_exp_f32_e32 v93, v93
	v_sub_f32_e32 v88, v88, v94
	s_delay_alu instid0(VALU_DEP_1) | instskip(SKIP_1) | instid1(TRANS32_DEP_1)
	v_add_f32_e32 v88, v88, v95
	v_rndne_f32_e32 v95, v90
	v_ldexp_f32 v87, v93, v87
	s_delay_alu instid0(VALU_DEP_3) | instskip(NEXT) | instid1(VALU_DEP_2)
	v_exp_f32_e32 v88, v88
	v_sub_f32_e32 v90, v90, v95
	v_cvt_i32_f32_e32 v93, v95
	s_delay_alu instid0(VALU_DEP_2) | instskip(SKIP_1) | instid1(VALU_DEP_2)
	v_add_f32_e32 v90, v90, v96
	v_rndne_f32_e32 v96, v89
	v_exp_f32_e32 v90, v90
	s_delay_alu instid0(VALU_DEP_1) | instskip(NEXT) | instid1(VALU_DEP_1)
	v_sub_f32_e32 v89, v89, v96
	v_add_f32_e32 v89, v89, v97
	s_delay_alu instid0(TRANS32_DEP_1) | instskip(NEXT) | instid1(VALU_DEP_2)
	v_ldexp_f32 v90, v90, v93
	v_exp_f32_e32 v89, v89
	v_cvt_i32_f32_e32 v93, v96
	s_wait_alu 0xf1ff
	s_delay_alu instid0(VALU_DEP_2)
	v_cndmask_b32_e64 v90, 0, v90, s5
	v_cmp_ngt_f32_e64 s5, 0xc2ce8ed0, v6
	s_delay_alu instid0(TRANS32_DEP_1) | instid1(VALU_DEP_3)
	v_ldexp_f32 v89, v89, v93
	v_cvt_i32_f32_e32 v93, v94
	s_delay_alu instid0(VALU_DEP_2) | instskip(NEXT) | instid1(VALU_DEP_2)
	v_cndmask_b32_e64 v89, 0, v89, s7
	v_ldexp_f32 v88, v88, v93
	s_wait_alu 0xfffd
	v_cndmask_b32_e32 v93, 0, v87, vcc_lo
	v_cmp_ngt_f32_e64 s7, 0xc2ce8ed0, v4
	v_cndmask_b32_e64 v87, 0x7f800000, v89, s8
	v_cndmask_b32_e64 v94, 0, v88, s3
	;; [unrolled: 1-line block ×4, first 2 shown]
	s_mul_u64 s[2:3], s[14:15], s[26:27]
	v_cmp_nlt_f32_e64 s6, 0x42b17218, v6
	v_cndmask_b32_e64 v89, 0x7f800000, v94, s4
	v_cvt_f16_f32_e32 v93, v88
	v_cvt_f16_f32_e32 v94, v87
	s_wait_alu 0xfffe
	s_lshl_b64 s[2:3], s[2:3], 2
	v_cmp_nlt_f32_e64 s4, 0x42b17218, v7
	v_cvt_f16_f32_e32 v95, v89
	s_wait_alu 0xfffe
	s_add_nc_u64 s[2:3], s[40:41], s[2:3]
	v_pack_b32_f16 v94, v93, v94
	v_cvt_f16_f32_e32 v93, v90
	v_cmp_nlt_f32_e64 s8, 0x42b17218, v4
	s_delay_alu instid0(VALU_DEP_2)
	v_pack_b32_f16 v93, v93, v95
	ds_store_2addr_b64 v62, v[91:92], v[93:94] offset0:64 offset1:96
	s_wait_alu 0xfffe
	v_add_co_u32 v91, vcc_lo, s2, v16
	s_wait_alu 0xfffd
	v_add_co_ci_u32_e64 v92, null, s3, v17, vcc_lo
	s_delay_alu instid0(VALU_DEP_2) | instskip(SKIP_1) | instid1(VALU_DEP_2)
	v_add_co_u32 v91, vcc_lo, v91, v63
	s_wait_alu 0xfffd
	v_add_co_ci_u32_e64 v92, null, 0, v92, vcc_lo
	global_load_b128 v[91:94], v[91:92], off
	s_wait_loadcnt 0x0
	ds_store_b128 v55, v[91:94]
	v_add_co_u32 v91, vcc_lo, s2, v18
	s_wait_alu 0xfffd
	v_add_co_ci_u32_e64 v92, null, s3, v19, vcc_lo
	s_delay_alu instid0(VALU_DEP_2) | instskip(SKIP_1) | instid1(VALU_DEP_2)
	v_add_co_u32 v91, vcc_lo, v91, v63
	s_wait_alu 0xfffd
	v_add_co_ci_u32_e64 v92, null, 0, v92, vcc_lo
	global_load_b128 v[91:94], v[91:92], off
	s_wait_loadcnt 0x0
	ds_store_b128 v58, v[91:94]
	;; [unrolled: 10-line block ×3, first 2 shown]
	v_add_co_u32 v91, vcc_lo, s2, v22
	s_wait_alu 0xfffd
	v_add_co_ci_u32_e64 v92, null, s3, v23, vcc_lo
	v_cmp_ngt_f32_e64 s3, 0xc2ce8ed0, v7
	s_delay_alu instid0(VALU_DEP_3) | instskip(SKIP_1) | instid1(VALU_DEP_3)
	v_add_co_u32 v91, vcc_lo, v91, v63
	s_wait_alu 0xfffd
	v_add_co_ci_u32_e64 v92, null, 0, v92, vcc_lo
	v_cmp_ngt_f32_e32 vcc_lo, 0xc2ce8ed0, v5
	v_cmp_nlt_f32_e64 s2, 0x42b17218, v5
	global_load_b128 v[91:94], v[91:92], off
	s_wait_loadcnt 0x0
	ds_store_b128 v60, v[91:94]
	s_wait_dscnt 0x0
	s_barrier_signal -1
	s_barrier_wait -1
	global_inv scope:SCOPE_SE
	ds_load_b128 v[91:94], v57
	s_wait_dscnt 0x0
	v_lshrrev_b32_e32 v95, 16, v91
	v_and_b32_e32 v97, 0xffff, v91
	v_mul_f32_e32 v91, 0x3fb8aa3b, v7
	v_lshrrev_b32_e32 v96, 16, v92
	v_and_b32_e32 v98, 0xffff, v92
	v_lshrrev_b32_e32 v99, 16, v93
	v_and_b32_e32 v101, 0xffff, v93
	v_fma_f32 v92, 0x3fb8aa3b, v7, -v91
	v_lshrrev_b32_e32 v100, 16, v94
	v_and_b32_e32 v102, 0xffff, v94
	v_mul_u32_u24_e32 v97, 0x10001, v97
	v_mul_u32_u24_e32 v95, 0x10001, v95
	v_fmac_f32_e32 v92, 0x32a5705f, v7
	v_mul_f32_e32 v7, 0x3fb8aa3b, v6
	v_mul_u32_u24_e32 v96, 0x10001, v96
	s_delay_alu instid0(VALU_DEP_2) | instskip(NEXT) | instid1(VALU_DEP_1)
	v_fma_f32 v93, 0x3fb8aa3b, v6, -v7
	v_fmac_f32_e32 v93, 0x32a5705f, v6
	v_mul_f32_e32 v6, 0x3fb8aa3b, v5
	s_delay_alu instid0(VALU_DEP_1) | instskip(NEXT) | instid1(VALU_DEP_1)
	v_fma_f32 v94, 0x3fb8aa3b, v5, -v6
	v_fmac_f32_e32 v94, 0x32a5705f, v5
	v_mul_f32_e32 v5, 0x3fb8aa3b, v4
	s_delay_alu instid0(VALU_DEP_1) | instskip(NEXT) | instid1(VALU_DEP_1)
	v_fma_f32 v103, 0x3fb8aa3b, v4, -v5
	v_fmac_f32_e32 v103, 0x32a5705f, v4
	v_rndne_f32_e32 v4, v91
	s_delay_alu instid0(VALU_DEP_1) | instskip(SKIP_1) | instid1(VALU_DEP_2)
	v_sub_f32_e32 v91, v91, v4
	v_cvt_i32_f32_e32 v4, v4
	v_add_f32_e32 v91, v91, v92
	v_rndne_f32_e32 v92, v7
	s_delay_alu instid0(VALU_DEP_2) | instskip(NEXT) | instid1(VALU_DEP_1)
	v_exp_f32_e32 v91, v91
	v_sub_f32_e32 v7, v7, v92
	s_delay_alu instid0(VALU_DEP_1) | instskip(SKIP_2) | instid1(TRANS32_DEP_1)
	v_add_f32_e32 v7, v7, v93
	v_rndne_f32_e32 v93, v6
	v_mul_u32_u24_e32 v98, 0x10001, v98
	v_ldexp_f32 v4, v91, v4
	s_delay_alu instid0(VALU_DEP_4) | instskip(NEXT) | instid1(VALU_DEP_3)
	v_exp_f32_e32 v7, v7
	v_sub_f32_e32 v6, v6, v93
	v_cvt_i32_f32_e32 v91, v92
	s_wait_alu 0xf1ff
	v_cndmask_b32_e64 v4, 0, v4, s3
	s_delay_alu instid0(VALU_DEP_3) | instskip(SKIP_1) | instid1(VALU_DEP_2)
	v_add_f32_e32 v6, v6, v94
	v_rndne_f32_e32 v94, v5
	v_exp_f32_e32 v6, v6
	s_delay_alu instid0(VALU_DEP_1) | instskip(NEXT) | instid1(VALU_DEP_1)
	v_sub_f32_e32 v5, v5, v94
	v_add_f32_e32 v5, v5, v103
	v_ldexp_f32 v103, v7, v91
	v_cndmask_b32_e64 v91, 0x7f800000, v4, s4
	v_cvt_i32_f32_e32 v7, v93
	s_delay_alu instid0(VALU_DEP_4) | instskip(NEXT) | instid1(VALU_DEP_2)
	v_exp_f32_e32 v5, v5
	v_cvt_f16_f32_e32 v4, v91
	s_delay_alu instid0(TRANS32_DEP_2) | instid1(VALU_DEP_2)
	v_ldexp_f32 v104, v6, v7
	v_cvt_i32_f32_e32 v6, v94
	s_delay_alu instid0(VALU_DEP_3)
	v_and_b32_e32 v4, 0xffff, v4
	s_delay_alu instid0(TRANS32_DEP_1) | instid1(VALU_DEP_2)
	v_ldexp_f32 v92, v5, v6
	s_delay_alu instid0(VALU_DEP_2) | instskip(SKIP_3) | instid1(VALU_DEP_2)
	v_mul_u32_u24_e32 v93, 0x10001, v4
	ds_load_2addr_b64 v[4:7], v36 offset1:32
	v_cndmask_b32_e64 v92, 0, v92, s7
	v_pk_mul_f16 v78, v78, v93
	v_cndmask_b32_e64 v92, 0x7f800000, v92, s8
	s_wait_dscnt 0x0
	v_pk_mul_f16 v94, v4, v97
	s_delay_alu instid0(VALU_DEP_3) | instskip(NEXT) | instid1(VALU_DEP_2)
	v_pk_fma_f16 v78, v5, v97, v78
	v_pk_fma_f16 v77, v77, v93, v94
	v_cvt_f16_f32_e32 v93, v92
	s_delay_alu instid0(VALU_DEP_1) | instskip(NEXT) | instid1(VALU_DEP_1)
	v_and_b32_e32 v93, 0xffff, v93
	v_mul_u32_u24_e32 v93, 0x10001, v93
	s_delay_alu instid0(VALU_DEP_1) | instskip(SKIP_3) | instid1(VALU_DEP_3)
	v_pk_mul_f16 v72, v72, v93
	v_pk_mul_f16 v71, v71, v93
	v_cndmask_b32_e64 v93, 0, v103, s5
	v_pk_mul_f16 v103, v4, v95
	v_pk_fma_f16 v71, v5, v96, v71
	s_delay_alu instid0(VALU_DEP_3) | instskip(NEXT) | instid1(VALU_DEP_1)
	v_cndmask_b32_e64 v93, 0x7f800000, v93, s6
	v_cvt_f16_f32_e32 v94, v93
	s_delay_alu instid0(VALU_DEP_1) | instskip(NEXT) | instid1(VALU_DEP_1)
	v_and_b32_e32 v94, 0xffff, v94
	v_mul_u32_u24_e32 v94, 0x10001, v94
	s_delay_alu instid0(VALU_DEP_1)
	v_pk_fma_f16 v76, v76, v94, v103
	v_pk_mul_f16 v75, v75, v94
	s_wait_alu 0xfffd
	v_cndmask_b32_e32 v94, 0, v104, vcc_lo
	v_pk_mul_f16 v104, v4, v98
	v_pk_fma_f16 v4, v4, v96, v72
	v_pk_fma_f16 v72, v5, v95, v75
	s_delay_alu instid0(VALU_DEP_4) | instskip(SKIP_3) | instid1(VALU_DEP_1)
	v_cndmask_b32_e64 v94, 0x7f800000, v94, s2
	s_or_b32 s2, s14, 64
	s_wait_alu 0xfffe
	s_ashr_i32 s3, s2, 31
	v_cvt_f16_f32_e32 v103, v94
	s_wait_alu 0xfffe
	s_mul_u64 s[2:3], s[2:3], s[26:27]
	s_wait_alu 0xfffe
	s_lshl_b64 s[2:3], s[2:3], 2
	v_and_b32_e32 v103, 0xffff, v103
	s_wait_alu 0xfffe
	s_add_nc_u64 s[2:3], s[40:41], s[2:3]
	s_delay_alu instid0(VALU_DEP_1) | instskip(NEXT) | instid1(VALU_DEP_1)
	v_mul_u32_u24_e32 v103, 0x10001, v103
	v_pk_mul_f16 v73, v73, v103
	v_pk_fma_f16 v74, v74, v103, v104
	s_delay_alu instid0(VALU_DEP_2) | instskip(SKIP_1) | instid1(VALU_DEP_1)
	v_pk_fma_f16 v5, v5, v98, v73
	v_mul_u32_u24_e32 v73, 0x10001, v100
	v_pk_fma_f16 v75, v6, v73, v4
	v_mul_u32_u24_e32 v4, 0x10001, v101
	v_pk_fma_f16 v71, v7, v73, v71
	s_delay_alu instid0(VALU_DEP_2) | instskip(SKIP_2) | instid1(VALU_DEP_1)
	v_pk_fma_f16 v73, v7, v4, v78
	v_pk_fma_f16 v77, v6, v4, v77
	v_mul_u32_u24_e32 v4, 0x10001, v99
	v_pk_fma_f16 v72, v7, v4, v72
	v_pk_fma_f16 v76, v6, v4, v76
	v_mul_u32_u24_e32 v4, 0x10001, v102
	s_delay_alu instid0(VALU_DEP_1)
	v_pk_fma_f16 v78, v7, v4, v5
	v_pk_fma_f16 v74, v6, v4, v74
	ds_load_b128 v[4:7], v57 offset:16
	s_wait_dscnt 0x0
	v_lshrrev_b32_e32 v95, 16, v4
	v_lshrrev_b32_e32 v96, 16, v5
	v_and_b32_e32 v97, 0xffff, v4
	v_and_b32_e32 v98, 0xffff, v5
	v_lshrrev_b32_e32 v99, 16, v6
	v_lshrrev_b32_e32 v100, 16, v7
	v_and_b32_e32 v101, 0xffff, v6
	v_and_b32_e32 v102, 0xffff, v7
	ds_load_2addr_b64 v[4:7], v36 offset0:64 offset1:96
	v_mul_u32_u24_e32 v96, 0x10001, v96
	v_mul_u32_u24_e32 v95, 0x10001, v95
	s_wait_dscnt 0x0
	s_delay_alu instid0(VALU_DEP_2)
	v_pk_fma_f16 v75, v4, v96, v75
	v_pk_fma_f16 v71, v5, v96, v71
	v_mul_u32_u24_e32 v96, 0x10001, v97
	v_pk_fma_f16 v72, v5, v95, v72
	v_pk_fma_f16 v76, v4, v95, v76
	v_mul_u32_u24_e32 v95, 0x10001, v98
	s_delay_alu instid0(VALU_DEP_4) | instskip(SKIP_1) | instid1(VALU_DEP_3)
	v_pk_fma_f16 v77, v4, v96, v77
	v_pk_fma_f16 v73, v5, v96, v73
	v_pk_fma_f16 v4, v4, v95, v74
	v_mul_u32_u24_e32 v74, 0x10001, v100
	v_pk_fma_f16 v5, v5, v95, v78
	s_delay_alu instid0(VALU_DEP_2) | instskip(SKIP_2) | instid1(VALU_DEP_1)
	v_pk_fma_f16 v75, v6, v74, v75
	v_pk_fma_f16 v71, v7, v74, v71
	v_mul_u32_u24_e32 v74, 0x10001, v101
	v_pk_fma_f16 v73, v7, v74, v73
	v_pk_fma_f16 v74, v6, v74, v77
	v_mul_u32_u24_e32 v77, 0x10001, v99
	s_delay_alu instid0(VALU_DEP_1) | instskip(SKIP_2) | instid1(VALU_DEP_1)
	v_pk_fma_f16 v72, v7, v77, v72
	v_pk_fma_f16 v76, v6, v77, v76
	v_mul_u32_u24_e32 v77, 0x10001, v102
	v_pk_fma_f16 v78, v7, v77, v5
	v_pk_fma_f16 v77, v6, v77, v4
	ds_load_b128 v[4:7], v57 offset:32
	s_wait_dscnt 0x0
	v_lshrrev_b32_e32 v95, 16, v4
	v_lshrrev_b32_e32 v96, 16, v5
	v_and_b32_e32 v97, 0xffff, v4
	v_and_b32_e32 v98, 0xffff, v5
	v_lshrrev_b32_e32 v99, 16, v6
	v_lshrrev_b32_e32 v100, 16, v7
	v_and_b32_e32 v101, 0xffff, v6
	v_and_b32_e32 v102, 0xffff, v7
	ds_load_2addr_b64 v[4:7], v36 offset0:128 offset1:160
	v_mul_u32_u24_e32 v96, 0x10001, v96
	v_mul_u32_u24_e32 v95, 0x10001, v95
	s_wait_dscnt 0x0
	s_delay_alu instid0(VALU_DEP_2)
	v_pk_fma_f16 v75, v4, v96, v75
	v_pk_fma_f16 v71, v5, v96, v71
	v_mul_u32_u24_e32 v96, 0x10001, v97
	v_pk_fma_f16 v72, v5, v95, v72
	v_pk_fma_f16 v76, v4, v95, v76
	v_mul_u32_u24_e32 v95, 0x10001, v98
	s_delay_alu instid0(VALU_DEP_4) | instskip(SKIP_1) | instid1(VALU_DEP_3)
	v_pk_fma_f16 v74, v4, v96, v74
	v_pk_fma_f16 v73, v5, v96, v73
	v_pk_fma_f16 v4, v4, v95, v77
	v_mul_u32_u24_e32 v77, 0x10001, v100
	v_pk_fma_f16 v5, v5, v95, v78
	s_delay_alu instid0(VALU_DEP_2) | instskip(SKIP_2) | instid1(VALU_DEP_1)
	v_pk_fma_f16 v75, v6, v77, v75
	v_pk_fma_f16 v71, v7, v77, v71
	v_mul_u32_u24_e32 v77, 0x10001, v101
	v_pk_fma_f16 v73, v7, v77, v73
	v_pk_fma_f16 v74, v6, v77, v74
	v_mul_u32_u24_e32 v77, 0x10001, v99
	s_delay_alu instid0(VALU_DEP_1) | instskip(SKIP_2) | instid1(VALU_DEP_1)
	v_pk_fma_f16 v72, v7, v77, v72
	v_pk_fma_f16 v76, v6, v77, v76
	v_mul_u32_u24_e32 v77, 0x10001, v102
	;; [unrolled: 40-line block ×3, first 2 shown]
	v_pk_fma_f16 v78, v7, v77, v5
	v_pk_fma_f16 v77, v6, v77, v4
	ds_load_b128 v[4:7], v57 offset:64
	s_wait_dscnt 0x0
	v_lshrrev_b32_e32 v95, 16, v4
	v_lshrrev_b32_e32 v96, 16, v5
	v_and_b32_e32 v97, 0xffff, v4
	v_and_b32_e32 v98, 0xffff, v5
	v_lshrrev_b32_e32 v99, 16, v6
	v_lshrrev_b32_e32 v100, 16, v7
	v_and_b32_e32 v101, 0xffff, v6
	v_and_b32_e32 v102, 0xffff, v7
	ds_load_2addr_b64 v[4:7], v64 offset1:32
	v_mul_u32_u24_e32 v96, 0x10001, v96
	v_mul_u32_u24_e32 v95, 0x10001, v95
	s_wait_dscnt 0x0
	s_delay_alu instid0(VALU_DEP_2)
	v_pk_fma_f16 v75, v4, v96, v75
	v_pk_fma_f16 v71, v5, v96, v71
	v_mul_u32_u24_e32 v96, 0x10001, v97
	v_pk_fma_f16 v72, v5, v95, v72
	v_pk_fma_f16 v76, v4, v95, v76
	v_mul_u32_u24_e32 v95, 0x10001, v98
	s_delay_alu instid0(VALU_DEP_4) | instskip(SKIP_1) | instid1(VALU_DEP_3)
	v_pk_fma_f16 v74, v4, v96, v74
	v_pk_fma_f16 v73, v5, v96, v73
	v_pk_fma_f16 v4, v4, v95, v77
	v_mul_u32_u24_e32 v77, 0x10001, v100
	v_pk_fma_f16 v5, v5, v95, v78
	s_delay_alu instid0(VALU_DEP_2) | instskip(SKIP_2) | instid1(VALU_DEP_1)
	v_pk_fma_f16 v75, v6, v77, v75
	v_pk_fma_f16 v71, v7, v77, v71
	v_mul_u32_u24_e32 v77, 0x10001, v101
	v_pk_fma_f16 v73, v7, v77, v73
	v_pk_fma_f16 v74, v6, v77, v74
	v_mul_u32_u24_e32 v77, 0x10001, v99
	s_delay_alu instid0(VALU_DEP_1) | instskip(SKIP_2) | instid1(VALU_DEP_1)
	v_pk_fma_f16 v72, v7, v77, v72
	v_pk_fma_f16 v76, v6, v77, v76
	v_mul_u32_u24_e32 v77, 0x10001, v102
	v_pk_fma_f16 v78, v7, v77, v5
	v_pk_fma_f16 v77, v6, v77, v4
	ds_load_b128 v[4:7], v57 offset:80
	s_wait_dscnt 0x0
	v_lshrrev_b32_e32 v95, 16, v4
	v_lshrrev_b32_e32 v96, 16, v5
	v_and_b32_e32 v97, 0xffff, v4
	v_and_b32_e32 v98, 0xffff, v5
	v_lshrrev_b32_e32 v99, 16, v6
	v_lshrrev_b32_e32 v100, 16, v7
	v_and_b32_e32 v101, 0xffff, v6
	v_and_b32_e32 v102, 0xffff, v7
	ds_load_2addr_b64 v[4:7], v64 offset0:64 offset1:96
	v_mul_u32_u24_e32 v96, 0x10001, v96
	v_mul_u32_u24_e32 v95, 0x10001, v95
	s_wait_dscnt 0x0
	s_delay_alu instid0(VALU_DEP_2)
	v_pk_fma_f16 v75, v4, v96, v75
	v_pk_fma_f16 v71, v5, v96, v71
	v_mul_u32_u24_e32 v96, 0x10001, v97
	v_pk_fma_f16 v72, v5, v95, v72
	v_pk_fma_f16 v76, v4, v95, v76
	v_mul_u32_u24_e32 v95, 0x10001, v98
	s_delay_alu instid0(VALU_DEP_4) | instskip(SKIP_1) | instid1(VALU_DEP_3)
	v_pk_fma_f16 v74, v4, v96, v74
	v_pk_fma_f16 v73, v5, v96, v73
	v_pk_fma_f16 v4, v4, v95, v77
	v_mul_u32_u24_e32 v77, 0x10001, v100
	v_pk_fma_f16 v5, v5, v95, v78
	s_delay_alu instid0(VALU_DEP_2) | instskip(SKIP_2) | instid1(VALU_DEP_1)
	v_pk_fma_f16 v75, v6, v77, v75
	v_pk_fma_f16 v71, v7, v77, v71
	v_mul_u32_u24_e32 v77, 0x10001, v101
	v_pk_fma_f16 v73, v7, v77, v73
	v_pk_fma_f16 v74, v6, v77, v74
	v_mul_u32_u24_e32 v77, 0x10001, v99
	s_delay_alu instid0(VALU_DEP_1) | instskip(SKIP_2) | instid1(VALU_DEP_1)
	v_pk_fma_f16 v72, v7, v77, v72
	v_pk_fma_f16 v76, v6, v77, v76
	v_mul_u32_u24_e32 v77, 0x10001, v102
	v_pk_fma_f16 v78, v7, v77, v5
	v_pk_fma_f16 v77, v6, v77, v4
	ds_load_b128 v[4:7], v57 offset:96
	s_wait_dscnt 0x0
	v_lshrrev_b32_e32 v95, 16, v4
	v_lshrrev_b32_e32 v96, 16, v5
	v_and_b32_e32 v97, 0xffff, v4
	v_and_b32_e32 v98, 0xffff, v5
	v_lshrrev_b32_e32 v99, 16, v6
	v_lshrrev_b32_e32 v100, 16, v7
	v_and_b32_e32 v101, 0xffff, v6
	v_and_b32_e32 v102, 0xffff, v7
	ds_load_2addr_b64 v[4:7], v64 offset0:128 offset1:160
	;; [unrolled: 40-line block ×3, first 2 shown]
	v_mul_u32_u24_e32 v96, 0x10001, v96
	v_mul_u32_u24_e32 v95, 0x10001, v95
	s_wait_dscnt 0x0
	s_delay_alu instid0(VALU_DEP_2)
	v_pk_fma_f16 v75, v4, v96, v75
	v_pk_fma_f16 v71, v5, v96, v71
	v_mul_u32_u24_e32 v96, 0x10001, v97
	v_pk_fma_f16 v72, v5, v95, v72
	v_pk_fma_f16 v76, v4, v95, v76
	v_mul_u32_u24_e32 v95, 0x10001, v98
	s_delay_alu instid0(VALU_DEP_4) | instskip(SKIP_1) | instid1(VALU_DEP_3)
	v_pk_fma_f16 v74, v4, v96, v74
	v_pk_fma_f16 v73, v5, v96, v73
	;; [unrolled: 1-line block ×3, first 2 shown]
	v_mul_u32_u24_e32 v77, 0x10001, v100
	v_pk_fma_f16 v5, v5, v95, v78
	s_delay_alu instid0(VALU_DEP_2) | instskip(SKIP_2) | instid1(VALU_DEP_1)
	v_pk_fma_f16 v75, v6, v77, v75
	v_pk_fma_f16 v71, v7, v77, v71
	v_mul_u32_u24_e32 v77, 0x10001, v101
	v_pk_fma_f16 v73, v7, v77, v73
	v_pk_fma_f16 v74, v6, v77, v74
	v_mul_u32_u24_e32 v77, 0x10001, v99
	s_delay_alu instid0(VALU_DEP_1) | instskip(SKIP_2) | instid1(VALU_DEP_1)
	v_pk_fma_f16 v72, v7, v77, v72
	v_pk_fma_f16 v76, v6, v77, v76
	v_mul_u32_u24_e32 v77, 0x10001, v102
	v_pk_fma_f16 v78, v7, v77, v5
	v_pk_fma_f16 v77, v6, v77, v4
	ds_load_b128 v[4:7], v57 offset:128
	s_wait_dscnt 0x0
	v_lshrrev_b32_e32 v95, 16, v4
	v_lshrrev_b32_e32 v96, 16, v5
	v_and_b32_e32 v97, 0xffff, v4
	v_and_b32_e32 v98, 0xffff, v5
	v_lshrrev_b32_e32 v99, 16, v6
	v_lshrrev_b32_e32 v100, 16, v7
	v_and_b32_e32 v101, 0xffff, v6
	v_and_b32_e32 v102, 0xffff, v7
	ds_load_2addr_b64 v[4:7], v65 offset1:32
	v_mul_u32_u24_e32 v96, 0x10001, v96
	v_mul_u32_u24_e32 v95, 0x10001, v95
	s_wait_dscnt 0x0
	s_delay_alu instid0(VALU_DEP_2)
	v_pk_fma_f16 v75, v4, v96, v75
	v_pk_fma_f16 v71, v5, v96, v71
	v_mul_u32_u24_e32 v96, 0x10001, v97
	v_pk_fma_f16 v72, v5, v95, v72
	v_pk_fma_f16 v76, v4, v95, v76
	v_mul_u32_u24_e32 v95, 0x10001, v98
	s_delay_alu instid0(VALU_DEP_4) | instskip(SKIP_1) | instid1(VALU_DEP_3)
	v_pk_fma_f16 v74, v4, v96, v74
	v_pk_fma_f16 v73, v5, v96, v73
	v_pk_fma_f16 v4, v4, v95, v77
	v_mul_u32_u24_e32 v77, 0x10001, v100
	v_pk_fma_f16 v5, v5, v95, v78
	s_delay_alu instid0(VALU_DEP_2) | instskip(SKIP_2) | instid1(VALU_DEP_1)
	v_pk_fma_f16 v75, v6, v77, v75
	v_pk_fma_f16 v71, v7, v77, v71
	v_mul_u32_u24_e32 v77, 0x10001, v101
	v_pk_fma_f16 v73, v7, v77, v73
	v_pk_fma_f16 v74, v6, v77, v74
	v_mul_u32_u24_e32 v77, 0x10001, v99
	s_delay_alu instid0(VALU_DEP_1) | instskip(SKIP_2) | instid1(VALU_DEP_1)
	v_pk_fma_f16 v72, v7, v77, v72
	v_pk_fma_f16 v76, v6, v77, v76
	v_mul_u32_u24_e32 v77, 0x10001, v102
	v_pk_fma_f16 v78, v7, v77, v5
	v_pk_fma_f16 v77, v6, v77, v4
	ds_load_b128 v[4:7], v57 offset:144
	s_wait_dscnt 0x0
	v_lshrrev_b32_e32 v95, 16, v4
	v_lshrrev_b32_e32 v96, 16, v5
	v_and_b32_e32 v97, 0xffff, v4
	v_and_b32_e32 v98, 0xffff, v5
	v_lshrrev_b32_e32 v99, 16, v6
	v_lshrrev_b32_e32 v100, 16, v7
	v_and_b32_e32 v101, 0xffff, v6
	v_and_b32_e32 v102, 0xffff, v7
	ds_load_2addr_b64 v[4:7], v65 offset0:64 offset1:96
	v_mul_u32_u24_e32 v96, 0x10001, v96
	v_mul_u32_u24_e32 v95, 0x10001, v95
	s_wait_dscnt 0x0
	s_delay_alu instid0(VALU_DEP_2)
	v_pk_fma_f16 v75, v4, v96, v75
	v_pk_fma_f16 v71, v5, v96, v71
	v_mul_u32_u24_e32 v96, 0x10001, v97
	v_pk_fma_f16 v72, v5, v95, v72
	v_pk_fma_f16 v76, v4, v95, v76
	v_mul_u32_u24_e32 v95, 0x10001, v98
	s_delay_alu instid0(VALU_DEP_4) | instskip(SKIP_1) | instid1(VALU_DEP_3)
	v_pk_fma_f16 v74, v4, v96, v74
	v_pk_fma_f16 v73, v5, v96, v73
	v_pk_fma_f16 v4, v4, v95, v77
	v_mul_u32_u24_e32 v77, 0x10001, v100
	v_pk_fma_f16 v5, v5, v95, v78
	s_delay_alu instid0(VALU_DEP_2) | instskip(SKIP_2) | instid1(VALU_DEP_1)
	v_pk_fma_f16 v75, v6, v77, v75
	v_pk_fma_f16 v71, v7, v77, v71
	v_mul_u32_u24_e32 v77, 0x10001, v101
	v_pk_fma_f16 v73, v7, v77, v73
	v_pk_fma_f16 v74, v6, v77, v74
	v_mul_u32_u24_e32 v77, 0x10001, v99
	s_delay_alu instid0(VALU_DEP_1) | instskip(SKIP_2) | instid1(VALU_DEP_1)
	v_pk_fma_f16 v72, v7, v77, v72
	v_pk_fma_f16 v76, v6, v77, v76
	v_mul_u32_u24_e32 v77, 0x10001, v102
	v_pk_fma_f16 v78, v7, v77, v5
	v_pk_fma_f16 v77, v6, v77, v4
	ds_load_b128 v[4:7], v57 offset:160
	s_wait_dscnt 0x0
	v_lshrrev_b32_e32 v95, 16, v4
	v_lshrrev_b32_e32 v96, 16, v5
	v_and_b32_e32 v97, 0xffff, v4
	v_and_b32_e32 v98, 0xffff, v5
	v_lshrrev_b32_e32 v99, 16, v6
	v_lshrrev_b32_e32 v100, 16, v7
	v_and_b32_e32 v101, 0xffff, v6
	v_and_b32_e32 v102, 0xffff, v7
	ds_load_2addr_b64 v[4:7], v65 offset0:128 offset1:160
	;; [unrolled: 40-line block ×3, first 2 shown]
	v_mul_u32_u24_e32 v96, 0x10001, v96
	v_mul_u32_u24_e32 v95, 0x10001, v95
	s_wait_dscnt 0x0
	s_delay_alu instid0(VALU_DEP_2)
	v_pk_fma_f16 v75, v4, v96, v75
	v_pk_fma_f16 v71, v5, v96, v71
	v_mul_u32_u24_e32 v96, 0x10001, v97
	v_pk_fma_f16 v72, v5, v95, v72
	v_pk_fma_f16 v76, v4, v95, v76
	v_mul_u32_u24_e32 v95, 0x10001, v98
	s_delay_alu instid0(VALU_DEP_4) | instskip(SKIP_1) | instid1(VALU_DEP_3)
	v_pk_fma_f16 v74, v4, v96, v74
	v_pk_fma_f16 v73, v5, v96, v73
	;; [unrolled: 1-line block ×3, first 2 shown]
	v_mul_u32_u24_e32 v77, 0x10001, v100
	v_pk_fma_f16 v5, v5, v95, v78
	s_delay_alu instid0(VALU_DEP_2) | instskip(SKIP_2) | instid1(VALU_DEP_1)
	v_pk_fma_f16 v75, v6, v77, v75
	v_pk_fma_f16 v71, v7, v77, v71
	v_mul_u32_u24_e32 v77, 0x10001, v101
	v_pk_fma_f16 v73, v7, v77, v73
	v_pk_fma_f16 v74, v6, v77, v74
	v_mul_u32_u24_e32 v77, 0x10001, v99
	s_delay_alu instid0(VALU_DEP_1) | instskip(SKIP_2) | instid1(VALU_DEP_1)
	v_pk_fma_f16 v72, v7, v77, v72
	v_pk_fma_f16 v76, v6, v77, v76
	v_mul_u32_u24_e32 v77, 0x10001, v102
	v_pk_fma_f16 v78, v7, v77, v5
	v_pk_fma_f16 v77, v6, v77, v4
	ds_load_b128 v[4:7], v57 offset:192
	s_wait_dscnt 0x0
	v_lshrrev_b32_e32 v95, 16, v4
	v_lshrrev_b32_e32 v96, 16, v5
	v_and_b32_e32 v97, 0xffff, v4
	v_and_b32_e32 v98, 0xffff, v5
	v_lshrrev_b32_e32 v99, 16, v6
	v_lshrrev_b32_e32 v100, 16, v7
	v_and_b32_e32 v101, 0xffff, v6
	v_and_b32_e32 v102, 0xffff, v7
	ds_load_2addr_b64 v[4:7], v66 offset1:32
	v_mul_u32_u24_e32 v96, 0x10001, v96
	v_mul_u32_u24_e32 v95, 0x10001, v95
	s_wait_dscnt 0x0
	s_delay_alu instid0(VALU_DEP_2)
	v_pk_fma_f16 v75, v4, v96, v75
	v_pk_fma_f16 v71, v5, v96, v71
	v_mul_u32_u24_e32 v96, 0x10001, v97
	v_pk_fma_f16 v72, v5, v95, v72
	v_pk_fma_f16 v76, v4, v95, v76
	v_mul_u32_u24_e32 v95, 0x10001, v98
	s_delay_alu instid0(VALU_DEP_4) | instskip(SKIP_1) | instid1(VALU_DEP_3)
	v_pk_fma_f16 v74, v4, v96, v74
	v_pk_fma_f16 v73, v5, v96, v73
	v_pk_fma_f16 v4, v4, v95, v77
	v_mul_u32_u24_e32 v77, 0x10001, v100
	v_pk_fma_f16 v5, v5, v95, v78
	s_delay_alu instid0(VALU_DEP_2) | instskip(SKIP_2) | instid1(VALU_DEP_1)
	v_pk_fma_f16 v75, v6, v77, v75
	v_pk_fma_f16 v71, v7, v77, v71
	v_mul_u32_u24_e32 v77, 0x10001, v101
	v_pk_fma_f16 v73, v7, v77, v73
	v_pk_fma_f16 v74, v6, v77, v74
	v_mul_u32_u24_e32 v77, 0x10001, v99
	s_delay_alu instid0(VALU_DEP_1) | instskip(SKIP_2) | instid1(VALU_DEP_1)
	v_pk_fma_f16 v72, v7, v77, v72
	v_pk_fma_f16 v76, v6, v77, v76
	v_mul_u32_u24_e32 v77, 0x10001, v102
	v_pk_fma_f16 v78, v7, v77, v5
	v_pk_fma_f16 v77, v6, v77, v4
	ds_load_b128 v[4:7], v57 offset:208
	s_wait_dscnt 0x0
	v_lshrrev_b32_e32 v95, 16, v4
	v_lshrrev_b32_e32 v96, 16, v5
	v_and_b32_e32 v97, 0xffff, v4
	v_and_b32_e32 v98, 0xffff, v5
	v_lshrrev_b32_e32 v99, 16, v6
	v_lshrrev_b32_e32 v100, 16, v7
	v_and_b32_e32 v101, 0xffff, v6
	v_and_b32_e32 v102, 0xffff, v7
	ds_load_2addr_b64 v[4:7], v66 offset0:64 offset1:96
	v_mul_u32_u24_e32 v96, 0x10001, v96
	v_mul_u32_u24_e32 v95, 0x10001, v95
	s_wait_dscnt 0x0
	s_delay_alu instid0(VALU_DEP_2)
	v_pk_fma_f16 v75, v4, v96, v75
	v_pk_fma_f16 v71, v5, v96, v71
	v_mul_u32_u24_e32 v96, 0x10001, v97
	v_pk_fma_f16 v72, v5, v95, v72
	v_pk_fma_f16 v76, v4, v95, v76
	v_mul_u32_u24_e32 v95, 0x10001, v98
	s_delay_alu instid0(VALU_DEP_4) | instskip(SKIP_1) | instid1(VALU_DEP_3)
	v_pk_fma_f16 v74, v4, v96, v74
	v_pk_fma_f16 v73, v5, v96, v73
	v_pk_fma_f16 v4, v4, v95, v77
	v_mul_u32_u24_e32 v77, 0x10001, v100
	v_pk_fma_f16 v5, v5, v95, v78
	s_delay_alu instid0(VALU_DEP_2) | instskip(SKIP_2) | instid1(VALU_DEP_1)
	v_pk_fma_f16 v75, v6, v77, v75
	v_pk_fma_f16 v71, v7, v77, v71
	v_mul_u32_u24_e32 v77, 0x10001, v101
	v_pk_fma_f16 v73, v7, v77, v73
	v_pk_fma_f16 v74, v6, v77, v74
	v_mul_u32_u24_e32 v77, 0x10001, v99
	s_delay_alu instid0(VALU_DEP_1) | instskip(SKIP_2) | instid1(VALU_DEP_1)
	v_pk_fma_f16 v72, v7, v77, v72
	v_pk_fma_f16 v76, v6, v77, v76
	v_mul_u32_u24_e32 v77, 0x10001, v102
	v_pk_fma_f16 v78, v7, v77, v5
	v_pk_fma_f16 v77, v6, v77, v4
	ds_load_b128 v[4:7], v57 offset:224
	s_wait_dscnt 0x0
	v_lshrrev_b32_e32 v95, 16, v4
	v_lshrrev_b32_e32 v96, 16, v5
	v_and_b32_e32 v97, 0xffff, v4
	v_and_b32_e32 v98, 0xffff, v5
	v_lshrrev_b32_e32 v99, 16, v6
	v_lshrrev_b32_e32 v100, 16, v7
	v_and_b32_e32 v101, 0xffff, v6
	v_and_b32_e32 v102, 0xffff, v7
	ds_load_2addr_b64 v[4:7], v66 offset0:128 offset1:160
	;; [unrolled: 40-line block ×3, first 2 shown]
	v_mul_u32_u24_e32 v96, 0x10001, v96
	v_mul_u32_u24_e32 v95, 0x10001, v95
	s_wait_dscnt 0x0
	s_delay_alu instid0(VALU_DEP_2)
	v_pk_fma_f16 v75, v4, v96, v75
	v_pk_fma_f16 v71, v5, v96, v71
	v_mul_u32_u24_e32 v96, 0x10001, v97
	v_pk_fma_f16 v72, v5, v95, v72
	v_pk_fma_f16 v76, v4, v95, v76
	v_mul_u32_u24_e32 v95, 0x10001, v98
	s_delay_alu instid0(VALU_DEP_4) | instskip(SKIP_1) | instid1(VALU_DEP_3)
	v_pk_fma_f16 v74, v4, v96, v74
	v_pk_fma_f16 v73, v5, v96, v73
	;; [unrolled: 1-line block ×3, first 2 shown]
	v_mul_u32_u24_e32 v77, 0x10001, v100
	v_pk_fma_f16 v5, v5, v95, v78
	s_delay_alu instid0(VALU_DEP_2) | instskip(SKIP_2) | instid1(VALU_DEP_1)
	v_pk_fma_f16 v75, v6, v77, v75
	v_pk_fma_f16 v71, v7, v77, v71
	v_mul_u32_u24_e32 v77, 0x10001, v101
	v_pk_fma_f16 v73, v7, v77, v73
	v_pk_fma_f16 v74, v6, v77, v74
	v_mul_u32_u24_e32 v77, 0x10001, v99
	s_delay_alu instid0(VALU_DEP_1) | instskip(SKIP_2) | instid1(VALU_DEP_1)
	v_pk_fma_f16 v72, v7, v77, v72
	v_pk_fma_f16 v76, v6, v77, v76
	v_mul_u32_u24_e32 v77, 0x10001, v102
	v_pk_fma_f16 v78, v7, v77, v5
	v_pk_fma_f16 v77, v6, v77, v4
	ds_load_b128 v[4:7], v57 offset:256
	s_wait_dscnt 0x0
	v_lshrrev_b32_e32 v95, 16, v4
	v_lshrrev_b32_e32 v96, 16, v5
	v_and_b32_e32 v97, 0xffff, v4
	v_and_b32_e32 v98, 0xffff, v5
	v_lshrrev_b32_e32 v99, 16, v6
	v_lshrrev_b32_e32 v100, 16, v7
	v_and_b32_e32 v101, 0xffff, v6
	v_and_b32_e32 v102, 0xffff, v7
	ds_load_2addr_b64 v[4:7], v67 offset1:32
	v_mul_u32_u24_e32 v96, 0x10001, v96
	v_mul_u32_u24_e32 v95, 0x10001, v95
	s_wait_dscnt 0x0
	s_delay_alu instid0(VALU_DEP_2)
	v_pk_fma_f16 v75, v4, v96, v75
	v_pk_fma_f16 v71, v5, v96, v71
	v_mul_u32_u24_e32 v96, 0x10001, v97
	v_pk_fma_f16 v72, v5, v95, v72
	v_pk_fma_f16 v76, v4, v95, v76
	v_mul_u32_u24_e32 v95, 0x10001, v98
	s_delay_alu instid0(VALU_DEP_4) | instskip(SKIP_1) | instid1(VALU_DEP_3)
	v_pk_fma_f16 v74, v4, v96, v74
	v_pk_fma_f16 v73, v5, v96, v73
	v_pk_fma_f16 v4, v4, v95, v77
	v_mul_u32_u24_e32 v77, 0x10001, v100
	v_pk_fma_f16 v5, v5, v95, v78
	s_delay_alu instid0(VALU_DEP_2) | instskip(SKIP_2) | instid1(VALU_DEP_1)
	v_pk_fma_f16 v75, v6, v77, v75
	v_pk_fma_f16 v71, v7, v77, v71
	v_mul_u32_u24_e32 v77, 0x10001, v101
	v_pk_fma_f16 v73, v7, v77, v73
	v_pk_fma_f16 v74, v6, v77, v74
	v_mul_u32_u24_e32 v77, 0x10001, v99
	s_delay_alu instid0(VALU_DEP_1) | instskip(SKIP_2) | instid1(VALU_DEP_1)
	v_pk_fma_f16 v72, v7, v77, v72
	v_pk_fma_f16 v76, v6, v77, v76
	v_mul_u32_u24_e32 v77, 0x10001, v102
	v_pk_fma_f16 v78, v7, v77, v5
	v_pk_fma_f16 v77, v6, v77, v4
	ds_load_b128 v[4:7], v57 offset:272
	s_wait_dscnt 0x0
	v_lshrrev_b32_e32 v95, 16, v4
	v_lshrrev_b32_e32 v96, 16, v5
	v_and_b32_e32 v97, 0xffff, v4
	v_and_b32_e32 v98, 0xffff, v5
	v_lshrrev_b32_e32 v99, 16, v6
	v_lshrrev_b32_e32 v100, 16, v7
	v_and_b32_e32 v101, 0xffff, v6
	v_and_b32_e32 v102, 0xffff, v7
	ds_load_2addr_b64 v[4:7], v67 offset0:64 offset1:96
	v_mul_u32_u24_e32 v96, 0x10001, v96
	v_mul_u32_u24_e32 v95, 0x10001, v95
	s_wait_dscnt 0x0
	s_delay_alu instid0(VALU_DEP_2)
	v_pk_fma_f16 v75, v4, v96, v75
	v_pk_fma_f16 v71, v5, v96, v71
	v_mul_u32_u24_e32 v96, 0x10001, v97
	v_pk_fma_f16 v72, v5, v95, v72
	v_pk_fma_f16 v76, v4, v95, v76
	v_mul_u32_u24_e32 v95, 0x10001, v98
	s_delay_alu instid0(VALU_DEP_4) | instskip(SKIP_1) | instid1(VALU_DEP_3)
	v_pk_fma_f16 v74, v4, v96, v74
	v_pk_fma_f16 v73, v5, v96, v73
	v_pk_fma_f16 v4, v4, v95, v77
	v_mul_u32_u24_e32 v77, 0x10001, v100
	v_pk_fma_f16 v5, v5, v95, v78
	s_delay_alu instid0(VALU_DEP_2) | instskip(SKIP_2) | instid1(VALU_DEP_1)
	v_pk_fma_f16 v75, v6, v77, v75
	v_pk_fma_f16 v71, v7, v77, v71
	v_mul_u32_u24_e32 v77, 0x10001, v101
	v_pk_fma_f16 v73, v7, v77, v73
	v_pk_fma_f16 v74, v6, v77, v74
	v_mul_u32_u24_e32 v77, 0x10001, v99
	s_delay_alu instid0(VALU_DEP_1) | instskip(SKIP_2) | instid1(VALU_DEP_1)
	v_pk_fma_f16 v72, v7, v77, v72
	v_pk_fma_f16 v76, v6, v77, v76
	v_mul_u32_u24_e32 v77, 0x10001, v102
	v_pk_fma_f16 v78, v7, v77, v5
	v_pk_fma_f16 v77, v6, v77, v4
	ds_load_b128 v[4:7], v57 offset:288
	s_wait_dscnt 0x0
	v_lshrrev_b32_e32 v95, 16, v4
	v_lshrrev_b32_e32 v96, 16, v5
	v_and_b32_e32 v97, 0xffff, v4
	v_and_b32_e32 v98, 0xffff, v5
	v_lshrrev_b32_e32 v99, 16, v6
	v_lshrrev_b32_e32 v100, 16, v7
	v_and_b32_e32 v101, 0xffff, v6
	v_and_b32_e32 v102, 0xffff, v7
	ds_load_2addr_b64 v[4:7], v67 offset0:128 offset1:160
	;; [unrolled: 40-line block ×3, first 2 shown]
	v_mul_u32_u24_e32 v96, 0x10001, v96
	v_mul_u32_u24_e32 v95, 0x10001, v95
	s_wait_dscnt 0x0
	s_delay_alu instid0(VALU_DEP_2)
	v_pk_fma_f16 v75, v4, v96, v75
	v_pk_fma_f16 v71, v5, v96, v71
	v_mul_u32_u24_e32 v96, 0x10001, v97
	v_pk_fma_f16 v72, v5, v95, v72
	v_pk_fma_f16 v76, v4, v95, v76
	v_mul_u32_u24_e32 v95, 0x10001, v98
	s_delay_alu instid0(VALU_DEP_4) | instskip(SKIP_1) | instid1(VALU_DEP_3)
	v_pk_fma_f16 v74, v4, v96, v74
	v_pk_fma_f16 v73, v5, v96, v73
	;; [unrolled: 1-line block ×3, first 2 shown]
	v_mul_u32_u24_e32 v77, 0x10001, v100
	v_pk_fma_f16 v5, v5, v95, v78
	s_delay_alu instid0(VALU_DEP_2) | instskip(SKIP_2) | instid1(VALU_DEP_1)
	v_pk_fma_f16 v75, v6, v77, v75
	v_pk_fma_f16 v71, v7, v77, v71
	v_mul_u32_u24_e32 v77, 0x10001, v101
	v_pk_fma_f16 v73, v7, v77, v73
	v_pk_fma_f16 v74, v6, v77, v74
	v_mul_u32_u24_e32 v77, 0x10001, v99
	s_delay_alu instid0(VALU_DEP_1) | instskip(SKIP_2) | instid1(VALU_DEP_1)
	v_pk_fma_f16 v72, v7, v77, v72
	v_pk_fma_f16 v76, v6, v77, v76
	v_mul_u32_u24_e32 v77, 0x10001, v102
	v_pk_fma_f16 v78, v7, v77, v5
	v_pk_fma_f16 v77, v6, v77, v4
	ds_load_b128 v[4:7], v57 offset:320
	s_wait_dscnt 0x0
	v_lshrrev_b32_e32 v95, 16, v4
	v_lshrrev_b32_e32 v96, 16, v5
	v_and_b32_e32 v97, 0xffff, v4
	v_and_b32_e32 v98, 0xffff, v5
	v_lshrrev_b32_e32 v99, 16, v6
	v_lshrrev_b32_e32 v100, 16, v7
	v_and_b32_e32 v101, 0xffff, v6
	v_and_b32_e32 v102, 0xffff, v7
	ds_load_2addr_b64 v[4:7], v68 offset1:32
	v_mul_u32_u24_e32 v96, 0x10001, v96
	v_mul_u32_u24_e32 v95, 0x10001, v95
	s_wait_dscnt 0x0
	s_delay_alu instid0(VALU_DEP_2)
	v_pk_fma_f16 v75, v4, v96, v75
	v_pk_fma_f16 v71, v5, v96, v71
	v_mul_u32_u24_e32 v96, 0x10001, v97
	v_pk_fma_f16 v72, v5, v95, v72
	v_pk_fma_f16 v76, v4, v95, v76
	v_mul_u32_u24_e32 v95, 0x10001, v98
	s_delay_alu instid0(VALU_DEP_4) | instskip(SKIP_1) | instid1(VALU_DEP_3)
	v_pk_fma_f16 v74, v4, v96, v74
	v_pk_fma_f16 v73, v5, v96, v73
	v_pk_fma_f16 v4, v4, v95, v77
	v_mul_u32_u24_e32 v77, 0x10001, v100
	v_pk_fma_f16 v5, v5, v95, v78
	s_delay_alu instid0(VALU_DEP_2) | instskip(SKIP_2) | instid1(VALU_DEP_1)
	v_pk_fma_f16 v75, v6, v77, v75
	v_pk_fma_f16 v71, v7, v77, v71
	v_mul_u32_u24_e32 v77, 0x10001, v101
	v_pk_fma_f16 v73, v7, v77, v73
	v_pk_fma_f16 v74, v6, v77, v74
	v_mul_u32_u24_e32 v77, 0x10001, v99
	s_delay_alu instid0(VALU_DEP_1) | instskip(SKIP_2) | instid1(VALU_DEP_1)
	v_pk_fma_f16 v72, v7, v77, v72
	v_pk_fma_f16 v76, v6, v77, v76
	v_mul_u32_u24_e32 v77, 0x10001, v102
	v_pk_fma_f16 v78, v7, v77, v5
	v_pk_fma_f16 v77, v6, v77, v4
	ds_load_b128 v[4:7], v57 offset:336
	s_wait_dscnt 0x0
	v_lshrrev_b32_e32 v95, 16, v4
	v_lshrrev_b32_e32 v96, 16, v5
	v_and_b32_e32 v97, 0xffff, v4
	v_and_b32_e32 v98, 0xffff, v5
	v_lshrrev_b32_e32 v99, 16, v6
	v_lshrrev_b32_e32 v100, 16, v7
	v_and_b32_e32 v101, 0xffff, v6
	v_and_b32_e32 v102, 0xffff, v7
	ds_load_2addr_b64 v[4:7], v68 offset0:64 offset1:96
	v_mul_u32_u24_e32 v96, 0x10001, v96
	v_mul_u32_u24_e32 v95, 0x10001, v95
	s_wait_dscnt 0x0
	s_delay_alu instid0(VALU_DEP_2)
	v_pk_fma_f16 v75, v4, v96, v75
	v_pk_fma_f16 v71, v5, v96, v71
	v_mul_u32_u24_e32 v96, 0x10001, v97
	v_pk_fma_f16 v72, v5, v95, v72
	v_pk_fma_f16 v76, v4, v95, v76
	v_mul_u32_u24_e32 v95, 0x10001, v98
	s_delay_alu instid0(VALU_DEP_4) | instskip(SKIP_1) | instid1(VALU_DEP_3)
	v_pk_fma_f16 v74, v4, v96, v74
	v_pk_fma_f16 v73, v5, v96, v73
	v_pk_fma_f16 v4, v4, v95, v77
	v_mul_u32_u24_e32 v77, 0x10001, v100
	v_pk_fma_f16 v5, v5, v95, v78
	s_delay_alu instid0(VALU_DEP_2) | instskip(SKIP_2) | instid1(VALU_DEP_1)
	v_pk_fma_f16 v75, v6, v77, v75
	v_pk_fma_f16 v71, v7, v77, v71
	v_mul_u32_u24_e32 v77, 0x10001, v101
	v_pk_fma_f16 v73, v7, v77, v73
	v_pk_fma_f16 v74, v6, v77, v74
	v_mul_u32_u24_e32 v77, 0x10001, v99
	s_delay_alu instid0(VALU_DEP_1) | instskip(SKIP_2) | instid1(VALU_DEP_1)
	v_pk_fma_f16 v72, v7, v77, v72
	v_pk_fma_f16 v76, v6, v77, v76
	v_mul_u32_u24_e32 v77, 0x10001, v102
	v_pk_fma_f16 v78, v7, v77, v5
	v_pk_fma_f16 v77, v6, v77, v4
	ds_load_b128 v[4:7], v57 offset:352
	s_wait_dscnt 0x0
	v_lshrrev_b32_e32 v95, 16, v4
	v_lshrrev_b32_e32 v96, 16, v5
	v_and_b32_e32 v97, 0xffff, v4
	v_and_b32_e32 v98, 0xffff, v5
	v_lshrrev_b32_e32 v99, 16, v6
	v_lshrrev_b32_e32 v100, 16, v7
	v_and_b32_e32 v101, 0xffff, v6
	v_and_b32_e32 v102, 0xffff, v7
	ds_load_2addr_b64 v[4:7], v68 offset0:128 offset1:160
	;; [unrolled: 40-line block ×3, first 2 shown]
	v_mul_u32_u24_e32 v96, 0x10001, v96
	v_mul_u32_u24_e32 v95, 0x10001, v95
	s_wait_dscnt 0x0
	s_delay_alu instid0(VALU_DEP_2)
	v_pk_fma_f16 v75, v4, v96, v75
	v_pk_fma_f16 v71, v5, v96, v71
	v_mul_u32_u24_e32 v96, 0x10001, v97
	v_pk_fma_f16 v72, v5, v95, v72
	v_pk_fma_f16 v76, v4, v95, v76
	v_mul_u32_u24_e32 v95, 0x10001, v98
	s_delay_alu instid0(VALU_DEP_4) | instskip(SKIP_1) | instid1(VALU_DEP_3)
	v_pk_fma_f16 v74, v4, v96, v74
	v_pk_fma_f16 v73, v5, v96, v73
	;; [unrolled: 1-line block ×3, first 2 shown]
	v_mul_u32_u24_e32 v77, 0x10001, v100
	v_pk_fma_f16 v5, v5, v95, v78
	s_delay_alu instid0(VALU_DEP_2) | instskip(SKIP_2) | instid1(VALU_DEP_1)
	v_pk_fma_f16 v75, v6, v77, v75
	v_pk_fma_f16 v71, v7, v77, v71
	v_mul_u32_u24_e32 v77, 0x10001, v101
	v_pk_fma_f16 v73, v7, v77, v73
	v_pk_fma_f16 v74, v6, v77, v74
	v_mul_u32_u24_e32 v77, 0x10001, v99
	s_delay_alu instid0(VALU_DEP_1) | instskip(SKIP_2) | instid1(VALU_DEP_1)
	v_pk_fma_f16 v72, v7, v77, v72
	v_pk_fma_f16 v76, v6, v77, v76
	v_mul_u32_u24_e32 v77, 0x10001, v102
	v_pk_fma_f16 v78, v7, v77, v5
	v_pk_fma_f16 v77, v6, v77, v4
	ds_load_b128 v[4:7], v57 offset:384
	s_wait_dscnt 0x0
	v_lshrrev_b32_e32 v95, 16, v4
	v_lshrrev_b32_e32 v96, 16, v5
	v_and_b32_e32 v97, 0xffff, v4
	v_and_b32_e32 v98, 0xffff, v5
	v_lshrrev_b32_e32 v99, 16, v6
	v_lshrrev_b32_e32 v100, 16, v7
	v_and_b32_e32 v101, 0xffff, v6
	v_and_b32_e32 v102, 0xffff, v7
	ds_load_2addr_b64 v[4:7], v69 offset1:32
	v_mul_u32_u24_e32 v96, 0x10001, v96
	v_mul_u32_u24_e32 v95, 0x10001, v95
	s_wait_dscnt 0x0
	s_delay_alu instid0(VALU_DEP_2)
	v_pk_fma_f16 v75, v4, v96, v75
	v_pk_fma_f16 v71, v5, v96, v71
	v_mul_u32_u24_e32 v96, 0x10001, v97
	v_pk_fma_f16 v72, v5, v95, v72
	v_pk_fma_f16 v76, v4, v95, v76
	v_mul_u32_u24_e32 v95, 0x10001, v98
	s_delay_alu instid0(VALU_DEP_4) | instskip(SKIP_1) | instid1(VALU_DEP_3)
	v_pk_fma_f16 v74, v4, v96, v74
	v_pk_fma_f16 v73, v5, v96, v73
	v_pk_fma_f16 v4, v4, v95, v77
	v_mul_u32_u24_e32 v77, 0x10001, v100
	v_pk_fma_f16 v5, v5, v95, v78
	s_delay_alu instid0(VALU_DEP_2) | instskip(SKIP_2) | instid1(VALU_DEP_1)
	v_pk_fma_f16 v75, v6, v77, v75
	v_pk_fma_f16 v71, v7, v77, v71
	v_mul_u32_u24_e32 v77, 0x10001, v101
	v_pk_fma_f16 v73, v7, v77, v73
	v_pk_fma_f16 v74, v6, v77, v74
	v_mul_u32_u24_e32 v77, 0x10001, v99
	s_delay_alu instid0(VALU_DEP_1) | instskip(SKIP_2) | instid1(VALU_DEP_1)
	v_pk_fma_f16 v72, v7, v77, v72
	v_pk_fma_f16 v76, v6, v77, v76
	v_mul_u32_u24_e32 v77, 0x10001, v102
	v_pk_fma_f16 v78, v7, v77, v5
	v_pk_fma_f16 v77, v6, v77, v4
	ds_load_b128 v[4:7], v57 offset:400
	s_wait_dscnt 0x0
	v_lshrrev_b32_e32 v95, 16, v4
	v_lshrrev_b32_e32 v96, 16, v5
	v_and_b32_e32 v97, 0xffff, v4
	v_and_b32_e32 v98, 0xffff, v5
	v_lshrrev_b32_e32 v99, 16, v6
	v_lshrrev_b32_e32 v100, 16, v7
	v_and_b32_e32 v101, 0xffff, v6
	v_and_b32_e32 v102, 0xffff, v7
	ds_load_2addr_b64 v[4:7], v69 offset0:64 offset1:96
	v_mul_u32_u24_e32 v96, 0x10001, v96
	v_mul_u32_u24_e32 v95, 0x10001, v95
	s_wait_dscnt 0x0
	s_delay_alu instid0(VALU_DEP_2)
	v_pk_fma_f16 v75, v4, v96, v75
	v_pk_fma_f16 v71, v5, v96, v71
	v_mul_u32_u24_e32 v96, 0x10001, v97
	v_pk_fma_f16 v72, v5, v95, v72
	v_pk_fma_f16 v76, v4, v95, v76
	v_mul_u32_u24_e32 v95, 0x10001, v98
	s_delay_alu instid0(VALU_DEP_4) | instskip(SKIP_1) | instid1(VALU_DEP_3)
	v_pk_fma_f16 v74, v4, v96, v74
	v_pk_fma_f16 v73, v5, v96, v73
	v_pk_fma_f16 v4, v4, v95, v77
	v_mul_u32_u24_e32 v77, 0x10001, v100
	v_pk_fma_f16 v5, v5, v95, v78
	s_delay_alu instid0(VALU_DEP_2) | instskip(SKIP_2) | instid1(VALU_DEP_1)
	v_pk_fma_f16 v75, v6, v77, v75
	v_pk_fma_f16 v71, v7, v77, v71
	v_mul_u32_u24_e32 v77, 0x10001, v101
	v_pk_fma_f16 v73, v7, v77, v73
	v_pk_fma_f16 v74, v6, v77, v74
	v_mul_u32_u24_e32 v77, 0x10001, v99
	s_delay_alu instid0(VALU_DEP_1) | instskip(SKIP_2) | instid1(VALU_DEP_1)
	v_pk_fma_f16 v72, v7, v77, v72
	v_pk_fma_f16 v76, v6, v77, v76
	v_mul_u32_u24_e32 v77, 0x10001, v102
	v_pk_fma_f16 v78, v7, v77, v5
	v_pk_fma_f16 v77, v6, v77, v4
	ds_load_b128 v[4:7], v57 offset:416
	s_wait_dscnt 0x0
	v_lshrrev_b32_e32 v95, 16, v4
	v_lshrrev_b32_e32 v96, 16, v5
	v_and_b32_e32 v97, 0xffff, v4
	v_and_b32_e32 v98, 0xffff, v5
	v_lshrrev_b32_e32 v99, 16, v6
	v_lshrrev_b32_e32 v100, 16, v7
	v_and_b32_e32 v101, 0xffff, v6
	v_and_b32_e32 v102, 0xffff, v7
	ds_load_2addr_b64 v[4:7], v69 offset0:128 offset1:160
	;; [unrolled: 40-line block ×3, first 2 shown]
	v_mul_u32_u24_e32 v96, 0x10001, v96
	v_mul_u32_u24_e32 v95, 0x10001, v95
	s_wait_dscnt 0x0
	s_delay_alu instid0(VALU_DEP_2)
	v_pk_fma_f16 v75, v4, v96, v75
	v_pk_fma_f16 v71, v5, v96, v71
	v_mul_u32_u24_e32 v96, 0x10001, v97
	v_pk_fma_f16 v72, v5, v95, v72
	v_pk_fma_f16 v76, v4, v95, v76
	v_mul_u32_u24_e32 v95, 0x10001, v98
	s_delay_alu instid0(VALU_DEP_4) | instskip(SKIP_1) | instid1(VALU_DEP_3)
	v_pk_fma_f16 v74, v4, v96, v74
	v_pk_fma_f16 v73, v5, v96, v73
	;; [unrolled: 1-line block ×3, first 2 shown]
	v_mul_u32_u24_e32 v77, 0x10001, v100
	v_pk_fma_f16 v5, v5, v95, v78
	s_delay_alu instid0(VALU_DEP_2) | instskip(SKIP_2) | instid1(VALU_DEP_1)
	v_pk_fma_f16 v75, v6, v77, v75
	v_pk_fma_f16 v71, v7, v77, v71
	v_mul_u32_u24_e32 v77, 0x10001, v101
	v_pk_fma_f16 v73, v7, v77, v73
	v_pk_fma_f16 v74, v6, v77, v74
	v_mul_u32_u24_e32 v77, 0x10001, v99
	s_delay_alu instid0(VALU_DEP_1) | instskip(SKIP_2) | instid1(VALU_DEP_1)
	v_pk_fma_f16 v72, v7, v77, v72
	v_pk_fma_f16 v76, v6, v77, v76
	v_mul_u32_u24_e32 v77, 0x10001, v102
	v_pk_fma_f16 v78, v7, v77, v5
	v_pk_fma_f16 v77, v6, v77, v4
	ds_load_b128 v[4:7], v57 offset:448
	s_wait_dscnt 0x0
	v_lshrrev_b32_e32 v95, 16, v4
	v_lshrrev_b32_e32 v96, 16, v5
	v_and_b32_e32 v97, 0xffff, v4
	v_and_b32_e32 v98, 0xffff, v5
	v_lshrrev_b32_e32 v99, 16, v6
	v_lshrrev_b32_e32 v100, 16, v7
	v_and_b32_e32 v101, 0xffff, v6
	v_and_b32_e32 v102, 0xffff, v7
	ds_load_2addr_b64 v[4:7], v70 offset1:32
	v_mul_u32_u24_e32 v96, 0x10001, v96
	v_mul_u32_u24_e32 v95, 0x10001, v95
	s_wait_dscnt 0x0
	s_delay_alu instid0(VALU_DEP_2)
	v_pk_fma_f16 v75, v4, v96, v75
	v_pk_fma_f16 v71, v5, v96, v71
	v_mul_u32_u24_e32 v96, 0x10001, v97
	v_pk_fma_f16 v72, v5, v95, v72
	v_pk_fma_f16 v95, v4, v95, v76
	v_mul_u32_u24_e32 v76, 0x10001, v98
	s_delay_alu instid0(VALU_DEP_4) | instskip(SKIP_1) | instid1(VALU_DEP_3)
	v_pk_fma_f16 v73, v5, v96, v73
	v_pk_fma_f16 v74, v4, v96, v74
	;; [unrolled: 1-line block ×4, first 2 shown]
	v_mul_u32_u24_e32 v76, 0x10001, v100
	s_delay_alu instid0(VALU_DEP_1) | instskip(SKIP_2) | instid1(VALU_DEP_2)
	v_pk_fma_f16 v100, v7, v76, v71
	v_mul_u32_u24_e32 v71, 0x10001, v101
	v_pk_fma_f16 v98, v6, v76, v75
	v_pk_fma_f16 v103, v7, v71, v73
	;; [unrolled: 1-line block ×3, first 2 shown]
	v_mul_u32_u24_e32 v71, 0x10001, v99
	s_delay_alu instid0(VALU_DEP_1) | instskip(SKIP_2) | instid1(VALU_DEP_1)
	v_pk_fma_f16 v76, v7, v71, v72
	v_pk_fma_f16 v74, v6, v71, v95
	v_mul_u32_u24_e32 v71, 0x10001, v102
	v_pk_fma_f16 v77, v7, v71, v5
	v_pk_fma_f16 v75, v6, v71, v4
	ds_load_b128 v[4:7], v57 offset:464
	s_wait_dscnt 0x0
	v_lshrrev_b32_e32 v96, 16, v4
	v_lshrrev_b32_e32 v99, 16, v5
	v_and_b32_e32 v101, 0xffff, v4
	v_and_b32_e32 v97, 0xffff, v5
	v_lshrrev_b32_e32 v71, 16, v6
	v_lshrrev_b32_e32 v95, 16, v7
	v_and_b32_e32 v78, 0xffff, v6
	v_and_b32_e32 v72, 0xffff, v7
	ds_load_2addr_b64 v[4:7], v70 offset0:64 offset1:96
	v_mul_u32_u24_e32 v96, 0x10001, v96
	v_mul_u32_u24_e32 v99, 0x10001, v99
	;; [unrolled: 1-line block ×6, first 2 shown]
	s_wait_dscnt 0x0
	v_pk_fma_f16 v76, v5, v96, v76
	v_pk_fma_f16 v74, v4, v96, v74
	v_mul_u32_u24_e32 v96, 0x10001, v97
	v_pk_fma_f16 v98, v4, v99, v98
	v_pk_fma_f16 v100, v5, v99, v100
	;; [unrolled: 1-line block ×6, first 2 shown]
	v_mul_u32_u24_e32 v75, 0x10001, v95
	v_pk_fma_f16 v95, v7, v78, v99
	v_pk_fma_f16 v73, v6, v78, v73
	;; [unrolled: 1-line block ×8, first 2 shown]
	ds_load_b128 v[4:7], v57 offset:480
	s_wait_dscnt 0x0
	v_lshrrev_b32_e32 v78, 16, v4
	v_lshrrev_b32_e32 v96, 16, v5
	v_and_b32_e32 v97, 0xffff, v4
	v_and_b32_e32 v98, 0xffff, v5
	v_lshrrev_b32_e32 v99, 16, v6
	v_lshrrev_b32_e32 v100, 16, v7
	v_and_b32_e32 v101, 0xffff, v6
	v_and_b32_e32 v102, 0xffff, v7
	ds_load_2addr_b64 v[4:7], v70 offset0:128 offset1:160
	v_mul_u32_u24_e32 v96, 0x10001, v96
	v_mul_u32_u24_e32 v78, 0x10001, v78
	s_wait_dscnt 0x0
	s_delay_alu instid0(VALU_DEP_2)
	v_pk_fma_f16 v77, v4, v96, v77
	v_pk_fma_f16 v75, v5, v96, v75
	v_mul_u32_u24_e32 v96, 0x10001, v97
	v_pk_fma_f16 v76, v5, v78, v76
	v_pk_fma_f16 v71, v4, v78, v71
	v_mul_u32_u24_e32 v78, 0x10001, v98
	s_delay_alu instid0(VALU_DEP_4) | instskip(SKIP_1) | instid1(VALU_DEP_3)
	v_pk_fma_f16 v73, v4, v96, v73
	v_pk_fma_f16 v95, v5, v96, v95
	;; [unrolled: 1-line block ×3, first 2 shown]
	v_mul_u32_u24_e32 v72, 0x10001, v100
	v_pk_fma_f16 v5, v5, v78, v74
	s_delay_alu instid0(VALU_DEP_2) | instskip(SKIP_2) | instid1(VALU_DEP_1)
	v_pk_fma_f16 v74, v6, v72, v77
	v_pk_fma_f16 v72, v7, v72, v75
	v_mul_u32_u24_e32 v75, 0x10001, v101
	v_pk_fma_f16 v77, v7, v75, v95
	v_pk_fma_f16 v73, v6, v75, v73
	v_mul_u32_u24_e32 v75, 0x10001, v99
	s_delay_alu instid0(VALU_DEP_1) | instskip(SKIP_2) | instid1(VALU_DEP_1)
	v_pk_fma_f16 v76, v7, v75, v76
	v_pk_fma_f16 v71, v6, v75, v71
	v_mul_u32_u24_e32 v75, 0x10001, v102
	v_pk_fma_f16 v78, v7, v75, v5
	v_pk_fma_f16 v75, v6, v75, v4
	ds_load_b128 v[4:7], v57 offset:496
	s_wait_dscnt 0x0
	v_lshrrev_b32_e32 v95, 16, v4
	v_lshrrev_b32_e32 v96, 16, v5
	v_and_b32_e32 v97, 0xffff, v4
	v_and_b32_e32 v98, 0xffff, v5
	v_lshrrev_b32_e32 v99, 16, v6
	v_lshrrev_b32_e32 v100, 16, v7
	v_and_b32_e32 v101, 0xffff, v6
	v_and_b32_e32 v102, 0xffff, v7
	ds_load_2addr_b64 v[4:7], v70 offset0:192 offset1:224
	v_mul_u32_u24_e32 v96, 0x10001, v96
	v_mul_u32_u24_e32 v95, 0x10001, v95
	s_wait_loadcnt_dscnt 0x0
	s_barrier_signal -1
	s_barrier_wait -1
	global_inv scope:SCOPE_SE
	v_pk_fma_f16 v74, v4, v96, v74
	v_pk_fma_f16 v72, v5, v96, v72
	v_mul_u32_u24_e32 v96, 0x10001, v97
	v_pk_fma_f16 v76, v5, v95, v76
	v_pk_fma_f16 v71, v4, v95, v71
	v_mul_u32_u24_e32 v95, 0x10001, v98
	s_delay_alu instid0(VALU_DEP_4) | instskip(SKIP_1) | instid1(VALU_DEP_3)
	v_pk_fma_f16 v73, v4, v96, v73
	v_pk_fma_f16 v77, v5, v96, v77
	;; [unrolled: 1-line block ×3, first 2 shown]
	v_mul_u32_u24_e32 v75, 0x10001, v100
	v_pk_fma_f16 v5, v5, v95, v78
	s_delay_alu instid0(VALU_DEP_2) | instskip(SKIP_2) | instid1(VALU_DEP_1)
	v_pk_fma_f16 v74, v6, v75, v74
	v_pk_fma_f16 v72, v7, v75, v72
	v_mul_u32_u24_e32 v75, 0x10001, v101
	v_pk_fma_f16 v77, v7, v75, v77
	v_pk_fma_f16 v73, v6, v75, v73
	v_mul_u32_u24_e32 v75, 0x10001, v99
	s_delay_alu instid0(VALU_DEP_1) | instskip(SKIP_2) | instid1(VALU_DEP_1)
	v_pk_fma_f16 v76, v7, v75, v76
	v_pk_fma_f16 v71, v6, v75, v71
	v_mul_u32_u24_e32 v75, 0x10001, v102
	v_pk_fma_f16 v78, v7, v75, v5
	v_pk_fma_f16 v75, v6, v75, v4
	s_wait_alu 0xfffe
	v_add_co_u32 v4, vcc_lo, s2, v16
	s_wait_alu 0xfffd
	v_add_co_ci_u32_e64 v5, null, s3, v17, vcc_lo
	s_delay_alu instid0(VALU_DEP_2) | instskip(SKIP_1) | instid1(VALU_DEP_2)
	v_add_co_u32 v4, vcc_lo, v4, v63
	s_wait_alu 0xfffd
	v_add_co_ci_u32_e64 v5, null, 0, v5, vcc_lo
	global_load_b128 v[4:7], v[4:5], off
	s_wait_loadcnt 0x0
	ds_store_b128 v55, v[4:7]
	v_add_co_u32 v4, vcc_lo, s2, v18
	s_wait_alu 0xfffd
	v_add_co_ci_u32_e64 v5, null, s3, v19, vcc_lo
	s_delay_alu instid0(VALU_DEP_2) | instskip(SKIP_1) | instid1(VALU_DEP_2)
	v_add_co_u32 v4, vcc_lo, v4, v63
	s_wait_alu 0xfffd
	v_add_co_ci_u32_e64 v5, null, 0, v5, vcc_lo
	global_load_b128 v[4:7], v[4:5], off
	s_wait_loadcnt 0x0
	ds_store_b128 v58, v[4:7]
	;; [unrolled: 10-line block ×4, first 2 shown]
	s_wait_dscnt 0x0
	s_barrier_signal -1
	s_barrier_wait -1
	global_inv scope:SCOPE_SE
	ds_load_b128 v[4:7], v57 offset:512
	s_wait_dscnt 0x0
	v_lshrrev_b32_e32 v95, 16, v4
	v_lshrrev_b32_e32 v96, 16, v5
	v_and_b32_e32 v97, 0xffff, v4
	v_and_b32_e32 v98, 0xffff, v5
	v_lshrrev_b32_e32 v99, 16, v6
	v_lshrrev_b32_e32 v100, 16, v7
	v_and_b32_e32 v101, 0xffff, v6
	v_and_b32_e32 v102, 0xffff, v7
	ds_load_2addr_b64 v[4:7], v36 offset1:32
	v_mul_u32_u24_e32 v96, 0x10001, v96
	v_mul_u32_u24_e32 v95, 0x10001, v95
	s_wait_dscnt 0x0
	s_delay_alu instid0(VALU_DEP_2)
	v_pk_fma_f16 v74, v4, v96, v74
	v_pk_fma_f16 v72, v5, v96, v72
	v_mul_u32_u24_e32 v96, 0x10001, v97
	v_pk_fma_f16 v76, v5, v95, v76
	v_pk_fma_f16 v71, v4, v95, v71
	v_mul_u32_u24_e32 v95, 0x10001, v98
	s_delay_alu instid0(VALU_DEP_4) | instskip(SKIP_1) | instid1(VALU_DEP_3)
	v_pk_fma_f16 v73, v4, v96, v73
	v_pk_fma_f16 v77, v5, v96, v77
	v_pk_fma_f16 v4, v4, v95, v75
	v_mul_u32_u24_e32 v75, 0x10001, v100
	v_pk_fma_f16 v5, v5, v95, v78
	s_delay_alu instid0(VALU_DEP_2) | instskip(SKIP_2) | instid1(VALU_DEP_1)
	v_pk_fma_f16 v74, v6, v75, v74
	v_pk_fma_f16 v72, v7, v75, v72
	v_mul_u32_u24_e32 v75, 0x10001, v101
	v_pk_fma_f16 v77, v7, v75, v77
	v_pk_fma_f16 v73, v6, v75, v73
	v_mul_u32_u24_e32 v75, 0x10001, v99
	s_delay_alu instid0(VALU_DEP_1) | instskip(SKIP_2) | instid1(VALU_DEP_1)
	v_pk_fma_f16 v76, v7, v75, v76
	v_pk_fma_f16 v71, v6, v75, v71
	v_mul_u32_u24_e32 v75, 0x10001, v102
	v_pk_fma_f16 v78, v7, v75, v5
	v_pk_fma_f16 v75, v6, v75, v4
	ds_load_b128 v[4:7], v57 offset:528
	s_wait_dscnt 0x0
	v_lshrrev_b32_e32 v95, 16, v4
	v_lshrrev_b32_e32 v96, 16, v5
	v_and_b32_e32 v97, 0xffff, v4
	v_and_b32_e32 v98, 0xffff, v5
	v_lshrrev_b32_e32 v99, 16, v6
	v_lshrrev_b32_e32 v100, 16, v7
	v_and_b32_e32 v101, 0xffff, v6
	v_and_b32_e32 v102, 0xffff, v7
	ds_load_2addr_b64 v[4:7], v36 offset0:64 offset1:96
	v_mul_u32_u24_e32 v96, 0x10001, v96
	v_mul_u32_u24_e32 v95, 0x10001, v95
	s_wait_dscnt 0x0
	s_delay_alu instid0(VALU_DEP_2)
	v_pk_fma_f16 v74, v4, v96, v74
	v_pk_fma_f16 v72, v5, v96, v72
	v_mul_u32_u24_e32 v96, 0x10001, v97
	v_pk_fma_f16 v76, v5, v95, v76
	v_pk_fma_f16 v71, v4, v95, v71
	v_mul_u32_u24_e32 v95, 0x10001, v98
	s_delay_alu instid0(VALU_DEP_4) | instskip(SKIP_1) | instid1(VALU_DEP_3)
	v_pk_fma_f16 v73, v4, v96, v73
	v_pk_fma_f16 v77, v5, v96, v77
	v_pk_fma_f16 v4, v4, v95, v75
	v_mul_u32_u24_e32 v75, 0x10001, v100
	v_pk_fma_f16 v5, v5, v95, v78
	s_delay_alu instid0(VALU_DEP_2) | instskip(SKIP_2) | instid1(VALU_DEP_1)
	v_pk_fma_f16 v74, v6, v75, v74
	v_pk_fma_f16 v72, v7, v75, v72
	v_mul_u32_u24_e32 v75, 0x10001, v101
	v_pk_fma_f16 v77, v7, v75, v77
	v_pk_fma_f16 v73, v6, v75, v73
	v_mul_u32_u24_e32 v75, 0x10001, v99
	s_delay_alu instid0(VALU_DEP_1) | instskip(SKIP_2) | instid1(VALU_DEP_1)
	v_pk_fma_f16 v76, v7, v75, v76
	v_pk_fma_f16 v71, v6, v75, v71
	v_mul_u32_u24_e32 v75, 0x10001, v102
	v_pk_fma_f16 v78, v7, v75, v5
	v_pk_fma_f16 v75, v6, v75, v4
	ds_load_b128 v[4:7], v57 offset:544
	s_wait_dscnt 0x0
	v_lshrrev_b32_e32 v95, 16, v4
	v_lshrrev_b32_e32 v96, 16, v5
	v_and_b32_e32 v97, 0xffff, v4
	v_and_b32_e32 v98, 0xffff, v5
	v_lshrrev_b32_e32 v99, 16, v6
	v_lshrrev_b32_e32 v100, 16, v7
	v_and_b32_e32 v101, 0xffff, v6
	v_and_b32_e32 v102, 0xffff, v7
	ds_load_2addr_b64 v[4:7], v36 offset0:128 offset1:160
	;; [unrolled: 40-line block ×3, first 2 shown]
	v_mul_u32_u24_e32 v96, 0x10001, v96
	v_mul_u32_u24_e32 v95, 0x10001, v95
	s_wait_dscnt 0x0
	s_delay_alu instid0(VALU_DEP_2)
	v_pk_fma_f16 v74, v4, v96, v74
	v_pk_fma_f16 v72, v5, v96, v72
	v_mul_u32_u24_e32 v96, 0x10001, v97
	v_pk_fma_f16 v76, v5, v95, v76
	v_pk_fma_f16 v71, v4, v95, v71
	v_mul_u32_u24_e32 v95, 0x10001, v98
	s_delay_alu instid0(VALU_DEP_4) | instskip(SKIP_1) | instid1(VALU_DEP_3)
	v_pk_fma_f16 v73, v4, v96, v73
	v_pk_fma_f16 v77, v5, v96, v77
	;; [unrolled: 1-line block ×3, first 2 shown]
	v_mul_u32_u24_e32 v75, 0x10001, v100
	v_pk_fma_f16 v5, v5, v95, v78
	s_delay_alu instid0(VALU_DEP_2) | instskip(SKIP_2) | instid1(VALU_DEP_1)
	v_pk_fma_f16 v74, v6, v75, v74
	v_pk_fma_f16 v72, v7, v75, v72
	v_mul_u32_u24_e32 v75, 0x10001, v101
	v_pk_fma_f16 v77, v7, v75, v77
	v_pk_fma_f16 v73, v6, v75, v73
	v_mul_u32_u24_e32 v75, 0x10001, v99
	s_delay_alu instid0(VALU_DEP_1) | instskip(SKIP_2) | instid1(VALU_DEP_1)
	v_pk_fma_f16 v76, v7, v75, v76
	v_pk_fma_f16 v71, v6, v75, v71
	v_mul_u32_u24_e32 v75, 0x10001, v102
	v_pk_fma_f16 v78, v7, v75, v5
	v_pk_fma_f16 v75, v6, v75, v4
	ds_load_b128 v[4:7], v57 offset:576
	s_wait_dscnt 0x0
	v_lshrrev_b32_e32 v95, 16, v4
	v_lshrrev_b32_e32 v96, 16, v5
	v_and_b32_e32 v97, 0xffff, v4
	v_and_b32_e32 v98, 0xffff, v5
	v_lshrrev_b32_e32 v99, 16, v6
	v_lshrrev_b32_e32 v100, 16, v7
	v_and_b32_e32 v101, 0xffff, v6
	v_and_b32_e32 v102, 0xffff, v7
	ds_load_2addr_b64 v[4:7], v64 offset1:32
	v_mul_u32_u24_e32 v96, 0x10001, v96
	v_mul_u32_u24_e32 v95, 0x10001, v95
	s_wait_dscnt 0x0
	s_delay_alu instid0(VALU_DEP_2)
	v_pk_fma_f16 v74, v4, v96, v74
	v_pk_fma_f16 v72, v5, v96, v72
	v_mul_u32_u24_e32 v96, 0x10001, v97
	v_pk_fma_f16 v76, v5, v95, v76
	v_pk_fma_f16 v71, v4, v95, v71
	v_mul_u32_u24_e32 v95, 0x10001, v98
	s_delay_alu instid0(VALU_DEP_4) | instskip(SKIP_1) | instid1(VALU_DEP_3)
	v_pk_fma_f16 v73, v4, v96, v73
	v_pk_fma_f16 v77, v5, v96, v77
	v_pk_fma_f16 v4, v4, v95, v75
	v_mul_u32_u24_e32 v75, 0x10001, v100
	v_pk_fma_f16 v5, v5, v95, v78
	s_delay_alu instid0(VALU_DEP_2) | instskip(SKIP_2) | instid1(VALU_DEP_1)
	v_pk_fma_f16 v74, v6, v75, v74
	v_pk_fma_f16 v72, v7, v75, v72
	v_mul_u32_u24_e32 v75, 0x10001, v101
	v_pk_fma_f16 v77, v7, v75, v77
	v_pk_fma_f16 v73, v6, v75, v73
	v_mul_u32_u24_e32 v75, 0x10001, v99
	s_delay_alu instid0(VALU_DEP_1) | instskip(SKIP_2) | instid1(VALU_DEP_1)
	v_pk_fma_f16 v76, v7, v75, v76
	v_pk_fma_f16 v71, v6, v75, v71
	v_mul_u32_u24_e32 v75, 0x10001, v102
	v_pk_fma_f16 v78, v7, v75, v5
	v_pk_fma_f16 v75, v6, v75, v4
	ds_load_b128 v[4:7], v57 offset:592
	s_wait_dscnt 0x0
	v_lshrrev_b32_e32 v95, 16, v4
	v_lshrrev_b32_e32 v96, 16, v5
	v_and_b32_e32 v97, 0xffff, v4
	v_and_b32_e32 v98, 0xffff, v5
	v_lshrrev_b32_e32 v99, 16, v6
	v_lshrrev_b32_e32 v100, 16, v7
	v_and_b32_e32 v101, 0xffff, v6
	v_and_b32_e32 v102, 0xffff, v7
	ds_load_2addr_b64 v[4:7], v64 offset0:64 offset1:96
	v_mul_u32_u24_e32 v96, 0x10001, v96
	v_mul_u32_u24_e32 v95, 0x10001, v95
	s_wait_dscnt 0x0
	s_delay_alu instid0(VALU_DEP_2)
	v_pk_fma_f16 v74, v4, v96, v74
	v_pk_fma_f16 v72, v5, v96, v72
	v_mul_u32_u24_e32 v96, 0x10001, v97
	v_pk_fma_f16 v76, v5, v95, v76
	v_pk_fma_f16 v71, v4, v95, v71
	v_mul_u32_u24_e32 v95, 0x10001, v98
	s_delay_alu instid0(VALU_DEP_4) | instskip(SKIP_1) | instid1(VALU_DEP_3)
	v_pk_fma_f16 v73, v4, v96, v73
	v_pk_fma_f16 v77, v5, v96, v77
	v_pk_fma_f16 v4, v4, v95, v75
	v_mul_u32_u24_e32 v75, 0x10001, v100
	v_pk_fma_f16 v5, v5, v95, v78
	s_delay_alu instid0(VALU_DEP_2) | instskip(SKIP_2) | instid1(VALU_DEP_1)
	v_pk_fma_f16 v74, v6, v75, v74
	v_pk_fma_f16 v72, v7, v75, v72
	v_mul_u32_u24_e32 v75, 0x10001, v101
	v_pk_fma_f16 v77, v7, v75, v77
	v_pk_fma_f16 v73, v6, v75, v73
	v_mul_u32_u24_e32 v75, 0x10001, v99
	s_delay_alu instid0(VALU_DEP_1) | instskip(SKIP_2) | instid1(VALU_DEP_1)
	v_pk_fma_f16 v76, v7, v75, v76
	v_pk_fma_f16 v71, v6, v75, v71
	v_mul_u32_u24_e32 v75, 0x10001, v102
	v_pk_fma_f16 v78, v7, v75, v5
	v_pk_fma_f16 v75, v6, v75, v4
	ds_load_b128 v[4:7], v57 offset:608
	s_wait_dscnt 0x0
	v_lshrrev_b32_e32 v95, 16, v4
	v_lshrrev_b32_e32 v96, 16, v5
	v_and_b32_e32 v97, 0xffff, v4
	v_and_b32_e32 v98, 0xffff, v5
	v_lshrrev_b32_e32 v99, 16, v6
	v_lshrrev_b32_e32 v100, 16, v7
	v_and_b32_e32 v101, 0xffff, v6
	v_and_b32_e32 v102, 0xffff, v7
	ds_load_2addr_b64 v[4:7], v64 offset0:128 offset1:160
	;; [unrolled: 40-line block ×3, first 2 shown]
	v_mul_u32_u24_e32 v96, 0x10001, v96
	v_mul_u32_u24_e32 v95, 0x10001, v95
	s_wait_dscnt 0x0
	s_delay_alu instid0(VALU_DEP_2)
	v_pk_fma_f16 v74, v4, v96, v74
	v_pk_fma_f16 v72, v5, v96, v72
	v_mul_u32_u24_e32 v96, 0x10001, v97
	v_pk_fma_f16 v76, v5, v95, v76
	v_pk_fma_f16 v71, v4, v95, v71
	v_mul_u32_u24_e32 v95, 0x10001, v98
	s_delay_alu instid0(VALU_DEP_4) | instskip(SKIP_1) | instid1(VALU_DEP_3)
	v_pk_fma_f16 v73, v4, v96, v73
	v_pk_fma_f16 v77, v5, v96, v77
	;; [unrolled: 1-line block ×3, first 2 shown]
	v_mul_u32_u24_e32 v75, 0x10001, v100
	v_pk_fma_f16 v5, v5, v95, v78
	s_delay_alu instid0(VALU_DEP_2) | instskip(SKIP_2) | instid1(VALU_DEP_1)
	v_pk_fma_f16 v74, v6, v75, v74
	v_pk_fma_f16 v72, v7, v75, v72
	v_mul_u32_u24_e32 v75, 0x10001, v101
	v_pk_fma_f16 v77, v7, v75, v77
	v_pk_fma_f16 v73, v6, v75, v73
	v_mul_u32_u24_e32 v75, 0x10001, v99
	s_delay_alu instid0(VALU_DEP_1) | instskip(SKIP_2) | instid1(VALU_DEP_1)
	v_pk_fma_f16 v76, v7, v75, v76
	v_pk_fma_f16 v71, v6, v75, v71
	v_mul_u32_u24_e32 v75, 0x10001, v102
	v_pk_fma_f16 v78, v7, v75, v5
	v_pk_fma_f16 v75, v6, v75, v4
	ds_load_b128 v[4:7], v57 offset:640
	s_wait_dscnt 0x0
	v_lshrrev_b32_e32 v95, 16, v4
	v_lshrrev_b32_e32 v96, 16, v5
	v_and_b32_e32 v97, 0xffff, v4
	v_and_b32_e32 v98, 0xffff, v5
	v_lshrrev_b32_e32 v99, 16, v6
	v_lshrrev_b32_e32 v100, 16, v7
	v_and_b32_e32 v101, 0xffff, v6
	v_and_b32_e32 v102, 0xffff, v7
	ds_load_2addr_b64 v[4:7], v65 offset1:32
	v_mul_u32_u24_e32 v96, 0x10001, v96
	v_mul_u32_u24_e32 v95, 0x10001, v95
	s_wait_dscnt 0x0
	s_delay_alu instid0(VALU_DEP_2)
	v_pk_fma_f16 v74, v4, v96, v74
	v_pk_fma_f16 v72, v5, v96, v72
	v_mul_u32_u24_e32 v96, 0x10001, v97
	v_pk_fma_f16 v76, v5, v95, v76
	v_pk_fma_f16 v71, v4, v95, v71
	v_mul_u32_u24_e32 v95, 0x10001, v98
	s_delay_alu instid0(VALU_DEP_4) | instskip(SKIP_1) | instid1(VALU_DEP_3)
	v_pk_fma_f16 v73, v4, v96, v73
	v_pk_fma_f16 v77, v5, v96, v77
	v_pk_fma_f16 v4, v4, v95, v75
	v_mul_u32_u24_e32 v75, 0x10001, v100
	v_pk_fma_f16 v5, v5, v95, v78
	s_delay_alu instid0(VALU_DEP_2) | instskip(SKIP_2) | instid1(VALU_DEP_1)
	v_pk_fma_f16 v74, v6, v75, v74
	v_pk_fma_f16 v72, v7, v75, v72
	v_mul_u32_u24_e32 v75, 0x10001, v101
	v_pk_fma_f16 v77, v7, v75, v77
	v_pk_fma_f16 v73, v6, v75, v73
	v_mul_u32_u24_e32 v75, 0x10001, v99
	s_delay_alu instid0(VALU_DEP_1) | instskip(SKIP_2) | instid1(VALU_DEP_1)
	v_pk_fma_f16 v76, v7, v75, v76
	v_pk_fma_f16 v71, v6, v75, v71
	v_mul_u32_u24_e32 v75, 0x10001, v102
	v_pk_fma_f16 v78, v7, v75, v5
	v_pk_fma_f16 v75, v6, v75, v4
	ds_load_b128 v[4:7], v57 offset:656
	s_wait_dscnt 0x0
	v_lshrrev_b32_e32 v95, 16, v4
	v_lshrrev_b32_e32 v96, 16, v5
	v_and_b32_e32 v97, 0xffff, v4
	v_and_b32_e32 v98, 0xffff, v5
	v_lshrrev_b32_e32 v99, 16, v6
	v_lshrrev_b32_e32 v100, 16, v7
	v_and_b32_e32 v101, 0xffff, v6
	v_and_b32_e32 v102, 0xffff, v7
	ds_load_2addr_b64 v[4:7], v65 offset0:64 offset1:96
	v_mul_u32_u24_e32 v96, 0x10001, v96
	v_mul_u32_u24_e32 v95, 0x10001, v95
	s_wait_dscnt 0x0
	s_delay_alu instid0(VALU_DEP_2)
	v_pk_fma_f16 v74, v4, v96, v74
	v_pk_fma_f16 v72, v5, v96, v72
	v_mul_u32_u24_e32 v96, 0x10001, v97
	v_pk_fma_f16 v76, v5, v95, v76
	v_pk_fma_f16 v71, v4, v95, v71
	v_mul_u32_u24_e32 v95, 0x10001, v98
	s_delay_alu instid0(VALU_DEP_4) | instskip(SKIP_1) | instid1(VALU_DEP_3)
	v_pk_fma_f16 v73, v4, v96, v73
	v_pk_fma_f16 v77, v5, v96, v77
	v_pk_fma_f16 v4, v4, v95, v75
	v_mul_u32_u24_e32 v75, 0x10001, v100
	v_pk_fma_f16 v5, v5, v95, v78
	s_delay_alu instid0(VALU_DEP_2) | instskip(SKIP_2) | instid1(VALU_DEP_1)
	v_pk_fma_f16 v74, v6, v75, v74
	v_pk_fma_f16 v72, v7, v75, v72
	v_mul_u32_u24_e32 v75, 0x10001, v101
	v_pk_fma_f16 v77, v7, v75, v77
	v_pk_fma_f16 v73, v6, v75, v73
	v_mul_u32_u24_e32 v75, 0x10001, v99
	s_delay_alu instid0(VALU_DEP_1) | instskip(SKIP_2) | instid1(VALU_DEP_1)
	v_pk_fma_f16 v76, v7, v75, v76
	v_pk_fma_f16 v71, v6, v75, v71
	v_mul_u32_u24_e32 v75, 0x10001, v102
	v_pk_fma_f16 v78, v7, v75, v5
	v_pk_fma_f16 v75, v6, v75, v4
	ds_load_b128 v[4:7], v57 offset:672
	s_wait_dscnt 0x0
	v_lshrrev_b32_e32 v95, 16, v4
	v_lshrrev_b32_e32 v96, 16, v5
	v_and_b32_e32 v97, 0xffff, v4
	v_and_b32_e32 v98, 0xffff, v5
	v_lshrrev_b32_e32 v99, 16, v6
	v_lshrrev_b32_e32 v100, 16, v7
	v_and_b32_e32 v101, 0xffff, v6
	v_and_b32_e32 v102, 0xffff, v7
	ds_load_2addr_b64 v[4:7], v65 offset0:128 offset1:160
	;; [unrolled: 40-line block ×3, first 2 shown]
	v_mul_u32_u24_e32 v96, 0x10001, v96
	v_mul_u32_u24_e32 v95, 0x10001, v95
	s_wait_dscnt 0x0
	s_delay_alu instid0(VALU_DEP_2)
	v_pk_fma_f16 v74, v4, v96, v74
	v_pk_fma_f16 v72, v5, v96, v72
	v_mul_u32_u24_e32 v96, 0x10001, v97
	v_pk_fma_f16 v76, v5, v95, v76
	v_pk_fma_f16 v71, v4, v95, v71
	v_mul_u32_u24_e32 v95, 0x10001, v98
	s_delay_alu instid0(VALU_DEP_4) | instskip(SKIP_1) | instid1(VALU_DEP_3)
	v_pk_fma_f16 v73, v4, v96, v73
	v_pk_fma_f16 v77, v5, v96, v77
	;; [unrolled: 1-line block ×3, first 2 shown]
	v_mul_u32_u24_e32 v75, 0x10001, v100
	v_pk_fma_f16 v5, v5, v95, v78
	s_delay_alu instid0(VALU_DEP_2) | instskip(SKIP_2) | instid1(VALU_DEP_1)
	v_pk_fma_f16 v74, v6, v75, v74
	v_pk_fma_f16 v72, v7, v75, v72
	v_mul_u32_u24_e32 v75, 0x10001, v101
	v_pk_fma_f16 v77, v7, v75, v77
	v_pk_fma_f16 v73, v6, v75, v73
	v_mul_u32_u24_e32 v75, 0x10001, v99
	s_delay_alu instid0(VALU_DEP_1) | instskip(SKIP_2) | instid1(VALU_DEP_1)
	v_pk_fma_f16 v76, v7, v75, v76
	v_pk_fma_f16 v71, v6, v75, v71
	v_mul_u32_u24_e32 v75, 0x10001, v102
	v_pk_fma_f16 v78, v7, v75, v5
	v_pk_fma_f16 v75, v6, v75, v4
	ds_load_b128 v[4:7], v57 offset:704
	s_wait_dscnt 0x0
	v_lshrrev_b32_e32 v95, 16, v4
	v_lshrrev_b32_e32 v96, 16, v5
	v_and_b32_e32 v97, 0xffff, v4
	v_and_b32_e32 v98, 0xffff, v5
	v_lshrrev_b32_e32 v99, 16, v6
	v_lshrrev_b32_e32 v100, 16, v7
	v_and_b32_e32 v101, 0xffff, v6
	v_and_b32_e32 v102, 0xffff, v7
	ds_load_2addr_b64 v[4:7], v66 offset1:32
	v_mul_u32_u24_e32 v96, 0x10001, v96
	v_mul_u32_u24_e32 v95, 0x10001, v95
	s_wait_dscnt 0x0
	s_delay_alu instid0(VALU_DEP_2)
	v_pk_fma_f16 v74, v4, v96, v74
	v_pk_fma_f16 v72, v5, v96, v72
	v_mul_u32_u24_e32 v96, 0x10001, v97
	v_pk_fma_f16 v76, v5, v95, v76
	v_pk_fma_f16 v71, v4, v95, v71
	v_mul_u32_u24_e32 v95, 0x10001, v98
	s_delay_alu instid0(VALU_DEP_4) | instskip(SKIP_1) | instid1(VALU_DEP_3)
	v_pk_fma_f16 v73, v4, v96, v73
	v_pk_fma_f16 v77, v5, v96, v77
	v_pk_fma_f16 v4, v4, v95, v75
	v_mul_u32_u24_e32 v75, 0x10001, v100
	v_pk_fma_f16 v5, v5, v95, v78
	s_delay_alu instid0(VALU_DEP_2) | instskip(SKIP_2) | instid1(VALU_DEP_1)
	v_pk_fma_f16 v74, v6, v75, v74
	v_pk_fma_f16 v72, v7, v75, v72
	v_mul_u32_u24_e32 v75, 0x10001, v101
	v_pk_fma_f16 v77, v7, v75, v77
	v_pk_fma_f16 v73, v6, v75, v73
	v_mul_u32_u24_e32 v75, 0x10001, v99
	s_delay_alu instid0(VALU_DEP_1) | instskip(SKIP_2) | instid1(VALU_DEP_1)
	v_pk_fma_f16 v76, v7, v75, v76
	v_pk_fma_f16 v71, v6, v75, v71
	v_mul_u32_u24_e32 v75, 0x10001, v102
	v_pk_fma_f16 v78, v7, v75, v5
	v_pk_fma_f16 v75, v6, v75, v4
	ds_load_b128 v[4:7], v57 offset:720
	s_wait_dscnt 0x0
	v_lshrrev_b32_e32 v95, 16, v4
	v_lshrrev_b32_e32 v96, 16, v5
	v_and_b32_e32 v97, 0xffff, v4
	v_and_b32_e32 v98, 0xffff, v5
	v_lshrrev_b32_e32 v99, 16, v6
	v_lshrrev_b32_e32 v100, 16, v7
	v_and_b32_e32 v101, 0xffff, v6
	v_and_b32_e32 v102, 0xffff, v7
	ds_load_2addr_b64 v[4:7], v66 offset0:64 offset1:96
	v_mul_u32_u24_e32 v96, 0x10001, v96
	v_mul_u32_u24_e32 v95, 0x10001, v95
	s_wait_dscnt 0x0
	s_delay_alu instid0(VALU_DEP_2)
	v_pk_fma_f16 v74, v4, v96, v74
	v_pk_fma_f16 v72, v5, v96, v72
	v_mul_u32_u24_e32 v96, 0x10001, v97
	v_pk_fma_f16 v76, v5, v95, v76
	v_pk_fma_f16 v71, v4, v95, v71
	v_mul_u32_u24_e32 v95, 0x10001, v98
	s_delay_alu instid0(VALU_DEP_4) | instskip(SKIP_1) | instid1(VALU_DEP_3)
	v_pk_fma_f16 v73, v4, v96, v73
	v_pk_fma_f16 v77, v5, v96, v77
	v_pk_fma_f16 v4, v4, v95, v75
	v_mul_u32_u24_e32 v75, 0x10001, v100
	v_pk_fma_f16 v5, v5, v95, v78
	s_delay_alu instid0(VALU_DEP_2) | instskip(SKIP_2) | instid1(VALU_DEP_1)
	v_pk_fma_f16 v74, v6, v75, v74
	v_pk_fma_f16 v72, v7, v75, v72
	v_mul_u32_u24_e32 v75, 0x10001, v101
	v_pk_fma_f16 v77, v7, v75, v77
	v_pk_fma_f16 v73, v6, v75, v73
	v_mul_u32_u24_e32 v75, 0x10001, v99
	s_delay_alu instid0(VALU_DEP_1) | instskip(SKIP_2) | instid1(VALU_DEP_1)
	v_pk_fma_f16 v76, v7, v75, v76
	v_pk_fma_f16 v71, v6, v75, v71
	v_mul_u32_u24_e32 v75, 0x10001, v102
	v_pk_fma_f16 v78, v7, v75, v5
	v_pk_fma_f16 v75, v6, v75, v4
	ds_load_b128 v[4:7], v57 offset:736
	s_wait_dscnt 0x0
	v_lshrrev_b32_e32 v95, 16, v4
	v_lshrrev_b32_e32 v96, 16, v5
	v_and_b32_e32 v97, 0xffff, v4
	v_and_b32_e32 v98, 0xffff, v5
	v_lshrrev_b32_e32 v99, 16, v6
	v_lshrrev_b32_e32 v100, 16, v7
	v_and_b32_e32 v101, 0xffff, v6
	v_and_b32_e32 v102, 0xffff, v7
	ds_load_2addr_b64 v[4:7], v66 offset0:128 offset1:160
	;; [unrolled: 40-line block ×3, first 2 shown]
	v_mul_u32_u24_e32 v96, 0x10001, v96
	v_mul_u32_u24_e32 v95, 0x10001, v95
	s_wait_dscnt 0x0
	s_delay_alu instid0(VALU_DEP_2)
	v_pk_fma_f16 v74, v4, v96, v74
	v_pk_fma_f16 v72, v5, v96, v72
	v_mul_u32_u24_e32 v96, 0x10001, v97
	v_pk_fma_f16 v76, v5, v95, v76
	v_pk_fma_f16 v71, v4, v95, v71
	v_mul_u32_u24_e32 v95, 0x10001, v98
	s_delay_alu instid0(VALU_DEP_4) | instskip(SKIP_1) | instid1(VALU_DEP_3)
	v_pk_fma_f16 v73, v4, v96, v73
	v_pk_fma_f16 v77, v5, v96, v77
	;; [unrolled: 1-line block ×3, first 2 shown]
	v_mul_u32_u24_e32 v75, 0x10001, v100
	v_pk_fma_f16 v5, v5, v95, v78
	s_delay_alu instid0(VALU_DEP_2) | instskip(SKIP_2) | instid1(VALU_DEP_1)
	v_pk_fma_f16 v74, v6, v75, v74
	v_pk_fma_f16 v72, v7, v75, v72
	v_mul_u32_u24_e32 v75, 0x10001, v101
	v_pk_fma_f16 v77, v7, v75, v77
	v_pk_fma_f16 v73, v6, v75, v73
	v_mul_u32_u24_e32 v75, 0x10001, v99
	s_delay_alu instid0(VALU_DEP_1) | instskip(SKIP_2) | instid1(VALU_DEP_1)
	v_pk_fma_f16 v76, v7, v75, v76
	v_pk_fma_f16 v71, v6, v75, v71
	v_mul_u32_u24_e32 v75, 0x10001, v102
	v_pk_fma_f16 v78, v7, v75, v5
	v_pk_fma_f16 v75, v6, v75, v4
	ds_load_b128 v[4:7], v57 offset:768
	s_wait_dscnt 0x0
	v_lshrrev_b32_e32 v95, 16, v4
	v_lshrrev_b32_e32 v96, 16, v5
	v_and_b32_e32 v97, 0xffff, v4
	v_and_b32_e32 v98, 0xffff, v5
	v_lshrrev_b32_e32 v99, 16, v6
	v_lshrrev_b32_e32 v100, 16, v7
	v_and_b32_e32 v101, 0xffff, v6
	v_and_b32_e32 v102, 0xffff, v7
	ds_load_2addr_b64 v[4:7], v67 offset1:32
	v_mul_u32_u24_e32 v96, 0x10001, v96
	v_mul_u32_u24_e32 v95, 0x10001, v95
	s_wait_dscnt 0x0
	s_delay_alu instid0(VALU_DEP_2)
	v_pk_fma_f16 v74, v4, v96, v74
	v_pk_fma_f16 v72, v5, v96, v72
	v_mul_u32_u24_e32 v96, 0x10001, v97
	v_pk_fma_f16 v76, v5, v95, v76
	v_pk_fma_f16 v71, v4, v95, v71
	v_mul_u32_u24_e32 v95, 0x10001, v98
	s_delay_alu instid0(VALU_DEP_4) | instskip(SKIP_1) | instid1(VALU_DEP_3)
	v_pk_fma_f16 v73, v4, v96, v73
	v_pk_fma_f16 v77, v5, v96, v77
	v_pk_fma_f16 v4, v4, v95, v75
	v_mul_u32_u24_e32 v75, 0x10001, v100
	v_pk_fma_f16 v5, v5, v95, v78
	s_delay_alu instid0(VALU_DEP_2) | instskip(SKIP_2) | instid1(VALU_DEP_1)
	v_pk_fma_f16 v74, v6, v75, v74
	v_pk_fma_f16 v72, v7, v75, v72
	v_mul_u32_u24_e32 v75, 0x10001, v101
	v_pk_fma_f16 v77, v7, v75, v77
	v_pk_fma_f16 v73, v6, v75, v73
	v_mul_u32_u24_e32 v75, 0x10001, v99
	s_delay_alu instid0(VALU_DEP_1) | instskip(SKIP_2) | instid1(VALU_DEP_1)
	v_pk_fma_f16 v76, v7, v75, v76
	v_pk_fma_f16 v71, v6, v75, v71
	v_mul_u32_u24_e32 v75, 0x10001, v102
	v_pk_fma_f16 v78, v7, v75, v5
	v_pk_fma_f16 v75, v6, v75, v4
	ds_load_b128 v[4:7], v57 offset:784
	s_wait_dscnt 0x0
	v_lshrrev_b32_e32 v95, 16, v4
	v_lshrrev_b32_e32 v96, 16, v5
	v_and_b32_e32 v97, 0xffff, v4
	v_and_b32_e32 v98, 0xffff, v5
	v_lshrrev_b32_e32 v99, 16, v6
	v_lshrrev_b32_e32 v100, 16, v7
	v_and_b32_e32 v101, 0xffff, v6
	v_and_b32_e32 v102, 0xffff, v7
	ds_load_2addr_b64 v[4:7], v67 offset0:64 offset1:96
	v_mul_u32_u24_e32 v96, 0x10001, v96
	v_mul_u32_u24_e32 v95, 0x10001, v95
	s_wait_dscnt 0x0
	s_delay_alu instid0(VALU_DEP_2)
	v_pk_fma_f16 v74, v4, v96, v74
	v_pk_fma_f16 v72, v5, v96, v72
	v_mul_u32_u24_e32 v96, 0x10001, v97
	v_pk_fma_f16 v76, v5, v95, v76
	v_pk_fma_f16 v71, v4, v95, v71
	v_mul_u32_u24_e32 v95, 0x10001, v98
	s_delay_alu instid0(VALU_DEP_4) | instskip(SKIP_1) | instid1(VALU_DEP_3)
	v_pk_fma_f16 v73, v4, v96, v73
	v_pk_fma_f16 v77, v5, v96, v77
	v_pk_fma_f16 v4, v4, v95, v75
	v_mul_u32_u24_e32 v75, 0x10001, v100
	v_pk_fma_f16 v5, v5, v95, v78
	s_delay_alu instid0(VALU_DEP_2) | instskip(SKIP_2) | instid1(VALU_DEP_1)
	v_pk_fma_f16 v74, v6, v75, v74
	v_pk_fma_f16 v72, v7, v75, v72
	v_mul_u32_u24_e32 v75, 0x10001, v101
	v_pk_fma_f16 v77, v7, v75, v77
	v_pk_fma_f16 v73, v6, v75, v73
	v_mul_u32_u24_e32 v75, 0x10001, v99
	s_delay_alu instid0(VALU_DEP_1) | instskip(SKIP_2) | instid1(VALU_DEP_1)
	v_pk_fma_f16 v76, v7, v75, v76
	v_pk_fma_f16 v71, v6, v75, v71
	v_mul_u32_u24_e32 v75, 0x10001, v102
	v_pk_fma_f16 v78, v7, v75, v5
	v_pk_fma_f16 v75, v6, v75, v4
	ds_load_b128 v[4:7], v57 offset:800
	s_wait_dscnt 0x0
	v_lshrrev_b32_e32 v95, 16, v4
	v_lshrrev_b32_e32 v96, 16, v5
	v_and_b32_e32 v97, 0xffff, v4
	v_and_b32_e32 v98, 0xffff, v5
	v_lshrrev_b32_e32 v99, 16, v6
	v_lshrrev_b32_e32 v100, 16, v7
	v_and_b32_e32 v101, 0xffff, v6
	v_and_b32_e32 v102, 0xffff, v7
	ds_load_2addr_b64 v[4:7], v67 offset0:128 offset1:160
	v_mul_u32_u24_e32 v96, 0x10001, v96
	v_mul_u32_u24_e32 v95, 0x10001, v95
	s_wait_dscnt 0x0
	s_delay_alu instid0(VALU_DEP_2)
	v_pk_fma_f16 v74, v4, v96, v74
	v_pk_fma_f16 v72, v5, v96, v72
	v_mul_u32_u24_e32 v96, 0x10001, v97
	v_pk_fma_f16 v76, v5, v95, v76
	v_pk_fma_f16 v71, v4, v95, v71
	v_mul_u32_u24_e32 v95, 0x10001, v98
	s_delay_alu instid0(VALU_DEP_4) | instskip(SKIP_1) | instid1(VALU_DEP_3)
	v_pk_fma_f16 v73, v4, v96, v73
	v_pk_fma_f16 v77, v5, v96, v77
	v_pk_fma_f16 v4, v4, v95, v75
	v_mul_u32_u24_e32 v75, 0x10001, v100
	v_pk_fma_f16 v5, v5, v95, v78
	s_delay_alu instid0(VALU_DEP_2) | instskip(SKIP_2) | instid1(VALU_DEP_1)
	v_pk_fma_f16 v74, v6, v75, v74
	v_pk_fma_f16 v72, v7, v75, v72
	v_mul_u32_u24_e32 v75, 0x10001, v101
	v_pk_fma_f16 v77, v7, v75, v77
	v_pk_fma_f16 v73, v6, v75, v73
	v_mul_u32_u24_e32 v75, 0x10001, v99
	s_delay_alu instid0(VALU_DEP_1) | instskip(SKIP_2) | instid1(VALU_DEP_1)
	v_pk_fma_f16 v76, v7, v75, v76
	v_pk_fma_f16 v71, v6, v75, v71
	v_mul_u32_u24_e32 v75, 0x10001, v102
	v_pk_fma_f16 v78, v7, v75, v5
	v_pk_fma_f16 v75, v6, v75, v4
	ds_load_b128 v[4:7], v57 offset:816
	s_wait_dscnt 0x0
	v_lshrrev_b32_e32 v95, 16, v4
	v_lshrrev_b32_e32 v96, 16, v5
	v_and_b32_e32 v97, 0xffff, v4
	v_and_b32_e32 v98, 0xffff, v5
	v_lshrrev_b32_e32 v99, 16, v6
	v_lshrrev_b32_e32 v100, 16, v7
	v_and_b32_e32 v101, 0xffff, v6
	v_and_b32_e32 v102, 0xffff, v7
	ds_load_2addr_b64 v[4:7], v67 offset0:192 offset1:224
	v_mul_u32_u24_e32 v96, 0x10001, v96
	v_mul_u32_u24_e32 v95, 0x10001, v95
	s_wait_dscnt 0x0
	s_delay_alu instid0(VALU_DEP_2)
	v_pk_fma_f16 v74, v4, v96, v74
	v_pk_fma_f16 v72, v5, v96, v72
	v_mul_u32_u24_e32 v96, 0x10001, v97
	v_pk_fma_f16 v76, v5, v95, v76
	v_pk_fma_f16 v71, v4, v95, v71
	v_mul_u32_u24_e32 v95, 0x10001, v98
	s_delay_alu instid0(VALU_DEP_4) | instskip(SKIP_1) | instid1(VALU_DEP_3)
	v_pk_fma_f16 v73, v4, v96, v73
	v_pk_fma_f16 v77, v5, v96, v77
	;; [unrolled: 1-line block ×3, first 2 shown]
	v_mul_u32_u24_e32 v75, 0x10001, v100
	v_pk_fma_f16 v5, v5, v95, v78
	s_delay_alu instid0(VALU_DEP_2) | instskip(SKIP_2) | instid1(VALU_DEP_1)
	v_pk_fma_f16 v74, v6, v75, v74
	v_pk_fma_f16 v72, v7, v75, v72
	v_mul_u32_u24_e32 v75, 0x10001, v101
	v_pk_fma_f16 v77, v7, v75, v77
	v_pk_fma_f16 v73, v6, v75, v73
	v_mul_u32_u24_e32 v75, 0x10001, v99
	s_delay_alu instid0(VALU_DEP_1) | instskip(SKIP_2) | instid1(VALU_DEP_1)
	v_pk_fma_f16 v76, v7, v75, v76
	v_pk_fma_f16 v71, v6, v75, v71
	v_mul_u32_u24_e32 v75, 0x10001, v102
	v_pk_fma_f16 v78, v7, v75, v5
	v_pk_fma_f16 v75, v6, v75, v4
	ds_load_b128 v[4:7], v57 offset:832
	s_wait_dscnt 0x0
	v_lshrrev_b32_e32 v95, 16, v4
	v_lshrrev_b32_e32 v96, 16, v5
	v_and_b32_e32 v97, 0xffff, v4
	v_and_b32_e32 v98, 0xffff, v5
	v_lshrrev_b32_e32 v99, 16, v6
	v_lshrrev_b32_e32 v100, 16, v7
	v_and_b32_e32 v101, 0xffff, v6
	v_and_b32_e32 v102, 0xffff, v7
	ds_load_2addr_b64 v[4:7], v68 offset1:32
	v_mul_u32_u24_e32 v96, 0x10001, v96
	v_mul_u32_u24_e32 v95, 0x10001, v95
	s_wait_dscnt 0x0
	s_delay_alu instid0(VALU_DEP_2)
	v_pk_fma_f16 v74, v4, v96, v74
	v_pk_fma_f16 v72, v5, v96, v72
	v_mul_u32_u24_e32 v96, 0x10001, v97
	v_pk_fma_f16 v76, v5, v95, v76
	v_pk_fma_f16 v71, v4, v95, v71
	v_mul_u32_u24_e32 v95, 0x10001, v98
	s_delay_alu instid0(VALU_DEP_4) | instskip(SKIP_1) | instid1(VALU_DEP_3)
	v_pk_fma_f16 v73, v4, v96, v73
	v_pk_fma_f16 v77, v5, v96, v77
	v_pk_fma_f16 v4, v4, v95, v75
	v_mul_u32_u24_e32 v75, 0x10001, v100
	v_pk_fma_f16 v5, v5, v95, v78
	s_delay_alu instid0(VALU_DEP_2) | instskip(SKIP_2) | instid1(VALU_DEP_1)
	v_pk_fma_f16 v74, v6, v75, v74
	v_pk_fma_f16 v72, v7, v75, v72
	v_mul_u32_u24_e32 v75, 0x10001, v101
	v_pk_fma_f16 v77, v7, v75, v77
	v_pk_fma_f16 v73, v6, v75, v73
	v_mul_u32_u24_e32 v75, 0x10001, v99
	s_delay_alu instid0(VALU_DEP_1) | instskip(SKIP_2) | instid1(VALU_DEP_1)
	v_pk_fma_f16 v76, v7, v75, v76
	v_pk_fma_f16 v71, v6, v75, v71
	v_mul_u32_u24_e32 v75, 0x10001, v102
	v_pk_fma_f16 v78, v7, v75, v5
	v_pk_fma_f16 v75, v6, v75, v4
	ds_load_b128 v[4:7], v57 offset:848
	s_wait_dscnt 0x0
	v_lshrrev_b32_e32 v95, 16, v4
	v_lshrrev_b32_e32 v96, 16, v5
	v_and_b32_e32 v97, 0xffff, v4
	v_and_b32_e32 v98, 0xffff, v5
	v_lshrrev_b32_e32 v99, 16, v6
	v_lshrrev_b32_e32 v100, 16, v7
	v_and_b32_e32 v101, 0xffff, v6
	v_and_b32_e32 v102, 0xffff, v7
	ds_load_2addr_b64 v[4:7], v68 offset0:64 offset1:96
	v_mul_u32_u24_e32 v96, 0x10001, v96
	v_mul_u32_u24_e32 v95, 0x10001, v95
	s_wait_dscnt 0x0
	s_delay_alu instid0(VALU_DEP_2)
	v_pk_fma_f16 v74, v4, v96, v74
	v_pk_fma_f16 v72, v5, v96, v72
	v_mul_u32_u24_e32 v96, 0x10001, v97
	v_pk_fma_f16 v76, v5, v95, v76
	v_pk_fma_f16 v71, v4, v95, v71
	v_mul_u32_u24_e32 v95, 0x10001, v98
	s_delay_alu instid0(VALU_DEP_4) | instskip(SKIP_1) | instid1(VALU_DEP_3)
	v_pk_fma_f16 v73, v4, v96, v73
	v_pk_fma_f16 v77, v5, v96, v77
	v_pk_fma_f16 v4, v4, v95, v75
	v_mul_u32_u24_e32 v75, 0x10001, v100
	v_pk_fma_f16 v5, v5, v95, v78
	s_delay_alu instid0(VALU_DEP_2) | instskip(SKIP_2) | instid1(VALU_DEP_1)
	v_pk_fma_f16 v74, v6, v75, v74
	v_pk_fma_f16 v72, v7, v75, v72
	v_mul_u32_u24_e32 v75, 0x10001, v101
	v_pk_fma_f16 v77, v7, v75, v77
	v_pk_fma_f16 v73, v6, v75, v73
	v_mul_u32_u24_e32 v75, 0x10001, v99
	s_delay_alu instid0(VALU_DEP_1) | instskip(SKIP_2) | instid1(VALU_DEP_1)
	v_pk_fma_f16 v76, v7, v75, v76
	v_pk_fma_f16 v71, v6, v75, v71
	v_mul_u32_u24_e32 v75, 0x10001, v102
	v_pk_fma_f16 v78, v7, v75, v5
	v_pk_fma_f16 v75, v6, v75, v4
	ds_load_b128 v[4:7], v57 offset:864
	s_wait_dscnt 0x0
	v_lshrrev_b32_e32 v95, 16, v4
	v_lshrrev_b32_e32 v96, 16, v5
	v_and_b32_e32 v97, 0xffff, v4
	v_and_b32_e32 v98, 0xffff, v5
	v_lshrrev_b32_e32 v99, 16, v6
	v_lshrrev_b32_e32 v100, 16, v7
	v_and_b32_e32 v101, 0xffff, v6
	v_and_b32_e32 v102, 0xffff, v7
	ds_load_2addr_b64 v[4:7], v68 offset0:128 offset1:160
	v_mul_u32_u24_e32 v96, 0x10001, v96
	v_mul_u32_u24_e32 v95, 0x10001, v95
	s_wait_dscnt 0x0
	s_delay_alu instid0(VALU_DEP_2)
	v_pk_fma_f16 v74, v4, v96, v74
	v_pk_fma_f16 v72, v5, v96, v72
	v_mul_u32_u24_e32 v96, 0x10001, v97
	v_pk_fma_f16 v76, v5, v95, v76
	v_pk_fma_f16 v71, v4, v95, v71
	v_mul_u32_u24_e32 v95, 0x10001, v98
	s_delay_alu instid0(VALU_DEP_4) | instskip(SKIP_1) | instid1(VALU_DEP_3)
	v_pk_fma_f16 v73, v4, v96, v73
	v_pk_fma_f16 v77, v5, v96, v77
	v_pk_fma_f16 v4, v4, v95, v75
	v_mul_u32_u24_e32 v75, 0x10001, v100
	v_pk_fma_f16 v5, v5, v95, v78
	s_delay_alu instid0(VALU_DEP_2) | instskip(SKIP_2) | instid1(VALU_DEP_1)
	v_pk_fma_f16 v74, v6, v75, v74
	v_pk_fma_f16 v72, v7, v75, v72
	v_mul_u32_u24_e32 v75, 0x10001, v101
	v_pk_fma_f16 v77, v7, v75, v77
	v_pk_fma_f16 v73, v6, v75, v73
	v_mul_u32_u24_e32 v75, 0x10001, v99
	s_delay_alu instid0(VALU_DEP_1) | instskip(SKIP_2) | instid1(VALU_DEP_1)
	v_pk_fma_f16 v76, v7, v75, v76
	v_pk_fma_f16 v71, v6, v75, v71
	v_mul_u32_u24_e32 v75, 0x10001, v102
	v_pk_fma_f16 v78, v7, v75, v5
	v_pk_fma_f16 v75, v6, v75, v4
	ds_load_b128 v[4:7], v57 offset:880
	s_wait_dscnt 0x0
	v_lshrrev_b32_e32 v95, 16, v4
	v_lshrrev_b32_e32 v96, 16, v5
	v_and_b32_e32 v97, 0xffff, v4
	v_and_b32_e32 v98, 0xffff, v5
	v_lshrrev_b32_e32 v99, 16, v6
	v_lshrrev_b32_e32 v100, 16, v7
	v_and_b32_e32 v101, 0xffff, v6
	v_and_b32_e32 v102, 0xffff, v7
	ds_load_2addr_b64 v[4:7], v68 offset0:192 offset1:224
	v_mul_u32_u24_e32 v96, 0x10001, v96
	v_mul_u32_u24_e32 v95, 0x10001, v95
	s_wait_dscnt 0x0
	s_delay_alu instid0(VALU_DEP_2)
	v_pk_fma_f16 v74, v4, v96, v74
	v_pk_fma_f16 v72, v5, v96, v72
	v_mul_u32_u24_e32 v96, 0x10001, v97
	v_pk_fma_f16 v76, v5, v95, v76
	v_pk_fma_f16 v71, v4, v95, v71
	v_mul_u32_u24_e32 v95, 0x10001, v98
	s_delay_alu instid0(VALU_DEP_4) | instskip(SKIP_1) | instid1(VALU_DEP_3)
	v_pk_fma_f16 v73, v4, v96, v73
	v_pk_fma_f16 v77, v5, v96, v77
	;; [unrolled: 1-line block ×3, first 2 shown]
	v_mul_u32_u24_e32 v75, 0x10001, v100
	v_pk_fma_f16 v5, v5, v95, v78
	s_delay_alu instid0(VALU_DEP_2) | instskip(SKIP_2) | instid1(VALU_DEP_1)
	v_pk_fma_f16 v74, v6, v75, v74
	v_pk_fma_f16 v72, v7, v75, v72
	v_mul_u32_u24_e32 v75, 0x10001, v101
	v_pk_fma_f16 v77, v7, v75, v77
	v_pk_fma_f16 v73, v6, v75, v73
	v_mul_u32_u24_e32 v75, 0x10001, v99
	s_delay_alu instid0(VALU_DEP_1) | instskip(SKIP_2) | instid1(VALU_DEP_1)
	v_pk_fma_f16 v76, v7, v75, v76
	v_pk_fma_f16 v71, v6, v75, v71
	v_mul_u32_u24_e32 v75, 0x10001, v102
	v_pk_fma_f16 v78, v7, v75, v5
	v_pk_fma_f16 v75, v6, v75, v4
	ds_load_b128 v[4:7], v57 offset:896
	s_wait_dscnt 0x0
	v_lshrrev_b32_e32 v95, 16, v4
	v_lshrrev_b32_e32 v96, 16, v5
	v_and_b32_e32 v97, 0xffff, v4
	v_and_b32_e32 v98, 0xffff, v5
	v_lshrrev_b32_e32 v99, 16, v6
	v_lshrrev_b32_e32 v100, 16, v7
	v_and_b32_e32 v101, 0xffff, v6
	v_and_b32_e32 v102, 0xffff, v7
	ds_load_2addr_b64 v[4:7], v69 offset1:32
	v_mul_u32_u24_e32 v96, 0x10001, v96
	v_mul_u32_u24_e32 v95, 0x10001, v95
	s_wait_dscnt 0x0
	s_delay_alu instid0(VALU_DEP_2)
	v_pk_fma_f16 v74, v4, v96, v74
	v_pk_fma_f16 v72, v5, v96, v72
	v_mul_u32_u24_e32 v96, 0x10001, v97
	v_pk_fma_f16 v76, v5, v95, v76
	v_pk_fma_f16 v71, v4, v95, v71
	v_mul_u32_u24_e32 v95, 0x10001, v98
	s_delay_alu instid0(VALU_DEP_4) | instskip(SKIP_1) | instid1(VALU_DEP_3)
	v_pk_fma_f16 v73, v4, v96, v73
	v_pk_fma_f16 v77, v5, v96, v77
	v_pk_fma_f16 v4, v4, v95, v75
	v_mul_u32_u24_e32 v75, 0x10001, v100
	v_pk_fma_f16 v5, v5, v95, v78
	s_delay_alu instid0(VALU_DEP_2) | instskip(SKIP_2) | instid1(VALU_DEP_1)
	v_pk_fma_f16 v74, v6, v75, v74
	v_pk_fma_f16 v72, v7, v75, v72
	v_mul_u32_u24_e32 v75, 0x10001, v101
	v_pk_fma_f16 v77, v7, v75, v77
	v_pk_fma_f16 v73, v6, v75, v73
	v_mul_u32_u24_e32 v75, 0x10001, v99
	s_delay_alu instid0(VALU_DEP_1) | instskip(SKIP_2) | instid1(VALU_DEP_1)
	v_pk_fma_f16 v76, v7, v75, v76
	v_pk_fma_f16 v71, v6, v75, v71
	v_mul_u32_u24_e32 v75, 0x10001, v102
	v_pk_fma_f16 v78, v7, v75, v5
	v_pk_fma_f16 v75, v6, v75, v4
	ds_load_b128 v[4:7], v57 offset:912
	s_wait_dscnt 0x0
	v_lshrrev_b32_e32 v95, 16, v4
	v_lshrrev_b32_e32 v96, 16, v5
	v_and_b32_e32 v97, 0xffff, v4
	v_and_b32_e32 v98, 0xffff, v5
	v_lshrrev_b32_e32 v99, 16, v6
	v_lshrrev_b32_e32 v100, 16, v7
	v_and_b32_e32 v101, 0xffff, v6
	v_and_b32_e32 v102, 0xffff, v7
	ds_load_2addr_b64 v[4:7], v69 offset0:64 offset1:96
	v_mul_u32_u24_e32 v96, 0x10001, v96
	v_mul_u32_u24_e32 v95, 0x10001, v95
	s_wait_dscnt 0x0
	s_delay_alu instid0(VALU_DEP_2)
	v_pk_fma_f16 v74, v4, v96, v74
	v_pk_fma_f16 v72, v5, v96, v72
	v_mul_u32_u24_e32 v96, 0x10001, v97
	v_pk_fma_f16 v76, v5, v95, v76
	v_pk_fma_f16 v71, v4, v95, v71
	v_mul_u32_u24_e32 v95, 0x10001, v98
	s_delay_alu instid0(VALU_DEP_4) | instskip(SKIP_1) | instid1(VALU_DEP_3)
	v_pk_fma_f16 v73, v4, v96, v73
	v_pk_fma_f16 v77, v5, v96, v77
	v_pk_fma_f16 v4, v4, v95, v75
	v_mul_u32_u24_e32 v75, 0x10001, v100
	v_pk_fma_f16 v5, v5, v95, v78
	s_delay_alu instid0(VALU_DEP_2) | instskip(SKIP_2) | instid1(VALU_DEP_1)
	v_pk_fma_f16 v74, v6, v75, v74
	v_pk_fma_f16 v72, v7, v75, v72
	v_mul_u32_u24_e32 v75, 0x10001, v101
	v_pk_fma_f16 v77, v7, v75, v77
	v_pk_fma_f16 v73, v6, v75, v73
	v_mul_u32_u24_e32 v75, 0x10001, v99
	s_delay_alu instid0(VALU_DEP_1) | instskip(SKIP_2) | instid1(VALU_DEP_1)
	v_pk_fma_f16 v76, v7, v75, v76
	v_pk_fma_f16 v71, v6, v75, v71
	v_mul_u32_u24_e32 v75, 0x10001, v102
	v_pk_fma_f16 v78, v7, v75, v5
	v_pk_fma_f16 v75, v6, v75, v4
	ds_load_b128 v[4:7], v57 offset:928
	s_wait_dscnt 0x0
	v_lshrrev_b32_e32 v95, 16, v4
	v_lshrrev_b32_e32 v96, 16, v5
	v_and_b32_e32 v97, 0xffff, v4
	v_and_b32_e32 v98, 0xffff, v5
	v_lshrrev_b32_e32 v99, 16, v6
	v_lshrrev_b32_e32 v100, 16, v7
	v_and_b32_e32 v101, 0xffff, v6
	v_and_b32_e32 v102, 0xffff, v7
	ds_load_2addr_b64 v[4:7], v69 offset0:128 offset1:160
	v_mul_u32_u24_e32 v96, 0x10001, v96
	v_mul_u32_u24_e32 v95, 0x10001, v95
	s_wait_dscnt 0x0
	s_delay_alu instid0(VALU_DEP_2)
	v_pk_fma_f16 v74, v4, v96, v74
	v_pk_fma_f16 v72, v5, v96, v72
	v_mul_u32_u24_e32 v96, 0x10001, v97
	v_pk_fma_f16 v76, v5, v95, v76
	v_pk_fma_f16 v71, v4, v95, v71
	v_mul_u32_u24_e32 v95, 0x10001, v98
	s_delay_alu instid0(VALU_DEP_4) | instskip(SKIP_1) | instid1(VALU_DEP_3)
	v_pk_fma_f16 v73, v4, v96, v73
	v_pk_fma_f16 v77, v5, v96, v77
	v_pk_fma_f16 v4, v4, v95, v75
	v_mul_u32_u24_e32 v75, 0x10001, v100
	v_pk_fma_f16 v5, v5, v95, v78
	s_delay_alu instid0(VALU_DEP_2) | instskip(SKIP_2) | instid1(VALU_DEP_1)
	v_pk_fma_f16 v74, v6, v75, v74
	v_pk_fma_f16 v72, v7, v75, v72
	v_mul_u32_u24_e32 v75, 0x10001, v101
	v_pk_fma_f16 v77, v7, v75, v77
	v_pk_fma_f16 v73, v6, v75, v73
	v_mul_u32_u24_e32 v75, 0x10001, v99
	s_delay_alu instid0(VALU_DEP_1) | instskip(SKIP_2) | instid1(VALU_DEP_1)
	v_pk_fma_f16 v76, v7, v75, v76
	v_pk_fma_f16 v71, v6, v75, v71
	v_mul_u32_u24_e32 v75, 0x10001, v102
	v_pk_fma_f16 v78, v7, v75, v5
	v_pk_fma_f16 v75, v6, v75, v4
	ds_load_b128 v[4:7], v57 offset:944
	s_wait_dscnt 0x0
	v_lshrrev_b32_e32 v95, 16, v4
	v_lshrrev_b32_e32 v96, 16, v5
	v_and_b32_e32 v97, 0xffff, v4
	v_and_b32_e32 v98, 0xffff, v5
	v_lshrrev_b32_e32 v99, 16, v6
	v_lshrrev_b32_e32 v100, 16, v7
	v_and_b32_e32 v101, 0xffff, v6
	v_and_b32_e32 v102, 0xffff, v7
	ds_load_2addr_b64 v[4:7], v69 offset0:192 offset1:224
	v_mul_u32_u24_e32 v96, 0x10001, v96
	v_mul_u32_u24_e32 v95, 0x10001, v95
	s_wait_dscnt 0x0
	s_delay_alu instid0(VALU_DEP_2)
	v_pk_fma_f16 v74, v4, v96, v74
	v_pk_fma_f16 v72, v5, v96, v72
	v_mul_u32_u24_e32 v96, 0x10001, v97
	v_pk_fma_f16 v76, v5, v95, v76
	v_pk_fma_f16 v71, v4, v95, v71
	v_mul_u32_u24_e32 v95, 0x10001, v98
	s_delay_alu instid0(VALU_DEP_4) | instskip(SKIP_1) | instid1(VALU_DEP_3)
	v_pk_fma_f16 v73, v4, v96, v73
	v_pk_fma_f16 v77, v5, v96, v77
	;; [unrolled: 1-line block ×3, first 2 shown]
	v_mul_u32_u24_e32 v75, 0x10001, v100
	v_pk_fma_f16 v5, v5, v95, v78
	s_delay_alu instid0(VALU_DEP_2) | instskip(SKIP_2) | instid1(VALU_DEP_1)
	v_pk_fma_f16 v74, v6, v75, v74
	v_pk_fma_f16 v72, v7, v75, v72
	v_mul_u32_u24_e32 v75, 0x10001, v101
	v_pk_fma_f16 v77, v7, v75, v77
	v_pk_fma_f16 v73, v6, v75, v73
	v_mul_u32_u24_e32 v75, 0x10001, v99
	s_delay_alu instid0(VALU_DEP_1) | instskip(SKIP_2) | instid1(VALU_DEP_1)
	v_pk_fma_f16 v76, v7, v75, v76
	v_pk_fma_f16 v71, v6, v75, v71
	v_mul_u32_u24_e32 v75, 0x10001, v102
	v_pk_fma_f16 v78, v7, v75, v5
	v_pk_fma_f16 v75, v6, v75, v4
	ds_load_b128 v[4:7], v57 offset:960
	s_wait_dscnt 0x0
	v_lshrrev_b32_e32 v95, 16, v4
	v_lshrrev_b32_e32 v96, 16, v5
	v_and_b32_e32 v97, 0xffff, v4
	v_and_b32_e32 v98, 0xffff, v5
	v_lshrrev_b32_e32 v99, 16, v6
	v_lshrrev_b32_e32 v100, 16, v7
	v_and_b32_e32 v101, 0xffff, v6
	v_and_b32_e32 v102, 0xffff, v7
	ds_load_2addr_b64 v[4:7], v70 offset1:32
	v_mul_u32_u24_e32 v96, 0x10001, v96
	v_mul_u32_u24_e32 v95, 0x10001, v95
	s_wait_dscnt 0x0
	s_delay_alu instid0(VALU_DEP_2)
	v_pk_fma_f16 v74, v4, v96, v74
	v_pk_fma_f16 v72, v5, v96, v72
	v_mul_u32_u24_e32 v96, 0x10001, v97
	v_pk_fma_f16 v76, v5, v95, v76
	v_pk_fma_f16 v71, v4, v95, v71
	v_mul_u32_u24_e32 v95, 0x10001, v98
	s_delay_alu instid0(VALU_DEP_4) | instskip(SKIP_1) | instid1(VALU_DEP_3)
	v_pk_fma_f16 v73, v4, v96, v73
	v_pk_fma_f16 v77, v5, v96, v77
	v_pk_fma_f16 v4, v4, v95, v75
	v_mul_u32_u24_e32 v75, 0x10001, v100
	v_pk_fma_f16 v5, v5, v95, v78
	s_delay_alu instid0(VALU_DEP_2) | instskip(SKIP_2) | instid1(VALU_DEP_1)
	v_pk_fma_f16 v74, v6, v75, v74
	v_pk_fma_f16 v72, v7, v75, v72
	v_mul_u32_u24_e32 v75, 0x10001, v101
	v_pk_fma_f16 v77, v7, v75, v77
	v_pk_fma_f16 v73, v6, v75, v73
	v_mul_u32_u24_e32 v75, 0x10001, v99
	s_delay_alu instid0(VALU_DEP_1) | instskip(SKIP_2) | instid1(VALU_DEP_1)
	v_pk_fma_f16 v76, v7, v75, v76
	v_pk_fma_f16 v71, v6, v75, v71
	v_mul_u32_u24_e32 v75, 0x10001, v102
	v_pk_fma_f16 v78, v7, v75, v5
	v_pk_fma_f16 v75, v6, v75, v4
	ds_load_b128 v[4:7], v57 offset:976
	s_wait_dscnt 0x0
	v_lshrrev_b32_e32 v95, 16, v4
	v_lshrrev_b32_e32 v96, 16, v5
	v_and_b32_e32 v97, 0xffff, v4
	v_and_b32_e32 v98, 0xffff, v5
	v_lshrrev_b32_e32 v99, 16, v6
	v_lshrrev_b32_e32 v100, 16, v7
	v_and_b32_e32 v101, 0xffff, v6
	v_and_b32_e32 v102, 0xffff, v7
	ds_load_2addr_b64 v[4:7], v70 offset0:64 offset1:96
	v_mul_u32_u24_e32 v96, 0x10001, v96
	v_mul_u32_u24_e32 v95, 0x10001, v95
	s_wait_dscnt 0x0
	s_delay_alu instid0(VALU_DEP_2)
	v_pk_fma_f16 v74, v4, v96, v74
	v_pk_fma_f16 v72, v5, v96, v72
	v_mul_u32_u24_e32 v96, 0x10001, v97
	v_pk_fma_f16 v76, v5, v95, v76
	v_pk_fma_f16 v71, v4, v95, v71
	v_mul_u32_u24_e32 v95, 0x10001, v98
	s_delay_alu instid0(VALU_DEP_4) | instskip(SKIP_1) | instid1(VALU_DEP_3)
	v_pk_fma_f16 v73, v4, v96, v73
	v_pk_fma_f16 v77, v5, v96, v77
	v_pk_fma_f16 v4, v4, v95, v75
	v_mul_u32_u24_e32 v75, 0x10001, v100
	v_pk_fma_f16 v5, v5, v95, v78
	s_delay_alu instid0(VALU_DEP_2) | instskip(SKIP_2) | instid1(VALU_DEP_1)
	v_pk_fma_f16 v74, v6, v75, v74
	v_pk_fma_f16 v72, v7, v75, v72
	v_mul_u32_u24_e32 v75, 0x10001, v101
	v_pk_fma_f16 v77, v7, v75, v77
	v_pk_fma_f16 v73, v6, v75, v73
	v_mul_u32_u24_e32 v75, 0x10001, v99
	s_delay_alu instid0(VALU_DEP_1) | instskip(SKIP_2) | instid1(VALU_DEP_1)
	v_pk_fma_f16 v76, v7, v75, v76
	v_pk_fma_f16 v71, v6, v75, v71
	v_mul_u32_u24_e32 v75, 0x10001, v102
	v_pk_fma_f16 v78, v7, v75, v5
	v_pk_fma_f16 v75, v6, v75, v4
	ds_load_b128 v[4:7], v57 offset:992
	s_wait_dscnt 0x0
	v_lshrrev_b32_e32 v95, 16, v4
	v_lshrrev_b32_e32 v96, 16, v5
	v_and_b32_e32 v97, 0xffff, v4
	v_and_b32_e32 v98, 0xffff, v5
	v_lshrrev_b32_e32 v99, 16, v6
	v_lshrrev_b32_e32 v100, 16, v7
	v_and_b32_e32 v101, 0xffff, v6
	v_and_b32_e32 v102, 0xffff, v7
	ds_load_2addr_b64 v[4:7], v70 offset0:128 offset1:160
	;; [unrolled: 40-line block ×3, first 2 shown]
	v_mul_u32_u24_e32 v96, 0x10001, v96
	s_wait_loadcnt_dscnt 0x0
	s_barrier_signal -1
	s_barrier_wait -1
	global_inv scope:SCOPE_SE
	s_load_b32 s2, s[20:21], 0x4
	v_pk_fma_f16 v74, v4, v96, v74
	v_pk_fma_f16 v96, v5, v96, v72
	v_mul_u32_u24_e32 v72, 0x10001, v97
	s_wait_kmcnt 0x0
	s_lshl_b32 s2, s2, 7
	s_delay_alu instid0(VALU_DEP_1)
	v_pk_fma_f16 v77, v5, v72, v77
	v_pk_fma_f16 v73, v4, v72, v73
	v_mul_u32_u24_e32 v72, 0x10001, v95
	s_wait_alu 0xfffe
	s_add_co_i32 s14, s2, s14
	s_wait_alu 0xfffe
	s_cmp_ge_i32 s14, s34
	v_pk_fma_f16 v95, v4, v72, v71
	v_mul_u32_u24_e32 v71, 0x10001, v98
	v_pk_fma_f16 v76, v5, v72, v76
	s_delay_alu instid0(VALU_DEP_2) | instskip(SKIP_2) | instid1(VALU_DEP_1)
	v_pk_fma_f16 v5, v5, v71, v78
	v_pk_fma_f16 v4, v4, v71, v75
	v_mul_u32_u24_e32 v71, 0x10001, v100
	v_pk_fma_f16 v72, v6, v71, v74
	v_mul_u32_u24_e32 v74, 0x10001, v101
	v_pk_fma_f16 v71, v7, v71, v96
	s_delay_alu instid0(VALU_DEP_2) | instskip(SKIP_3) | instid1(VALU_DEP_2)
	v_pk_fma_f16 v78, v7, v74, v77
	v_pk_fma_f16 v77, v6, v74, v73
	v_mul_u32_u24_e32 v73, 0x10001, v99
	v_mul_u32_u24_e32 v74, 0x10001, v102
	v_pk_fma_f16 v75, v7, v73, v76
	v_pk_fma_f16 v76, v6, v73, v95
	s_delay_alu instid0(VALU_DEP_3) | instskip(SKIP_2) | instid1(VALU_DEP_1)
	v_pk_fma_f16 v73, v7, v74, v5
	v_pk_fma_f16 v74, v6, v74, v4
	v_add_f32_e32 v4, v27, v82
	v_dual_mov_b32 v5, v47 :: v_dual_add_f32 v4, v86, v4
	s_delay_alu instid0(VALU_DEP_1) | instskip(NEXT) | instid1(VALU_DEP_1)
	v_add_f32_e32 v47, v90, v4
	v_dual_add_f32 v4, v26, v81 :: v_dual_fmac_f32 v47, v5, v91
	s_delay_alu instid0(VALU_DEP_1) | instskip(NEXT) | instid1(VALU_DEP_1)
	v_dual_add_f32 v4, v85, v4 :: v_dual_mov_b32 v5, v46
	v_add_f32_e32 v46, v89, v4
	v_add_f32_e32 v4, v24, v80
	s_delay_alu instid0(VALU_DEP_2) | instskip(NEXT) | instid1(VALU_DEP_2)
	v_fmac_f32_e32 v46, v5, v93
	v_dual_add_f32 v4, v84, v4 :: v_dual_mov_b32 v5, v45
	s_delay_alu instid0(VALU_DEP_1) | instskip(NEXT) | instid1(VALU_DEP_1)
	v_dual_add_f32 v45, v88, v4 :: v_dual_add_f32 v4, v25, v79
	v_dual_fmac_f32 v45, v5, v94 :: v_dual_add_f32 v4, v83, v4
	s_delay_alu instid0(VALU_DEP_1) | instskip(NEXT) | instid1(VALU_DEP_1)
	v_dual_mov_b32 v5, v44 :: v_dual_add_f32 v4, v87, v4
	v_mov_b32_e32 v44, v4
	s_delay_alu instid0(VALU_DEP_1)
	v_fmac_f32_e32 v44, v5, v92
	s_cbranch_scc0 .LBB37_9
; %bb.10:
	v_mov_b32_e32 v4, v37
.LBB37_11:
	v_cmp_lt_i32_e32 vcc_lo, v43, v38
	s_cmp_lg_u64 s[12:13], 0
	s_cselect_b32 s2, -1, 0
	s_cmp_eq_u32 s10, 0
	s_wait_alu 0xfffd
	v_cndmask_b32_e32 v5, v4, v43, vcc_lo
	v_cmp_lt_i32_e32 vcc_lo, v42, v38
	s_cselect_b32 s3, -1, 0
	s_wait_alu 0xfffe
	s_and_b32 s2, s3, s2
	v_lshlrev_b32_e32 v5, 2, v5
	s_wait_alu 0xfffd
	v_cndmask_b32_e32 v9, v4, v42, vcc_lo
	v_cmp_lt_i32_e32 vcc_lo, v41, v38
	ds_bpermute_b32 v8, v5, v45
	s_wait_alu 0xfffd
	v_cndmask_b32_e32 v13, v4, v41, vcc_lo
	v_cmp_lt_i32_e32 vcc_lo, v40, v38
	s_wait_dscnt 0x0
	v_add_f32_e32 v8, v45, v8
	ds_bpermute_b32 v6, v5, v47
	ds_bpermute_b32 v7, v5, v46
	ds_bpermute_b32 v5, v5, v44
	s_wait_dscnt 0x2
	v_dual_add_f32 v6, v47, v6 :: v_dual_lshlrev_b32 v9, 2, v9
	s_wait_dscnt 0x0
	v_add_f32_e32 v5, v44, v5
	ds_bpermute_b32 v10, v9, v6
	s_wait_dscnt 0x0
	v_add_f32_e32 v6, v6, v10
	ds_bpermute_b32 v12, v9, v8
	s_wait_dscnt 0x0
	v_dual_add_f32 v7, v46, v7 :: v_dual_add_f32 v8, v8, v12
	ds_bpermute_b32 v11, v9, v7
	v_lshlrev_b32_e32 v13, 2, v13
	ds_bpermute_b32 v9, v9, v5
	s_wait_dscnt 0x1
	v_add_f32_e32 v7, v7, v11
	ds_bpermute_b32 v11, v13, v8
	s_wait_dscnt 0x0
	v_dual_add_f32 v5, v5, v9 :: v_dual_add_f32 v8, v8, v11
	ds_bpermute_b32 v9, v13, v6
	ds_bpermute_b32 v12, v13, v5
	s_wait_dscnt 0x1
	v_add_f32_e32 v6, v6, v9
	ds_bpermute_b32 v10, v13, v7
	s_wait_alu 0xfffd
	v_cndmask_b32_e32 v13, v4, v40, vcc_lo
	v_cmp_lt_i32_e32 vcc_lo, v39, v38
	s_wait_alu 0xfffd
	s_delay_alu instid0(VALU_DEP_2)
	v_dual_cndmask_b32 v4, v4, v39 :: v_dual_lshlrev_b32 v13, 2, v13
	s_wait_alu 0xfffe
	s_and_b32 vcc_lo, exec_lo, s2
	ds_bpermute_b32 v11, v13, v8
	v_lshlrev_b32_e32 v4, 2, v4
	s_wait_dscnt 0x0
	v_add_f32_e32 v8, v8, v11
	ds_bpermute_b32 v9, v13, v6
	ds_bpermute_b32 v11, v4, v8
	v_add_f32_e32 v5, v5, v12
	ds_bpermute_b32 v12, v13, v5
	s_wait_dscnt 0x0
	v_dual_add_f32 v6, v6, v9 :: v_dual_add_f32 v9, v5, v12
	ds_bpermute_b32 v5, v4, v6
	v_add_f32_e32 v7, v7, v10
	ds_bpermute_b32 v12, v4, v9
	ds_bpermute_b32 v10, v13, v7
	s_wait_dscnt 0x0
	v_add_f32_e32 v7, v7, v10
	ds_bpermute_b32 v10, v4, v7
	v_add_f32_e32 v4, v6, v5
	s_wait_dscnt 0x0
	v_dual_add_f32 v6, v8, v11 :: v_dual_add_f32 v5, v7, v10
	v_add_f32_e32 v7, v9, v12
	s_wait_alu 0xfffe
	s_cbranch_vccz .LBB37_14
; %bb.12:
	s_ashr_i32 s29, s28, 31
	v_dual_mov_b32 v8, 0 :: v_dual_max_num_f32 v9, v1, v1
	s_lshl_b64 s[2:3], s[28:29], 2
	v_max_num_f32_e32 v15, v3, v3
	s_wait_alu 0xfffe
	s_add_nc_u64 s[2:3], s[12:13], s[2:3]
	global_load_b64 v[12:13], v8, s[2:3]
	s_wait_loadcnt 0x0
	v_dual_max_num_f32 v8, v0, v0 :: v_dual_max_num_f32 v11, v13, v13
	v_max_num_f32_e32 v10, v12, v12
	s_delay_alu instid0(VALU_DEP_2) | instskip(NEXT) | instid1(VALU_DEP_2)
	v_dual_max_num_f32 v14, v2, v2 :: v_dual_max_num_f32 v9, v9, v11
	v_dual_max_num_f32 v8, v8, v10 :: v_dual_max_num_f32 v11, v15, v11
	s_delay_alu instid0(VALU_DEP_2) | instskip(NEXT) | instid1(VALU_DEP_3)
	v_max_num_f32_e32 v10, v14, v10
	v_sub_f32_e32 v16, v1, v9
	s_delay_alu instid0(VALU_DEP_3) | instskip(NEXT) | instid1(VALU_DEP_3)
	v_dual_sub_f32 v14, v0, v8 :: v_dual_sub_f32 v17, v13, v9
	v_dual_sub_f32 v15, v12, v8 :: v_dual_sub_f32 v18, v2, v10
	;; [unrolled: 1-line block ×3, first 2 shown]
	v_dual_sub_f32 v19, v3, v11 :: v_dual_mov_b32 v0, v8
	v_mov_b32_e32 v3, v11
	v_dual_mov_b32 v1, v9 :: v_dual_mov_b32 v2, v10
	v_dual_mul_f32 v9, 0x3fb8aa3b, v15 :: v_dual_mul_f32 v8, 0x3fb8aa3b, v14
	v_dual_mul_f32 v11, 0x3fb8aa3b, v17 :: v_dual_mul_f32 v10, 0x3fb8aa3b, v16
	;; [unrolled: 1-line block ×3, first 2 shown]
	v_mul_f32_e32 v21, 0x3fb8aa3b, v12
	s_delay_alu instid0(VALU_DEP_4)
	v_fma_f32 v24, 0x3fb8aa3b, v14, -v8
	v_rndne_f32_e32 v25, v8
	v_fma_f32 v36, 0x3fb8aa3b, v16, -v10
	v_fma_f32 v26, 0x3fb8aa3b, v15, -v9
	;; [unrolled: 1-line block ×3, first 2 shown]
	v_rndne_f32_e32 v43, v21
	v_rndne_f32_e32 v27, v9
	v_fma_f32 v38, 0x3fb8aa3b, v17, -v11
	v_rndne_f32_e32 v39, v11
	v_fmac_f32_e32 v24, 0x32a5705f, v14
	v_sub_f32_e32 v8, v8, v25
	v_dual_fmac_f32 v36, 0x32a5705f, v16 :: v_dual_sub_f32 v21, v21, v43
	v_dual_fmac_f32 v42, 0x32a5705f, v12 :: v_dual_sub_f32 v9, v9, v27
	;; [unrolled: 1-line block ×3, first 2 shown]
	s_delay_alu instid0(VALU_DEP_2) | instskip(SKIP_2) | instid1(VALU_DEP_4)
	v_dual_add_f32 v8, v8, v24 :: v_dual_add_f32 v21, v21, v42
	v_fmac_f32_e32 v26, 0x32a5705f, v15
	v_rndne_f32_e32 v37, v10
	v_dual_add_f32 v11, v11, v38 :: v_dual_mul_f32 v22, 0x3fb8aa3b, v19
	s_delay_alu instid0(VALU_DEP_4) | instskip(NEXT) | instid1(VALU_DEP_3)
	v_exp_f32_e32 v8, v8
	v_add_f32_e32 v9, v9, v26
	v_rndne_f32_e32 v47, v23
	v_cvt_i32_f32_e32 v25, v25
	v_sub_f32_e32 v10, v10, v37
	v_fma_f32 v40, 0x3fb8aa3b, v18, -v20
	v_exp_f32_e32 v9, v9
	v_rndne_f32_e32 v41, v20
	v_fma_f32 v46, 0x3fb8aa3b, v13, -v23
	v_cvt_i32_f32_e32 v27, v27
	v_dual_sub_f32 v23, v23, v47 :: v_dual_add_f32 v10, v10, v36
	v_ldexp_f32 v8, v8, v25
	v_cmp_ngt_f32_e32 vcc_lo, 0xc2ce8ed0, v14
	v_fmac_f32_e32 v46, 0x32a5705f, v13
	v_sub_f32_e32 v20, v20, v41
	v_exp_f32_e32 v10, v10
	v_ldexp_f32 v9, v9, v27
	s_wait_alu 0xfffd
	v_cndmask_b32_e32 v8, 0, v8, vcc_lo
	v_cmp_ngt_f32_e32 vcc_lo, 0xc2ce8ed0, v15
	v_fmac_f32_e32 v40, 0x32a5705f, v18
	v_cvt_i32_f32_e32 v37, v37
	v_add_f32_e32 v23, v23, v46
	v_exp_f32_e32 v11, v11
	s_wait_alu 0xfffd
	v_dual_cndmask_b32 v9, 0, v9 :: v_dual_add_f32 v20, v20, v40
	v_cvt_i32_f32_e32 v39, v39
	v_ldexp_f32 v10, v10, v37
	v_cmp_ngt_f32_e32 vcc_lo, 0xc2ce8ed0, v16
	v_cvt_i32_f32_e32 v41, v41
	v_exp_f32_e32 v20, v20
	v_exp_f32_e32 v21, v21
	;; [unrolled: 1-line block ×3, first 2 shown]
	v_ldexp_f32 v11, v11, v39
	s_wait_alu 0xfffd
	v_cndmask_b32_e32 v10, 0, v10, vcc_lo
	v_cmp_ngt_f32_e32 vcc_lo, 0xc2ce8ed0, v17
	v_fma_f32 v44, 0x3fb8aa3b, v19, -v22
	v_rndne_f32_e32 v45, v22
	v_cvt_i32_f32_e32 v43, v43
	v_cvt_i32_f32_e32 v26, v47
	v_ldexp_f32 v20, v20, v41
	s_wait_alu 0xfffd
	v_cndmask_b32_e32 v11, 0, v11, vcc_lo
	v_cmp_ngt_f32_e32 vcc_lo, 0xc2ce8ed0, v18
	v_ldexp_f32 v21, v21, v43
	v_ldexp_f32 v23, v23, v26
	v_sub_f32_e32 v22, v22, v45
	v_cvt_i32_f32_e32 v24, v45
	s_wait_alu 0xfffd
	v_cndmask_b32_e32 v20, 0, v20, vcc_lo
	v_cmp_ngt_f32_e32 vcc_lo, 0xc2ce8ed0, v12
	s_wait_alu 0xfffd
	v_dual_fmac_f32 v44, 0x32a5705f, v19 :: v_dual_cndmask_b32 v21, 0, v21
	s_delay_alu instid0(VALU_DEP_1) | instskip(SKIP_1) | instid1(VALU_DEP_2)
	v_add_f32_e32 v22, v22, v44
	v_cmp_ngt_f32_e32 vcc_lo, 0xc2ce8ed0, v19
	v_exp_f32_e32 v22, v22
	s_delay_alu instid0(TRANS32_DEP_1) | instskip(SKIP_1) | instid1(VALU_DEP_1)
	v_ldexp_f32 v22, v22, v24
	s_wait_alu 0xfffd
	v_cndmask_b32_e32 v22, 0, v22, vcc_lo
	v_cmp_ngt_f32_e32 vcc_lo, 0xc2ce8ed0, v13
	s_wait_alu 0xfffd
	v_cndmask_b32_e32 v23, 0, v23, vcc_lo
	v_cmp_nlt_f32_e32 vcc_lo, 0x42b17218, v14
	s_wait_alu 0xfffd
	v_cndmask_b32_e32 v14, 0x7f800000, v8, vcc_lo
	v_cmp_nlt_f32_e32 vcc_lo, 0x42b17218, v15
	;; [unrolled: 3-line block ×3, first 2 shown]
	s_delay_alu instid0(VALU_DEP_2)
	v_fmac_f32_e32 v8, v4, v14
	s_wait_alu 0xfffd
	v_cndmask_b32_e32 v15, 0x7f800000, v10, vcc_lo
	v_cmp_nlt_f32_e32 vcc_lo, 0x42b17218, v17
	v_cvt_f16_f32_e32 v4, v14
	s_wait_alu 0xfffd
	v_cndmask_b32_e32 v9, 0x7f800000, v11, vcc_lo
	v_cmp_nlt_f32_e32 vcc_lo, 0x42b17218, v18
	s_wait_alu 0xfffd
	s_delay_alu instid0(VALU_DEP_2)
	v_dual_fmac_f32 v9, v5, v15 :: v_dual_cndmask_b32 v16, 0x7f800000, v20
	v_cmp_nlt_f32_e32 vcc_lo, 0x42b17218, v12
	v_cvt_f16_f32_e32 v5, v15
	s_wait_alu 0xfffd
	v_cndmask_b32_e32 v10, 0x7f800000, v21, vcc_lo
	v_cmp_nlt_f32_e32 vcc_lo, 0x42b17218, v19
	s_delay_alu instid0(VALU_DEP_2) | instskip(SKIP_4) | instid1(VALU_DEP_3)
	v_fmac_f32_e32 v10, v6, v16
	s_wait_alu 0xfffd
	v_cndmask_b32_e32 v12, 0x7f800000, v22, vcc_lo
	v_cmp_nlt_f32_e32 vcc_lo, 0x42b17218, v13
	v_cvt_f16_f32_e32 v6, v16
	v_cvt_f16_f32_e32 v13, v12
	s_wait_alu 0xfffd
	v_cndmask_b32_e32 v11, 0x7f800000, v23, vcc_lo
	s_delay_alu instid0(VALU_DEP_3) | instskip(NEXT) | instid1(VALU_DEP_3)
	v_and_b32_e32 v14, 0xffff, v6
	v_dual_mov_b32 v6, v10 :: v_dual_and_b32 v13, 0xffff, v13
	s_delay_alu instid0(VALU_DEP_3)
	v_fmac_f32_e32 v11, v7, v12
	v_and_b32_e32 v7, 0xffff, v4
	v_and_b32_e32 v12, 0xffff, v5
	v_mul_u32_u24_e32 v14, 0x10001, v14
	v_mul_u32_u24_e32 v13, 0x10001, v13
	v_mov_b32_e32 v4, v8
	v_mul_u32_u24_e32 v7, 0x10001, v7
	v_mul_u32_u24_e32 v12, 0x10001, v12
	v_mov_b32_e32 v5, v9
	v_pk_mul_f16 v74, v74, v14
	v_pk_mul_f16 v73, v73, v14
	;; [unrolled: 1-line block ×8, first 2 shown]
	v_mov_b32_e32 v7, v11
	s_mov_b32 s2, exec_lo
	v_cmpx_gt_i32_e64 s22, v34
	s_cbranch_execnz .LBB37_15
.LBB37_13:
	s_nop 0
	s_sendmsg sendmsg(MSG_DEALLOC_VGPRS)
	s_endpgm
.LBB37_14:
	s_delay_alu instid0(VALU_DEP_1)
	v_dual_mov_b32 v11, v7 :: v_dual_mov_b32 v10, v6
	v_dual_mov_b32 v9, v5 :: v_dual_mov_b32 v8, v4
	s_mov_b32 s2, exec_lo
	v_cmpx_gt_i32_e64 s22, v34
	s_cbranch_execz .LBB37_13
.LBB37_15:
	s_load_b32 s1, s[0:1], 0xd4
	v_mov_b32_e32 v14, 1.0
	s_wait_kmcnt 0x0
	s_cmp_lg_u32 s1, 1
	s_cselect_b32 s3, -1, 0
	s_cmp_eq_u32 s1, 1
	s_cselect_b32 s4, -1, 0
	s_wait_alu 0xfffe
	s_and_b32 vcc_lo, exec_lo, s3
	s_wait_alu 0xfffe
	s_cbranch_vccnz .LBB37_17
; %bb.16:
	v_div_scale_f32 v12, null, v4, v4, 1.0
	s_delay_alu instid0(VALU_DEP_1) | instskip(NEXT) | instid1(TRANS32_DEP_1)
	v_rcp_f32_e32 v13, v12
	v_fma_f32 v14, -v12, v13, 1.0
	s_delay_alu instid0(VALU_DEP_1) | instskip(SKIP_1) | instid1(VALU_DEP_1)
	v_fmac_f32_e32 v13, v14, v13
	v_div_scale_f32 v14, vcc_lo, 1.0, v4, 1.0
	v_mul_f32_e32 v15, v14, v13
	s_delay_alu instid0(VALU_DEP_1) | instskip(NEXT) | instid1(VALU_DEP_1)
	v_fma_f32 v16, -v12, v15, v14
	v_fmac_f32_e32 v15, v16, v13
	s_delay_alu instid0(VALU_DEP_1) | instskip(SKIP_1) | instid1(VALU_DEP_1)
	v_fma_f32 v12, -v12, v15, v14
	s_wait_alu 0xfffd
	v_div_fmas_f32 v12, v12, v13, v15
	s_delay_alu instid0(VALU_DEP_1)
	v_div_fixup_f32 v14, v12, v4, 1.0
.LBB37_17:
	s_mul_i32 s2, s30, s22
	v_cvt_f32_f16_e32 v18, v77
	s_wait_alu 0xfffe
	s_add_co_i32 s2, s2, s11
	v_lshrrev_b32_e32 v17, 16, v78
	s_wait_alu 0xfffe
	v_add_nc_u32_e32 v4, s2, v32
	v_cvt_f32_f16_e32 v21, v78
	v_mov_b32_e32 v16, 0
	v_cmp_eq_u32_e32 vcc_lo, 0, v35
	v_cvt_f32_f16_e32 v22, v17
	v_mul_lo_u32 v4, v4, s23
	v_mul_f32_e32 v17, v14, v21
	s_and_b32 s3, vcc_lo, s3
	s_delay_alu instid0(VALU_DEP_2) | instskip(NEXT) | instid1(VALU_DEP_1)
	v_add_nc_u32_e32 v12, s28, v4
	v_mad_co_u64_u32 v[12:13], null, s1, v12, s[10:11]
	v_lshrrev_b32_e32 v13, 16, v77
	s_delay_alu instid0(VALU_DEP_1) | instskip(NEXT) | instid1(VALU_DEP_3)
	v_cvt_f32_f16_e32 v13, v13
	v_lshl_add_u32 v15, v12, 7, v33
	s_delay_alu instid0(VALU_DEP_1) | instskip(NEXT) | instid1(VALU_DEP_3)
	v_lshlrev_b64_e32 v[19:20], 2, v[15:16]
	v_mul_f32_e32 v16, v14, v13
	v_mul_f32_e32 v15, v14, v18
	;; [unrolled: 1-line block ×3, first 2 shown]
	s_delay_alu instid0(VALU_DEP_4)
	v_add_co_u32 v13, s0, s16, v19
	s_wait_alu 0xf1ff
	v_add_co_ci_u32_e64 v14, null, s17, v20, s0
	global_store_b128 v[13:14], v[15:18], off
	s_wait_alu 0xfffe
	s_and_saveexec_b32 s0, s3
	s_cbranch_execz .LBB37_19
; %bb.18:
	v_ashrrev_i32_e32 v13, 31, v12
	v_dual_mov_b32 v14, v0 :: v_dual_mov_b32 v15, v8
	s_delay_alu instid0(VALU_DEP_2) | instskip(NEXT) | instid1(VALU_DEP_1)
	v_lshlrev_b64_e32 v[12:13], 3, v[12:13]
	v_add_co_u32 v12, vcc_lo, s18, v12
	s_wait_alu 0xfffd
	s_delay_alu instid0(VALU_DEP_2)
	v_add_co_ci_u32_e64 v13, null, s19, v13, vcc_lo
	global_store_b64 v[12:13], v[14:15], off
.LBB37_19:
	s_wait_alu 0xfffe
	s_or_b32 exec_lo, exec_lo, s0
	v_cndmask_b32_e64 v12, 0, 1, s4
	v_mov_b32_e32 v0, 1.0
	s_and_not1_b32 vcc_lo, exec_lo, s4
	s_wait_alu 0xfffe
	s_cbranch_vccnz .LBB37_21
; %bb.20:
	v_div_scale_f32 v0, null, v5, v5, 1.0
	s_delay_alu instid0(VALU_DEP_1) | instskip(NEXT) | instid1(TRANS32_DEP_1)
	v_rcp_f32_e32 v8, v0
	v_fma_f32 v13, -v0, v8, 1.0
	s_delay_alu instid0(VALU_DEP_1) | instskip(SKIP_1) | instid1(VALU_DEP_1)
	v_fmac_f32_e32 v8, v13, v8
	v_div_scale_f32 v13, vcc_lo, 1.0, v5, 1.0
	v_mul_f32_e32 v14, v13, v8
	s_delay_alu instid0(VALU_DEP_1) | instskip(NEXT) | instid1(VALU_DEP_1)
	v_fma_f32 v15, -v0, v14, v13
	v_fmac_f32_e32 v14, v15, v8
	s_delay_alu instid0(VALU_DEP_1) | instskip(SKIP_1) | instid1(VALU_DEP_1)
	v_fma_f32 v0, -v0, v14, v13
	s_wait_alu 0xfffd
	v_div_fmas_f32 v0, v0, v8, v14
	s_delay_alu instid0(VALU_DEP_1)
	v_div_fixup_f32 v0, v0, v5, 1.0
.LBB37_21:
	s_add_co_i32 s0, s28, 1
	v_cvt_f32_f16_e32 v15, v76
	s_wait_alu 0xfffe
	v_add_nc_u32_e32 v4, s0, v4
	v_cvt_f32_f16_e32 v16, v75
	v_mov_b32_e32 v14, 0
	v_lshrrev_b32_e32 v8, 16, v75
	s_delay_alu instid0(VALU_DEP_4) | instskip(SKIP_1) | instid1(VALU_DEP_3)
	v_mad_co_u64_u32 v[4:5], null, s1, v4, s[10:11]
	v_lshrrev_b32_e32 v5, 16, v76
	v_cvt_f32_f16_e32 v8, v8
	s_delay_alu instid0(VALU_DEP_2) | instskip(NEXT) | instid1(VALU_DEP_4)
	v_cvt_f32_f16_e32 v5, v5
	v_lshl_add_u32 v13, v4, 7, v33
	s_delay_alu instid0(VALU_DEP_1)
	v_lshlrev_b64_e32 v[17:18], 2, v[13:14]
	v_mul_f32_e32 v13, v0, v15
	v_mul_f32_e32 v15, v0, v16
	;; [unrolled: 1-line block ×4, first 2 shown]
	v_add_co_u32 v17, vcc_lo, s16, v17
	s_wait_alu 0xfffd
	v_add_co_ci_u32_e64 v18, null, s17, v18, vcc_lo
	global_store_b128 v[17:18], v[13:16], off
	s_and_saveexec_b32 s4, s3
	s_cbranch_execz .LBB37_23
; %bb.22:
	v_ashrrev_i32_e32 v5, 31, v4
	v_mov_b32_e32 v8, v1
	s_delay_alu instid0(VALU_DEP_2) | instskip(NEXT) | instid1(VALU_DEP_1)
	v_lshlrev_b64_e32 v[4:5], 3, v[4:5]
	v_add_co_u32 v4, vcc_lo, s18, v4
	s_wait_alu 0xfffd
	s_delay_alu instid0(VALU_DEP_2)
	v_add_co_ci_u32_e64 v5, null, s19, v5, vcc_lo
	global_store_b64 v[4:5], v[8:9], off
.LBB37_23:
	s_wait_alu 0xfffe
	s_or_b32 exec_lo, exec_lo, s4
	v_cmp_gt_i32_e32 vcc_lo, s22, v31
	s_and_b32 exec_lo, exec_lo, vcc_lo
	s_cbranch_execz .LBB37_13
; %bb.24:
	v_cmp_ne_u32_e32 vcc_lo, 1, v12
	v_mov_b32_e32 v4, 1.0
	s_cbranch_vccnz .LBB37_26
; %bb.25:
	v_div_scale_f32 v0, null, v6, v6, 1.0
	s_delay_alu instid0(VALU_DEP_1) | instskip(NEXT) | instid1(TRANS32_DEP_1)
	v_rcp_f32_e32 v1, v0
	v_fma_f32 v4, -v0, v1, 1.0
	s_delay_alu instid0(VALU_DEP_1) | instskip(SKIP_1) | instid1(VALU_DEP_1)
	v_fmac_f32_e32 v1, v4, v1
	v_div_scale_f32 v4, vcc_lo, 1.0, v6, 1.0
	v_mul_f32_e32 v5, v4, v1
	s_delay_alu instid0(VALU_DEP_1) | instskip(NEXT) | instid1(VALU_DEP_1)
	v_fma_f32 v8, -v0, v5, v4
	v_fmac_f32_e32 v5, v8, v1
	s_delay_alu instid0(VALU_DEP_1) | instskip(SKIP_1) | instid1(VALU_DEP_1)
	v_fma_f32 v0, -v0, v5, v4
	s_wait_alu 0xfffd
	v_div_fmas_f32 v0, v0, v1, v5
	s_delay_alu instid0(VALU_DEP_1)
	v_div_fixup_f32 v4, v0, v6, 1.0
.LBB37_26:
	v_cvt_f32_f16_e32 v9, v74
	v_add_nc_u32_e32 v0, s2, v30
	v_cvt_f32_f16_e32 v14, v73
	v_mov_b32_e32 v6, 0
	v_lshrrev_b32_e32 v8, 16, v73
	v_mul_f32_e32 v13, v4, v9
	v_mad_co_u64_u32 v[0:1], null, v0, s23, s[28:29]
	v_mul_f32_e32 v15, v4, v14
	s_delay_alu instid0(VALU_DEP_4) | instskip(NEXT) | instid1(VALU_DEP_1)
	v_cvt_f32_f16_e32 v8, v8
	v_mul_f32_e32 v16, v4, v8
	s_delay_alu instid0(VALU_DEP_4) | instskip(SKIP_1) | instid1(VALU_DEP_1)
	v_mad_co_u64_u32 v[0:1], null, s1, v0, s[10:11]
	v_lshrrev_b32_e32 v1, 16, v74
	v_cvt_f32_f16_e32 v1, v1
	s_delay_alu instid0(VALU_DEP_3) | instskip(NEXT) | instid1(VALU_DEP_2)
	v_lshl_add_u32 v5, v0, 7, v33
	v_mul_f32_e32 v14, v4, v1
	s_delay_alu instid0(VALU_DEP_2) | instskip(NEXT) | instid1(VALU_DEP_1)
	v_lshlrev_b64_e32 v[5:6], 2, v[5:6]
	v_add_co_u32 v4, vcc_lo, s16, v5
	s_wait_alu 0xfffd
	s_delay_alu instid0(VALU_DEP_2)
	v_add_co_ci_u32_e64 v5, null, s17, v6, vcc_lo
	global_store_b128 v[4:5], v[13:16], off
	s_and_saveexec_b32 s4, s3
	s_cbranch_execz .LBB37_28
; %bb.27:
	v_ashrrev_i32_e32 v1, 31, v0
	v_mov_b32_e32 v9, v2
	s_delay_alu instid0(VALU_DEP_2) | instskip(NEXT) | instid1(VALU_DEP_1)
	v_lshlrev_b64_e32 v[0:1], 3, v[0:1]
	v_add_co_u32 v0, vcc_lo, s18, v0
	s_wait_alu 0xfffd
	s_delay_alu instid0(VALU_DEP_2)
	v_add_co_ci_u32_e64 v1, null, s19, v1, vcc_lo
	global_store_b64 v[0:1], v[9:10], off
.LBB37_28:
	s_wait_alu 0xfffe
	s_or_b32 exec_lo, exec_lo, s4
	v_cmp_gt_i32_e32 vcc_lo, s22, v29
	s_and_b32 exec_lo, exec_lo, vcc_lo
	s_cbranch_execz .LBB37_13
; %bb.29:
	v_cmp_ne_u32_e32 vcc_lo, 1, v12
	v_mov_b32_e32 v2, 1.0
	s_cbranch_vccnz .LBB37_31
; %bb.30:
	v_div_scale_f32 v0, null, v7, v7, 1.0
	s_delay_alu instid0(VALU_DEP_1) | instskip(NEXT) | instid1(TRANS32_DEP_1)
	v_rcp_f32_e32 v1, v0
	v_fma_f32 v2, -v0, v1, 1.0
	s_delay_alu instid0(VALU_DEP_1) | instskip(SKIP_1) | instid1(VALU_DEP_1)
	v_fmac_f32_e32 v1, v2, v1
	v_div_scale_f32 v2, vcc_lo, 1.0, v7, 1.0
	v_mul_f32_e32 v4, v2, v1
	s_delay_alu instid0(VALU_DEP_1) | instskip(NEXT) | instid1(VALU_DEP_1)
	v_fma_f32 v5, -v0, v4, v2
	v_fmac_f32_e32 v4, v5, v1
	s_delay_alu instid0(VALU_DEP_1) | instskip(SKIP_1) | instid1(VALU_DEP_1)
	v_fma_f32 v0, -v0, v4, v2
	s_wait_alu 0xfffd
	v_div_fmas_f32 v0, v0, v1, v4
	s_delay_alu instid0(VALU_DEP_1)
	v_div_fixup_f32 v2, v0, v7, 1.0
.LBB37_31:
	v_dual_mov_b32 v5, 0 :: v_dual_add_nc_u32 v0, s2, v28
	v_lshrrev_b32_e32 v6, 16, v71
	v_cvt_f32_f16_e32 v7, v72
	v_cvt_f32_f16_e32 v10, v71
	s_delay_alu instid0(VALU_DEP_4) | instskip(NEXT) | instid1(VALU_DEP_4)
	v_mad_co_u64_u32 v[0:1], null, v0, s23, s[0:1]
	v_cvt_f32_f16_e32 v12, v6
	s_delay_alu instid0(VALU_DEP_3) | instskip(NEXT) | instid1(VALU_DEP_3)
	v_mul_f32_e32 v6, v2, v10
	v_mad_co_u64_u32 v[0:1], null, s1, v0, s[10:11]
	v_lshrrev_b32_e32 v1, 16, v72
	s_delay_alu instid0(VALU_DEP_1) | instskip(NEXT) | instid1(VALU_DEP_3)
	v_cvt_f32_f16_e32 v1, v1
	v_lshl_add_u32 v4, v0, 7, v33
	s_delay_alu instid0(VALU_DEP_1) | instskip(NEXT) | instid1(VALU_DEP_3)
	v_lshlrev_b64_e32 v[8:9], 2, v[4:5]
	v_mul_f32_e32 v5, v2, v1
	v_mul_f32_e32 v4, v2, v7
	;; [unrolled: 1-line block ×3, first 2 shown]
	s_delay_alu instid0(VALU_DEP_4)
	v_add_co_u32 v1, vcc_lo, s16, v8
	s_wait_alu 0xfffd
	v_add_co_ci_u32_e64 v2, null, s17, v9, vcc_lo
	global_store_b128 v[1:2], v[4:7], off
	s_and_b32 exec_lo, exec_lo, s3
	s_cbranch_execz .LBB37_13
; %bb.32:
	v_ashrrev_i32_e32 v1, 31, v0
	v_mov_b32_e32 v10, v3
	s_delay_alu instid0(VALU_DEP_2) | instskip(NEXT) | instid1(VALU_DEP_1)
	v_lshlrev_b64_e32 v[0:1], 3, v[0:1]
	v_add_co_u32 v0, vcc_lo, s18, v0
	s_wait_alu 0xfffd
	s_delay_alu instid0(VALU_DEP_2)
	v_add_co_ci_u32_e64 v1, null, s19, v1, vcc_lo
	global_store_b64 v[0:1], v[10:11], off
	s_nop 0
	s_sendmsg sendmsg(MSG_DEALLOC_VGPRS)
	s_endpgm
	.section	.rodata,"a",@progbits
	.p2align	6, 0x0
	.amdhsa_kernel _ZL15flash_attn_tileILi128ELi128ELi16ELi2ELb0EEvPKcS1_S1_S1_S1_PKiPfP15HIP_vector_typeIfLj2EEffffjfiS5_IjLj3EEiiiiiiiiiiiliiliiiiil
		.amdhsa_group_segment_fixed_size 34816
		.amdhsa_private_segment_fixed_size 0
		.amdhsa_kernarg_size 464
		.amdhsa_user_sgpr_count 2
		.amdhsa_user_sgpr_dispatch_ptr 0
		.amdhsa_user_sgpr_queue_ptr 0
		.amdhsa_user_sgpr_kernarg_segment_ptr 1
		.amdhsa_user_sgpr_dispatch_id 0
		.amdhsa_user_sgpr_private_segment_size 0
		.amdhsa_wavefront_size32 1
		.amdhsa_uses_dynamic_stack 0
		.amdhsa_enable_private_segment 0
		.amdhsa_system_sgpr_workgroup_id_x 1
		.amdhsa_system_sgpr_workgroup_id_y 1
		.amdhsa_system_sgpr_workgroup_id_z 1
		.amdhsa_system_sgpr_workgroup_info 0
		.amdhsa_system_vgpr_workitem_id 1
		.amdhsa_next_free_vgpr 217
		.amdhsa_next_free_sgpr 44
		.amdhsa_reserve_vcc 1
		.amdhsa_float_round_mode_32 0
		.amdhsa_float_round_mode_16_64 0
		.amdhsa_float_denorm_mode_32 3
		.amdhsa_float_denorm_mode_16_64 3
		.amdhsa_fp16_overflow 0
		.amdhsa_workgroup_processor_mode 1
		.amdhsa_memory_ordered 1
		.amdhsa_forward_progress 1
		.amdhsa_inst_pref_size 234
		.amdhsa_round_robin_scheduling 0
		.amdhsa_exception_fp_ieee_invalid_op 0
		.amdhsa_exception_fp_denorm_src 0
		.amdhsa_exception_fp_ieee_div_zero 0
		.amdhsa_exception_fp_ieee_overflow 0
		.amdhsa_exception_fp_ieee_underflow 0
		.amdhsa_exception_fp_ieee_inexact 0
		.amdhsa_exception_int_div_zero 0
	.end_amdhsa_kernel
	.section	.text._ZL15flash_attn_tileILi128ELi128ELi16ELi2ELb0EEvPKcS1_S1_S1_S1_PKiPfP15HIP_vector_typeIfLj2EEffffjfiS5_IjLj3EEiiiiiiiiiiiliiliiiiil,"axG",@progbits,_ZL15flash_attn_tileILi128ELi128ELi16ELi2ELb0EEvPKcS1_S1_S1_S1_PKiPfP15HIP_vector_typeIfLj2EEffffjfiS5_IjLj3EEiiiiiiiiiiiliiliiiiil,comdat
.Lfunc_end37:
	.size	_ZL15flash_attn_tileILi128ELi128ELi16ELi2ELb0EEvPKcS1_S1_S1_S1_PKiPfP15HIP_vector_typeIfLj2EEffffjfiS5_IjLj3EEiiiiiiiiiiiliiliiiiil, .Lfunc_end37-_ZL15flash_attn_tileILi128ELi128ELi16ELi2ELb0EEvPKcS1_S1_S1_S1_PKiPfP15HIP_vector_typeIfLj2EEffffjfiS5_IjLj3EEiiiiiiiiiiiliiliiiiil
                                        ; -- End function
	.set _ZL15flash_attn_tileILi128ELi128ELi16ELi2ELb0EEvPKcS1_S1_S1_S1_PKiPfP15HIP_vector_typeIfLj2EEffffjfiS5_IjLj3EEiiiiiiiiiiiliiliiiiil.num_vgpr, 127
	.set _ZL15flash_attn_tileILi128ELi128ELi16ELi2ELb0EEvPKcS1_S1_S1_S1_PKiPfP15HIP_vector_typeIfLj2EEffffjfiS5_IjLj3EEiiiiiiiiiiiliiliiiiil.num_agpr, 0
	.set _ZL15flash_attn_tileILi128ELi128ELi16ELi2ELb0EEvPKcS1_S1_S1_S1_PKiPfP15HIP_vector_typeIfLj2EEffffjfiS5_IjLj3EEiiiiiiiiiiiliiliiiiil.numbered_sgpr, 44
	.set _ZL15flash_attn_tileILi128ELi128ELi16ELi2ELb0EEvPKcS1_S1_S1_S1_PKiPfP15HIP_vector_typeIfLj2EEffffjfiS5_IjLj3EEiiiiiiiiiiiliiliiiiil.num_named_barrier, 0
	.set _ZL15flash_attn_tileILi128ELi128ELi16ELi2ELb0EEvPKcS1_S1_S1_S1_PKiPfP15HIP_vector_typeIfLj2EEffffjfiS5_IjLj3EEiiiiiiiiiiiliiliiiiil.private_seg_size, 0
	.set _ZL15flash_attn_tileILi128ELi128ELi16ELi2ELb0EEvPKcS1_S1_S1_S1_PKiPfP15HIP_vector_typeIfLj2EEffffjfiS5_IjLj3EEiiiiiiiiiiiliiliiiiil.uses_vcc, 1
	.set _ZL15flash_attn_tileILi128ELi128ELi16ELi2ELb0EEvPKcS1_S1_S1_S1_PKiPfP15HIP_vector_typeIfLj2EEffffjfiS5_IjLj3EEiiiiiiiiiiiliiliiiiil.uses_flat_scratch, 0
	.set _ZL15flash_attn_tileILi128ELi128ELi16ELi2ELb0EEvPKcS1_S1_S1_S1_PKiPfP15HIP_vector_typeIfLj2EEffffjfiS5_IjLj3EEiiiiiiiiiiiliiliiiiil.has_dyn_sized_stack, 0
	.set _ZL15flash_attn_tileILi128ELi128ELi16ELi2ELb0EEvPKcS1_S1_S1_S1_PKiPfP15HIP_vector_typeIfLj2EEffffjfiS5_IjLj3EEiiiiiiiiiiiliiliiiiil.has_recursion, 0
	.set _ZL15flash_attn_tileILi128ELi128ELi16ELi2ELb0EEvPKcS1_S1_S1_S1_PKiPfP15HIP_vector_typeIfLj2EEffffjfiS5_IjLj3EEiiiiiiiiiiiliiliiiiil.has_indirect_call, 0
	.section	.AMDGPU.csdata,"",@progbits
; Kernel info:
; codeLenInByte = 29872
; TotalNumSgprs: 46
; NumVgprs: 127
; ScratchSize: 0
; MemoryBound: 0
; FloatMode: 240
; IeeeMode: 1
; LDSByteSize: 34816 bytes/workgroup (compile time only)
; SGPRBlocks: 0
; VGPRBlocks: 27
; NumSGPRsForWavesPerEU: 46
; NumVGPRsForWavesPerEU: 217
; Occupancy: 6
; WaveLimiterHint : 1
; COMPUTE_PGM_RSRC2:SCRATCH_EN: 0
; COMPUTE_PGM_RSRC2:USER_SGPR: 2
; COMPUTE_PGM_RSRC2:TRAP_HANDLER: 0
; COMPUTE_PGM_RSRC2:TGID_X_EN: 1
; COMPUTE_PGM_RSRC2:TGID_Y_EN: 1
; COMPUTE_PGM_RSRC2:TGID_Z_EN: 1
; COMPUTE_PGM_RSRC2:TIDIG_COMP_CNT: 1
	.section	.text._ZL33flash_attn_stream_k_fixup_uniformILi128ELi16ELi2EEvPfPK15HIP_vector_typeIfLj2EEiiiiiiS1_IjLj3EES5_S5_,"axG",@progbits,_ZL33flash_attn_stream_k_fixup_uniformILi128ELi16ELi2EEvPfPK15HIP_vector_typeIfLj2EEiiiiiiS1_IjLj3EES5_S5_,comdat
	.globl	_ZL33flash_attn_stream_k_fixup_uniformILi128ELi16ELi2EEvPfPK15HIP_vector_typeIfLj2EEiiiiiiS1_IjLj3EES5_S5_ ; -- Begin function _ZL33flash_attn_stream_k_fixup_uniformILi128ELi16ELi2EEvPfPK15HIP_vector_typeIfLj2EEiiiiiiS1_IjLj3EES5_S5_
	.p2align	8
	.type	_ZL33flash_attn_stream_k_fixup_uniformILi128ELi16ELi2EEvPfPK15HIP_vector_typeIfLj2EEiiiiiiS1_IjLj3EES5_S5_,@function
_ZL33flash_attn_stream_k_fixup_uniformILi128ELi16ELi2EEvPfPK15HIP_vector_typeIfLj2EEiiiiiiS1_IjLj3EES5_S5_: ; @_ZL33flash_attn_stream_k_fixup_uniformILi128ELi16ELi2EEvPfPK15HIP_vector_typeIfLj2EEiiiiiiS1_IjLj3EES5_S5_
; %bb.0:
	s_clause 0x1
	s_load_b256 s[4:11], s[0:1], 0x1c
	s_load_b128 s[12:15], s[0:1], 0x3c
	s_wait_kmcnt 0x0
	s_mul_hi_u32 s2, s7, ttmp9
	s_delay_alu instid0(SALU_CYCLE_1) | instskip(NEXT) | instid1(SALU_CYCLE_1)
	s_add_co_i32 s2, ttmp9, s2
	s_lshr_b32 s2, s2, s8
	s_delay_alu instid0(SALU_CYCLE_1) | instskip(SKIP_2) | instid1(SALU_CYCLE_1)
	s_mul_i32 s3, s2, s9
	s_load_b64 s[8:9], s[0:1], 0x10
	s_sub_co_i32 s7, ttmp9, s3
	s_mul_hi_u32 s3, s7, s10
	s_delay_alu instid0(SALU_CYCLE_1) | instskip(NEXT) | instid1(SALU_CYCLE_1)
	s_add_co_i32 s3, s7, s3
	s_lshr_b32 s3, s3, s11
	s_delay_alu instid0(SALU_CYCLE_1) | instskip(NEXT) | instid1(SALU_CYCLE_1)
	s_mul_i32 s10, s3, s12
	s_sub_co_i32 s7, s7, s10
	s_delay_alu instid0(SALU_CYCLE_1) | instskip(NEXT) | instid1(SALU_CYCLE_1)
	s_mul_hi_u32 s10, s7, s13
	s_add_co_i32 s10, s7, s10
	s_delay_alu instid0(SALU_CYCLE_1) | instskip(NEXT) | instid1(SALU_CYCLE_1)
	s_lshr_b32 s12, s10, s14
	s_mul_i32 s10, s12, s15
	s_lshl_b32 s12, s12, 1
	s_sub_co_i32 s11, s7, s10
	s_and_b32 s7, ttmp7, 0xffff
	s_lshl_b32 s13, s11, 4
	s_lshr_b32 s10, ttmp7, 16
	s_add_co_i32 s13, s13, s7
	s_wait_kmcnt 0x0
	s_cmp_lt_i32 s13, s8
	s_cselect_b32 s13, -1, 0
	s_add_co_i32 s14, s12, s10
	s_delay_alu instid0(SALU_CYCLE_1) | instskip(SKIP_1) | instid1(SALU_CYCLE_1)
	s_cmp_lt_i32 s14, s5
	s_cselect_b32 s14, -1, 0
	s_and_b32 s13, s13, s14
	s_delay_alu instid0(SALU_CYCLE_1)
	s_and_not1_b32 vcc_lo, exec_lo, s13
	s_cbranch_vccnz .LBB38_6
; %bb.1:
	s_mul_i32 s2, s2, s8
	s_mul_i32 s5, s3, s5
	s_add_co_i32 s2, s2, s7
	s_delay_alu instid0(SALU_CYCLE_1) | instskip(NEXT) | instid1(SALU_CYCLE_1)
	s_mul_i32 s2, s2, s9
	s_add_co_i32 s8, s2, s10
	s_load_b128 s[0:3], s[0:1], 0x0
	s_add_co_i32 s5, s8, s5
	s_mul_i32 s8, s9, s11
	s_add_co_i32 s5, s5, s12
	s_lshl_b32 s8, s8, 11
	s_lshl_b32 s5, s5, 7
	s_delay_alu instid0(SALU_CYCLE_1)
	s_add_co_i32 s8, s8, s5
	s_lshl_b32 s5, s7, 1
	v_or_b32_e32 v1, s8, v0
	s_mul_i32 s8, s6, ttmp9
	s_wait_alu 0xfffe
	s_add_co_i32 s9, s8, s6
	s_wait_alu 0xfffe
	s_add_co_i32 s12, s9, -2
	v_ashrrev_i32_e32 v2, 31, v1
	s_delay_alu instid0(VALU_DEP_1) | instskip(SKIP_1) | instid1(VALU_DEP_1)
	v_lshlrev_b64_e32 v[1:2], 2, v[1:2]
	s_wait_kmcnt 0x0
	v_add_co_u32 v1, vcc_lo, s0, v1
	s_delay_alu instid0(VALU_DEP_1)
	v_add_co_ci_u32_e64 v2, null, s1, v2, vcc_lo
	s_add_co_i32 s0, s5, s10
	s_lshl_b32 s1, s9, 5
	global_load_b32 v5, v[1:2], off
	s_wait_alu 0xfffe
	s_add_co_i32 s0, s0, s1
	s_wait_alu 0xfffe
	s_sub_co_i32 s0, s0, 32
	s_wait_alu 0xfffe
	s_ashr_i32 s1, s0, 31
	s_wait_alu 0xfffe
	s_lshl_b64 s[0:1], s[0:1], 3
	s_cmp_lt_i32 s12, s8
	s_wait_alu 0xfffe
	s_add_nc_u64 s[0:1], s[2:3], s[0:1]
	s_load_b32 s11, s[0:1], 0x4
	s_cbranch_scc1 .LBB38_4
; %bb.2:
	s_load_b32 s0, s[0:1], 0x0
	s_add_co_i32 s13, ttmp9, 1
	s_lshl_b32 s12, s4, 7
	s_mul_i32 s1, s6, s13
	s_lshl_b32 s6, s7, 8
	s_lshl_b32 s7, s10, 7
	s_wait_alu 0xfffe
	s_lshl_b32 s14, s1, 12
	s_add_co_i32 s6, s7, s6
	s_lshl_b32 s1, s1, 5
	s_add_co_i32 s14, s6, s14
	s_wait_alu 0xfffe
	s_add_co_i32 s1, s10, s1
	v_or_b32_e32 v0, s14, v0
	s_lshl_b32 s4, s4, 5
	s_ashr_i32 s13, s12, 31
	s_wait_alu 0xfffe
	s_add_co_i32 s1, s1, s4
	s_wait_kmcnt 0x0
	v_dual_mov_b32 v6, s11 :: v_dual_add_nc_u32 v3, 0xffffe000, v0
	s_lshl_b64 s[6:7], s[12:13], 2
	s_wait_alu 0xfffe
	s_add_co_i32 s4, s1, s5
	s_add_nc_u64 s[6:7], s[2:3], s[6:7]
	s_add_co_i32 s1, s9, -1
	s_sub_co_i32 s4, s4, 64
.LBB38_3:                               ; =>This Inner Loop Header: Depth=1
	v_ashrrev_i32_e32 v4, 31, v3
	s_ashr_i32 s5, s4, 31
	v_mov_b32_e32 v10, v6
	s_lshl_b64 s[10:11], s[4:5], 3
	s_wait_loadcnt 0x0
	v_mov_b32_e32 v9, v5
	v_lshlrev_b64_e32 v[7:8], 2, v[3:4]
	s_wait_alu 0xfffe
	s_add_nc_u64 s[10:11], s[2:3], s[10:11]
	v_max_num_f32_e64 v4, s0, s0
	s_load_b64 s[10:11], s[10:11], 0x0
	v_add_nc_u32_e32 v3, 0xfffff000, v3
	v_add_co_u32 v7, vcc_lo, s6, v7
	s_wait_alu 0xfffd
	v_add_co_ci_u32_e64 v8, null, s7, v8, vcc_lo
	v_readfirstlane_b32 s5, v4
	global_load_b32 v0, v[7:8], off
	s_wait_kmcnt 0x0
	v_max_num_f32_e64 v4, s10, s10
	s_delay_alu instid0(VALU_DEP_1) | instskip(SKIP_1) | instid1(SALU_CYCLE_3)
	v_readfirstlane_b32 s9, v4
	s_max_num_f32 s5, s5, s9
	s_sub_f32 s0, s0, s5
	s_sub_f32 s9, s10, s5
	s_wait_alu 0xfffe
	s_delay_alu instid0(SALU_CYCLE_1) | instskip(NEXT) | instid1(SALU_CYCLE_1)
	s_mul_f32 s10, s0, 0x3fb8aa3b
	s_mul_f32 s12, s9, 0x3fb8aa3b
	s_wait_alu 0xfffe
	s_delay_alu instid0(SALU_CYCLE_1)
	s_xor_b32 s13, s10, 0x80000000
	s_rndne_f32 s14, s10
	s_fmamk_f32 s13, s0, 0x3fb8aa3b, s13
	s_cmp_nlt_f32 s0, 0xc2ce8ed0
	s_rndne_f32 s15, s12
	s_wait_alu 0xfffe
	s_sub_f32 s10, s10, s14
	s_fmamk_f32 s13, s0, 0x32a5705f, s13
	s_cvt_i32_f32 s14, s14
	s_cselect_b32 vcc_lo, -1, 0
	s_cmp_ngt_f32 s0, 0x42b17218
	s_wait_alu 0xfffe
	s_add_f32 s10, s10, s13
	s_sub_f32 s13, s12, s15
	s_wait_alu 0xfffe
	s_delay_alu instid0(SALU_CYCLE_1) | instskip(SKIP_1) | instid1(TRANS32_DEP_1)
	v_s_exp_f32 s10, s10
	s_wait_alu 0xf1ff
	v_ldexp_f32 v4, s10, s14
	s_cvt_i32_f32 s10, s15
	s_delay_alu instid0(VALU_DEP_1) | instskip(SKIP_3) | instid1(VALU_DEP_1)
	v_cndmask_b32_e32 v4, 0, v4, vcc_lo
	s_cselect_b32 vcc_lo, -1, 0
	s_cmp_ge_f32 s0, 0xc1a00000
	s_wait_alu 0xfffe
	v_cndmask_b32_e32 v4, 0x7f800000, v4, vcc_lo
	s_cselect_b32 vcc_lo, -1, 0
	s_xor_b32 s0, s12, 0x80000000
	s_cmp_nlt_f32 s9, 0xc2ce8ed0
	s_wait_alu 0xfffe
	s_fmamk_f32 s0, s9, 0x3fb8aa3b, s0
	s_wait_alu 0xfffe
	s_delay_alu instid0(SALU_CYCLE_2) | instskip(SKIP_1) | instid1(SALU_CYCLE_2)
	s_fmamk_f32 s0, s9, 0x32a5705f, s0
	s_wait_alu 0xfffe
	s_add_f32 s0, s13, s0
	s_wait_alu 0xfffe
	s_delay_alu instid0(SALU_CYCLE_2) | instskip(SKIP_1) | instid1(TRANS32_DEP_1)
	v_s_exp_f32 s0, s0
	s_wait_alu 0xf1ff
	v_ldexp_f32 v7, s0, s10
	s_cselect_b32 s0, -1, 0
	s_cmp_ngt_f32 s9, 0x42b17218
	s_wait_alu 0xfffe
	s_delay_alu instid0(VALU_DEP_1) | instskip(SKIP_3) | instid1(VALU_DEP_1)
	v_cndmask_b32_e64 v7, 0, v7, s0
	s_cselect_b32 s0, -1, 0
	s_cmp_ge_f32 s9, 0xc1a00000
	s_wait_alu 0xfffe
	v_cndmask_b32_e64 v7, 0x7f800000, v7, s0
	s_cselect_b32 s0, -1, 0
	s_add_co_i32 s1, s1, -1
	s_sub_co_i32 s4, s4, 32
	s_wait_alu 0xfffe
	s_cmp_le_i32 s1, s8
	v_cndmask_b32_e64 v7, 0, v7, s0
	s_mov_b32 s0, s5
	s_wait_loadcnt 0x0
	s_delay_alu instid0(VALU_DEP_1) | instskip(NEXT) | instid1(VALU_DEP_1)
	v_dual_mul_f32 v5, v0, v7 :: v_dual_cndmask_b32 v4, 0, v4
	v_dual_mul_f32 v8, s11, v7 :: v_dual_fmac_f32 v5, v9, v4
	s_delay_alu instid0(VALU_DEP_1) | instskip(NEXT) | instid1(VALU_DEP_1)
	v_mov_b32_e32 v6, v8
	v_fmac_f32_e32 v6, v10, v4
	s_cbranch_scc0 .LBB38_3
	s_branch .LBB38_5
.LBB38_4:
	s_wait_kmcnt 0x0
	v_mov_b32_e32 v6, s11
.LBB38_5:
	s_wait_loadcnt 0x0
	s_delay_alu instid0(VALU_DEP_1) | instskip(NEXT) | instid1(VALU_DEP_1)
	v_div_scale_f32 v0, null, v6, v6, v5
	v_rcp_f32_e32 v3, v0
	s_delay_alu instid0(TRANS32_DEP_1) | instskip(NEXT) | instid1(VALU_DEP_1)
	v_fma_f32 v4, -v0, v3, 1.0
	v_fmac_f32_e32 v3, v4, v3
	v_div_scale_f32 v4, vcc_lo, v5, v6, v5
	s_delay_alu instid0(VALU_DEP_1) | instskip(NEXT) | instid1(VALU_DEP_1)
	v_mul_f32_e32 v7, v4, v3
	v_fma_f32 v8, -v0, v7, v4
	s_delay_alu instid0(VALU_DEP_1) | instskip(NEXT) | instid1(VALU_DEP_1)
	v_fmac_f32_e32 v7, v8, v3
	v_fma_f32 v0, -v0, v7, v4
	s_wait_alu 0xfffd
	s_delay_alu instid0(VALU_DEP_1) | instskip(NEXT) | instid1(VALU_DEP_1)
	v_div_fmas_f32 v0, v0, v3, v7
	v_div_fixup_f32 v0, v0, v6, v5
	global_store_b32 v[1:2], v0, off
.LBB38_6:
	s_endpgm
	.section	.rodata,"a",@progbits
	.p2align	6, 0x0
	.amdhsa_kernel _ZL33flash_attn_stream_k_fixup_uniformILi128ELi16ELi2EEvPfPK15HIP_vector_typeIfLj2EEiiiiiiS1_IjLj3EES5_S5_
		.amdhsa_group_segment_fixed_size 0
		.amdhsa_private_segment_fixed_size 0
		.amdhsa_kernarg_size 76
		.amdhsa_user_sgpr_count 2
		.amdhsa_user_sgpr_dispatch_ptr 0
		.amdhsa_user_sgpr_queue_ptr 0
		.amdhsa_user_sgpr_kernarg_segment_ptr 1
		.amdhsa_user_sgpr_dispatch_id 0
		.amdhsa_user_sgpr_private_segment_size 0
		.amdhsa_wavefront_size32 1
		.amdhsa_uses_dynamic_stack 0
		.amdhsa_enable_private_segment 0
		.amdhsa_system_sgpr_workgroup_id_x 1
		.amdhsa_system_sgpr_workgroup_id_y 1
		.amdhsa_system_sgpr_workgroup_id_z 1
		.amdhsa_system_sgpr_workgroup_info 0
		.amdhsa_system_vgpr_workitem_id 0
		.amdhsa_next_free_vgpr 11
		.amdhsa_next_free_sgpr 16
		.amdhsa_reserve_vcc 1
		.amdhsa_float_round_mode_32 0
		.amdhsa_float_round_mode_16_64 0
		.amdhsa_float_denorm_mode_32 3
		.amdhsa_float_denorm_mode_16_64 3
		.amdhsa_fp16_overflow 0
		.amdhsa_workgroup_processor_mode 1
		.amdhsa_memory_ordered 1
		.amdhsa_forward_progress 1
		.amdhsa_inst_pref_size 9
		.amdhsa_round_robin_scheduling 0
		.amdhsa_exception_fp_ieee_invalid_op 0
		.amdhsa_exception_fp_denorm_src 0
		.amdhsa_exception_fp_ieee_div_zero 0
		.amdhsa_exception_fp_ieee_overflow 0
		.amdhsa_exception_fp_ieee_underflow 0
		.amdhsa_exception_fp_ieee_inexact 0
		.amdhsa_exception_int_div_zero 0
	.end_amdhsa_kernel
	.section	.text._ZL33flash_attn_stream_k_fixup_uniformILi128ELi16ELi2EEvPfPK15HIP_vector_typeIfLj2EEiiiiiiS1_IjLj3EES5_S5_,"axG",@progbits,_ZL33flash_attn_stream_k_fixup_uniformILi128ELi16ELi2EEvPfPK15HIP_vector_typeIfLj2EEiiiiiiS1_IjLj3EES5_S5_,comdat
.Lfunc_end38:
	.size	_ZL33flash_attn_stream_k_fixup_uniformILi128ELi16ELi2EEvPfPK15HIP_vector_typeIfLj2EEiiiiiiS1_IjLj3EES5_S5_, .Lfunc_end38-_ZL33flash_attn_stream_k_fixup_uniformILi128ELi16ELi2EEvPfPK15HIP_vector_typeIfLj2EEiiiiiiS1_IjLj3EES5_S5_
                                        ; -- End function
	.set _ZL33flash_attn_stream_k_fixup_uniformILi128ELi16ELi2EEvPfPK15HIP_vector_typeIfLj2EEiiiiiiS1_IjLj3EES5_S5_.num_vgpr, 11
	.set _ZL33flash_attn_stream_k_fixup_uniformILi128ELi16ELi2EEvPfPK15HIP_vector_typeIfLj2EEiiiiiiS1_IjLj3EES5_S5_.num_agpr, 0
	.set _ZL33flash_attn_stream_k_fixup_uniformILi128ELi16ELi2EEvPfPK15HIP_vector_typeIfLj2EEiiiiiiS1_IjLj3EES5_S5_.numbered_sgpr, 16
	.set _ZL33flash_attn_stream_k_fixup_uniformILi128ELi16ELi2EEvPfPK15HIP_vector_typeIfLj2EEiiiiiiS1_IjLj3EES5_S5_.num_named_barrier, 0
	.set _ZL33flash_attn_stream_k_fixup_uniformILi128ELi16ELi2EEvPfPK15HIP_vector_typeIfLj2EEiiiiiiS1_IjLj3EES5_S5_.private_seg_size, 0
	.set _ZL33flash_attn_stream_k_fixup_uniformILi128ELi16ELi2EEvPfPK15HIP_vector_typeIfLj2EEiiiiiiS1_IjLj3EES5_S5_.uses_vcc, 1
	.set _ZL33flash_attn_stream_k_fixup_uniformILi128ELi16ELi2EEvPfPK15HIP_vector_typeIfLj2EEiiiiiiS1_IjLj3EES5_S5_.uses_flat_scratch, 0
	.set _ZL33flash_attn_stream_k_fixup_uniformILi128ELi16ELi2EEvPfPK15HIP_vector_typeIfLj2EEiiiiiiS1_IjLj3EES5_S5_.has_dyn_sized_stack, 0
	.set _ZL33flash_attn_stream_k_fixup_uniformILi128ELi16ELi2EEvPfPK15HIP_vector_typeIfLj2EEiiiiiiS1_IjLj3EES5_S5_.has_recursion, 0
	.set _ZL33flash_attn_stream_k_fixup_uniformILi128ELi16ELi2EEvPfPK15HIP_vector_typeIfLj2EEiiiiiiS1_IjLj3EES5_S5_.has_indirect_call, 0
	.section	.AMDGPU.csdata,"",@progbits
; Kernel info:
; codeLenInByte = 1140
; TotalNumSgprs: 18
; NumVgprs: 11
; ScratchSize: 0
; MemoryBound: 0
; FloatMode: 240
; IeeeMode: 1
; LDSByteSize: 0 bytes/workgroup (compile time only)
; SGPRBlocks: 0
; VGPRBlocks: 1
; NumSGPRsForWavesPerEU: 18
; NumVGPRsForWavesPerEU: 11
; Occupancy: 16
; WaveLimiterHint : 0
; COMPUTE_PGM_RSRC2:SCRATCH_EN: 0
; COMPUTE_PGM_RSRC2:USER_SGPR: 2
; COMPUTE_PGM_RSRC2:TRAP_HANDLER: 0
; COMPUTE_PGM_RSRC2:TGID_X_EN: 1
; COMPUTE_PGM_RSRC2:TGID_Y_EN: 1
; COMPUTE_PGM_RSRC2:TGID_Z_EN: 1
; COMPUTE_PGM_RSRC2:TIDIG_COMP_CNT: 0
	.section	.text._ZL33flash_attn_stream_k_fixup_generalILi128ELi16ELi2EEvPfPK15HIP_vector_typeIfLj2EEiiiiS1_IjLj3EES5_S5_S5_,"axG",@progbits,_ZL33flash_attn_stream_k_fixup_generalILi128ELi16ELi2EEvPfPK15HIP_vector_typeIfLj2EEiiiiS1_IjLj3EES5_S5_S5_,comdat
	.globl	_ZL33flash_attn_stream_k_fixup_generalILi128ELi16ELi2EEvPfPK15HIP_vector_typeIfLj2EEiiiiS1_IjLj3EES5_S5_S5_ ; -- Begin function _ZL33flash_attn_stream_k_fixup_generalILi128ELi16ELi2EEvPfPK15HIP_vector_typeIfLj2EEiiiiS1_IjLj3EES5_S5_S5_
	.p2align	8
	.type	_ZL33flash_attn_stream_k_fixup_generalILi128ELi16ELi2EEvPfPK15HIP_vector_typeIfLj2EEiiiiS1_IjLj3EES5_S5_S5_,@function
_ZL33flash_attn_stream_k_fixup_generalILi128ELi16ELi2EEvPfPK15HIP_vector_typeIfLj2EEiiiiS1_IjLj3EES5_S5_S5_: ; @_ZL33flash_attn_stream_k_fixup_generalILi128ELi16ELi2EEvPfPK15HIP_vector_typeIfLj2EEiiiiS1_IjLj3EES5_S5_S5_
; %bb.0:
	s_clause 0x1
	s_load_b128 s[4:7], s[0:1], 0x10
	s_load_b32 s16, s[0:1], 0x50
	s_mov_b32 s2, ttmp9
	s_ashr_i32 s3, ttmp9, 31
	s_mov_b32 s17, 0
	s_delay_alu instid0(SALU_CYCLE_1) | instskip(SKIP_3) | instid1(SALU_CYCLE_1)
	s_mov_b32 s8, s17
	s_wait_kmcnt 0x0
	s_ashr_i32 s19, s7, 31
	s_mov_b32 s18, s7
	s_mul_u64 s[2:3], s[18:19], s[2:3]
	s_delay_alu instid0(SALU_CYCLE_1) | instskip(NEXT) | instid1(SALU_CYCLE_1)
	s_mov_b32 s9, s3
	s_cmp_lg_u64 s[8:9], 0
	s_cbranch_scc0 .LBB39_21
; %bb.1:
	s_add_nc_u64 s[8:9], s[16:17], 0
	s_mov_b32 s15, s17
	s_xor_b64 s[8:9], s[8:9], 0
	s_mov_b32 s23, s17
	s_cvt_f32_u32 s7, s8
	s_cvt_f32_u32 s10, s9
	s_sub_nc_u64 s[12:13], 0, s[8:9]
	s_delay_alu instid0(SALU_CYCLE_2) | instskip(NEXT) | instid1(SALU_CYCLE_3)
	s_fmamk_f32 s7, s10, 0x4f800000, s7
	v_s_rcp_f32 s7, s7
	s_delay_alu instid0(TRANS32_DEP_1) | instskip(SKIP_1) | instid1(SALU_CYCLE_2)
	s_mul_f32 s7, s7, 0x5f7ffffc
	s_wait_alu 0xfffe
	s_mul_f32 s10, s7, 0x2f800000
	s_delay_alu instid0(SALU_CYCLE_3) | instskip(NEXT) | instid1(SALU_CYCLE_3)
	s_trunc_f32 s10, s10
	s_fmamk_f32 s7, s10, 0xcf800000, s7
	s_cvt_u32_f32 s11, s10
	s_wait_alu 0xfffe
	s_delay_alu instid0(SALU_CYCLE_1) | instskip(NEXT) | instid1(SALU_CYCLE_3)
	s_cvt_u32_f32 s10, s7
	s_mul_u64 s[20:21], s[12:13], s[10:11]
	s_delay_alu instid0(SALU_CYCLE_1)
	s_mul_hi_u32 s25, s10, s21
	s_mul_i32 s24, s10, s21
	s_mul_hi_u32 s14, s10, s20
	s_mul_i32 s22, s11, s20
	s_add_nc_u64 s[14:15], s[14:15], s[24:25]
	s_mul_hi_u32 s7, s11, s20
	s_mul_hi_u32 s26, s11, s21
	s_add_co_u32 s14, s14, s22
	s_wait_alu 0xfffe
	s_add_co_ci_u32 s22, s15, s7
	s_mul_i32 s20, s11, s21
	s_add_co_ci_u32 s21, s26, 0
	s_delay_alu instid0(SALU_CYCLE_1)
	s_add_nc_u64 s[14:15], s[22:23], s[20:21]
	s_mov_b32 s21, s17
	s_add_co_u32 s10, s10, s14
	s_cselect_b32 s7, -1, 0
	s_wait_alu 0xfffe
	s_cmp_lg_u32 s7, 0
	s_add_co_ci_u32 s11, s11, s15
	s_mov_b32 s15, s17
	s_mul_u64 s[12:13], s[12:13], s[10:11]
	s_delay_alu instid0(SALU_CYCLE_1)
	s_mul_hi_u32 s23, s10, s13
	s_mul_i32 s22, s10, s13
	s_mul_hi_u32 s14, s10, s12
	s_mul_i32 s20, s11, s12
	s_add_nc_u64 s[14:15], s[14:15], s[22:23]
	s_mul_hi_u32 s7, s11, s12
	s_mul_hi_u32 s24, s11, s13
	s_mul_i32 s12, s11, s13
	s_add_co_u32 s13, s14, s20
	s_wait_alu 0xfffe
	s_add_co_ci_u32 s20, s15, s7
	s_add_co_ci_u32 s13, s24, 0
	s_mov_b32 s15, s17
	s_add_nc_u64 s[12:13], s[20:21], s[12:13]
	s_delay_alu instid0(SALU_CYCLE_1) | instskip(SKIP_1) | instid1(SALU_CYCLE_1)
	s_add_co_u32 s7, s10, s12
	s_cselect_b32 s10, -1, 0
	s_cmp_lg_u32 s10, 0
	s_add_co_ci_u32 s20, s11, s13
	s_ashr_i32 s10, s3, 31
	s_delay_alu instid0(SALU_CYCLE_1) | instskip(NEXT) | instid1(SALU_CYCLE_1)
	s_mov_b32 s11, s10
	s_add_nc_u64 s[12:13], s[2:3], s[10:11]
	s_delay_alu instid0(SALU_CYCLE_1) | instskip(NEXT) | instid1(SALU_CYCLE_1)
	s_xor_b64 s[12:13], s[12:13], s[10:11]
	s_mul_hi_u32 s23, s12, s20
	s_mul_i32 s22, s12, s20
	s_wait_alu 0xfffe
	s_mul_hi_u32 s14, s12, s7
	s_mul_hi_u32 s24, s13, s7
	s_mul_i32 s7, s13, s7
	s_add_nc_u64 s[14:15], s[14:15], s[22:23]
	s_mul_hi_u32 s3, s13, s20
	s_wait_alu 0xfffe
	s_add_co_u32 s7, s14, s7
	s_mul_i32 s22, s13, s20
	s_add_co_ci_u32 s20, s15, s24
	s_add_co_ci_u32 s23, s3, 0
	s_delay_alu instid0(SALU_CYCLE_1) | instskip(NEXT) | instid1(SALU_CYCLE_1)
	s_add_nc_u64 s[14:15], s[20:21], s[22:23]
	s_mul_u64 s[20:21], s[8:9], s[14:15]
	s_delay_alu instid0(SALU_CYCLE_1)
	s_sub_co_u32 s3, s12, s20
	s_cselect_b32 s7, -1, 0
	s_sub_co_i32 s12, s13, s21
	s_wait_alu 0xfffe
	s_cmp_lg_u32 s7, 0
	s_sub_co_ci_u32 s12, s12, s9
	s_sub_co_u32 s20, s3, s8
	s_cselect_b32 s22, -1, 0
	s_delay_alu instid0(SALU_CYCLE_1) | instskip(SKIP_2) | instid1(SALU_CYCLE_1)
	s_cmp_lg_u32 s22, 0
	s_add_nc_u64 s[22:23], s[14:15], 1
	s_sub_co_ci_u32 s12, s12, 0
	s_cmp_ge_u32 s12, s9
	s_cselect_b32 s24, -1, 0
	s_cmp_ge_u32 s20, s8
	s_cselect_b32 s20, -1, 0
	s_cmp_eq_u32 s12, s9
	s_cselect_b32 s12, s20, s24
	s_add_nc_u64 s[24:25], s[14:15], 2
	s_cmp_lg_u32 s12, 0
	s_cselect_b32 s12, s24, s22
	s_cselect_b32 s20, s25, s23
	s_cmp_lg_u32 s7, 0
	s_sub_co_ci_u32 s7, s13, s21
	s_wait_alu 0xfffe
	s_cmp_ge_u32 s7, s9
	s_cselect_b32 s13, -1, 0
	s_cmp_ge_u32 s3, s8
	s_cselect_b32 s3, -1, 0
	s_cmp_eq_u32 s7, s9
	s_cselect_b32 s3, s3, s13
	s_delay_alu instid0(SALU_CYCLE_1) | instskip(SKIP_4) | instid1(SALU_CYCLE_1)
	s_cmp_lg_u32 s3, 0
	s_mov_b32 s3, s17
	s_cselect_b32 s9, s20, s15
	s_cselect_b32 s8, s12, s14
	s_xor_b64 s[10:11], s[10:11], 0
	s_xor_b64 s[8:9], s[8:9], s[10:11]
	s_delay_alu instid0(SALU_CYCLE_1)
	s_sub_nc_u64 s[20:21], s[8:9], s[10:11]
	s_and_not1_b32 vcc_lo, exec_lo, s3
	s_cbranch_vccnz .LBB39_3
.LBB39_2:
	v_cvt_f32_u32_e32 v1, s16
	s_sub_co_i32 s7, 0, s16
	s_delay_alu instid0(VALU_DEP_1) | instskip(NEXT) | instid1(TRANS32_DEP_1)
	v_rcp_iflag_f32_e32 v1, v1
	v_mul_f32_e32 v1, 0x4f7ffffe, v1
	s_delay_alu instid0(VALU_DEP_1) | instskip(NEXT) | instid1(VALU_DEP_1)
	v_cvt_u32_f32_e32 v1, v1
	v_readfirstlane_b32 s3, v1
	s_wait_alu 0xfffe
	s_mul_i32 s7, s7, s3
	s_wait_alu 0xfffe
	s_mul_hi_u32 s7, s3, s7
	s_wait_alu 0xfffe
	s_add_co_i32 s3, s3, s7
	s_delay_alu instid0(SALU_CYCLE_1) | instskip(NEXT) | instid1(SALU_CYCLE_1)
	s_mul_hi_u32 s3, s2, s3
	s_mul_i32 s7, s3, s16
	s_wait_alu 0xfffe
	s_sub_co_i32 s2, s2, s7
	s_add_co_i32 s7, s3, 1
	s_sub_co_i32 s8, s2, s16
	s_cmp_ge_u32 s2, s16
	s_wait_alu 0xfffe
	s_cselect_b32 s3, s7, s3
	s_cselect_b32 s2, s8, s2
	s_add_co_i32 s7, s3, 1
	s_cmp_ge_u32 s2, s16
	s_wait_alu 0xfffe
	s_cselect_b32 s20, s7, s3
.LBB39_3:
	s_add_co_i32 s2, ttmp9, 1
	s_mov_b32 s8, 0
	s_ashr_i32 s3, s2, 31
	s_delay_alu instid0(SALU_CYCLE_1) | instskip(NEXT) | instid1(SALU_CYCLE_1)
	s_mul_u64 s[2:3], s[18:19], s[2:3]
	s_mov_b32 s9, s3
	s_delay_alu instid0(SALU_CYCLE_1)
	s_cmp_lg_u64 s[8:9], 0
	s_cbranch_scc0 .LBB39_22
; %bb.4:
	s_add_nc_u64 s[10:11], s[16:17], 0
	s_mov_b32 s23, s8
	s_xor_b64 s[10:11], s[10:11], 0
	s_mov_b32 s27, s8
	s_cvt_f32_u32 s7, s10
	s_cvt_f32_u32 s9, s11
	s_sub_nc_u64 s[14:15], 0, s[10:11]
	s_wait_alu 0xfffe
	s_delay_alu instid0(SALU_CYCLE_1) | instskip(SKIP_1) | instid1(SALU_CYCLE_2)
	s_fmamk_f32 s7, s9, 0x4f800000, s7
	s_wait_alu 0xfffe
	v_s_rcp_f32 s7, s7
	s_delay_alu instid0(TRANS32_DEP_1) | instskip(SKIP_1) | instid1(SALU_CYCLE_2)
	s_mul_f32 s7, s7, 0x5f7ffffc
	s_wait_alu 0xfffe
	s_mul_f32 s9, s7, 0x2f800000
	s_delay_alu instid0(SALU_CYCLE_3) | instskip(NEXT) | instid1(SALU_CYCLE_3)
	s_trunc_f32 s9, s9
	s_fmamk_f32 s7, s9, 0xcf800000, s7
	s_cvt_u32_f32 s13, s9
	s_wait_alu 0xfffe
	s_delay_alu instid0(SALU_CYCLE_1) | instskip(NEXT) | instid1(SALU_CYCLE_3)
	s_cvt_u32_f32 s12, s7
	s_mul_u64 s[24:25], s[14:15], s[12:13]
	s_delay_alu instid0(SALU_CYCLE_1)
	s_mul_hi_u32 s29, s12, s25
	s_mul_i32 s28, s12, s25
	s_mul_hi_u32 s22, s12, s24
	s_mul_i32 s9, s13, s24
	s_add_nc_u64 s[22:23], s[22:23], s[28:29]
	s_mul_hi_u32 s7, s13, s24
	s_mul_hi_u32 s21, s13, s25
	s_add_co_u32 s9, s22, s9
	s_wait_alu 0xfffe
	s_add_co_ci_u32 s26, s23, s7
	s_mul_i32 s24, s13, s25
	s_add_co_ci_u32 s25, s21, 0
	s_delay_alu instid0(SALU_CYCLE_1)
	s_add_nc_u64 s[22:23], s[26:27], s[24:25]
	s_mov_b32 s25, s8
	s_add_co_u32 s12, s12, s22
	s_cselect_b32 s7, -1, 0
	s_wait_alu 0xfffe
	s_cmp_lg_u32 s7, 0
	s_add_co_ci_u32 s13, s13, s23
	s_mov_b32 s23, s8
	s_mul_u64 s[14:15], s[14:15], s[12:13]
	s_delay_alu instid0(SALU_CYCLE_1)
	s_mul_hi_u32 s27, s12, s15
	s_mul_i32 s26, s12, s15
	s_mul_hi_u32 s22, s12, s14
	s_mul_i32 s9, s13, s14
	s_add_nc_u64 s[22:23], s[22:23], s[26:27]
	s_mul_hi_u32 s7, s13, s14
	s_mul_hi_u32 s21, s13, s15
	s_add_co_u32 s9, s22, s9
	s_wait_alu 0xfffe
	s_add_co_ci_u32 s24, s23, s7
	s_mul_i32 s14, s13, s15
	s_add_co_ci_u32 s15, s21, 0
	s_mov_b32 s23, s8
	s_add_nc_u64 s[14:15], s[24:25], s[14:15]
	s_delay_alu instid0(SALU_CYCLE_1) | instskip(SKIP_1) | instid1(SALU_CYCLE_1)
	s_add_co_u32 s7, s12, s14
	s_cselect_b32 s9, -1, 0
	s_cmp_lg_u32 s9, 0
	s_add_co_ci_u32 s9, s13, s15
	s_ashr_i32 s12, s3, 31
	s_delay_alu instid0(SALU_CYCLE_1) | instskip(NEXT) | instid1(SALU_CYCLE_1)
	s_mov_b32 s13, s12
	s_add_nc_u64 s[14:15], s[2:3], s[12:13]
	s_delay_alu instid0(SALU_CYCLE_1) | instskip(NEXT) | instid1(SALU_CYCLE_1)
	s_xor_b64 s[14:15], s[14:15], s[12:13]
	s_mul_hi_u32 s27, s14, s9
	s_mul_i32 s26, s14, s9
	s_wait_alu 0xfffe
	s_mul_hi_u32 s22, s14, s7
	s_mul_hi_u32 s21, s15, s7
	s_mul_i32 s7, s15, s7
	s_add_nc_u64 s[22:23], s[22:23], s[26:27]
	s_mul_hi_u32 s3, s15, s9
	s_wait_alu 0xfffe
	s_add_co_u32 s7, s22, s7
	s_add_co_ci_u32 s24, s23, s21
	s_mul_i32 s26, s15, s9
	s_add_co_ci_u32 s27, s3, 0
	s_delay_alu instid0(SALU_CYCLE_1) | instskip(NEXT) | instid1(SALU_CYCLE_1)
	s_add_nc_u64 s[22:23], s[24:25], s[26:27]
	s_mul_u64 s[24:25], s[10:11], s[22:23]
	s_add_nc_u64 s[26:27], s[22:23], 1
	s_sub_co_u32 s3, s14, s24
	s_cselect_b32 s7, -1, 0
	s_sub_co_i32 s9, s15, s25
	s_wait_alu 0xfffe
	s_cmp_lg_u32 s7, 0
	s_add_nc_u64 s[28:29], s[22:23], 2
	s_sub_co_ci_u32 s9, s9, s11
	s_sub_co_u32 s14, s3, s10
	s_cselect_b32 s21, -1, 0
	s_delay_alu instid0(SALU_CYCLE_1) | instskip(SKIP_1) | instid1(SALU_CYCLE_1)
	s_cmp_lg_u32 s21, 0
	s_sub_co_ci_u32 s9, s9, 0
	s_cmp_ge_u32 s9, s11
	s_cselect_b32 s21, -1, 0
	s_cmp_ge_u32 s14, s10
	s_cselect_b32 s14, -1, 0
	s_cmp_eq_u32 s9, s11
	s_cselect_b32 s9, s14, s21
	s_delay_alu instid0(SALU_CYCLE_1)
	s_cmp_lg_u32 s9, 0
	s_cselect_b32 s9, s28, s26
	s_cselect_b32 s14, s29, s27
	s_cmp_lg_u32 s7, 0
	s_sub_co_ci_u32 s7, s15, s25
	s_wait_alu 0xfffe
	s_cmp_ge_u32 s7, s11
	s_cselect_b32 s15, -1, 0
	s_cmp_ge_u32 s3, s10
	s_cselect_b32 s3, -1, 0
	s_cmp_eq_u32 s7, s11
	s_cselect_b32 s3, s3, s15
	s_delay_alu instid0(SALU_CYCLE_1) | instskip(SKIP_3) | instid1(SALU_CYCLE_1)
	s_cmp_lg_u32 s3, 0
	s_cselect_b32 s11, s14, s23
	s_cselect_b32 s10, s9, s22
	s_xor_b64 s[12:13], s[12:13], 0
	s_xor_b64 s[10:11], s[10:11], s[12:13]
	s_delay_alu instid0(SALU_CYCLE_1)
	s_sub_nc_u64 s[10:11], s[10:11], s[12:13]
	s_load_b96 s[12:14], s[0:1], 0x44
	s_and_not1_b32 vcc_lo, exec_lo, s8
	s_cbranch_vccnz .LBB39_6
.LBB39_5:
	v_cvt_f32_u32_e32 v1, s16
	s_sub_co_i32 s7, 0, s16
	s_delay_alu instid0(VALU_DEP_1) | instskip(NEXT) | instid1(TRANS32_DEP_1)
	v_rcp_iflag_f32_e32 v1, v1
	v_mul_f32_e32 v1, 0x4f7ffffe, v1
	s_delay_alu instid0(VALU_DEP_1) | instskip(NEXT) | instid1(VALU_DEP_1)
	v_cvt_u32_f32_e32 v1, v1
	v_readfirstlane_b32 s3, v1
	s_wait_alu 0xfffe
	s_mul_i32 s7, s7, s3
	s_wait_alu 0xfffe
	s_mul_hi_u32 s7, s3, s7
	s_wait_alu 0xfffe
	s_add_co_i32 s3, s3, s7
	s_delay_alu instid0(SALU_CYCLE_1) | instskip(NEXT) | instid1(SALU_CYCLE_1)
	s_mul_hi_u32 s3, s2, s3
	s_mul_i32 s7, s3, s16
	s_wait_alu 0xfffe
	s_sub_co_i32 s2, s2, s7
	s_add_co_i32 s7, s3, 1
	s_sub_co_i32 s8, s2, s16
	s_cmp_ge_u32 s2, s16
	s_wait_alu 0xfffe
	s_cselect_b32 s3, s7, s3
	s_cselect_b32 s2, s8, s2
	s_add_co_i32 s7, s3, 1
	s_cmp_ge_u32 s2, s16
	s_wait_alu 0xfffe
	s_cselect_b32 s10, s7, s3
.LBB39_6:
	s_mov_b32 s21, 0
	s_wait_kmcnt 0x0
	s_mov_b32 s22, s12
	s_mov_b32 s23, s21
	s_cmp_eq_u32 s20, s10
	s_mul_u64 s[2:3], s[20:21], s[22:23]
	s_cselect_b32 s7, -1, 0
	s_add_co_i32 s2, s3, s20
	s_mov_b32 s11, s21
	s_lshr_b32 s12, s2, s13
	s_mul_u64 s[2:3], s[10:11], s[22:23]
	s_mul_i32 s2, s12, s14
	s_delay_alu instid0(SALU_CYCLE_1) | instskip(SKIP_2) | instid1(SALU_CYCLE_1)
	s_cmp_eq_u32 s2, s20
	s_cselect_b32 s2, -1, 0
	s_add_co_i32 s3, s3, s10
	s_lshr_b32 s3, s3, s13
	s_delay_alu instid0(SALU_CYCLE_1)
	s_cmp_eq_u32 s12, s3
	s_mul_i32 s3, s3, s14
	s_cselect_b32 s8, -1, 0
	s_cmp_lg_u32 s3, s10
	s_cselect_b32 s3, -1, 0
	s_wait_alu 0xfffe
	s_or_b32 s2, s7, s2
	s_and_b32 s3, s8, s3
	s_delay_alu instid0(SALU_CYCLE_1) | instskip(NEXT) | instid1(SALU_CYCLE_1)
	s_or_b32 s2, s2, s3
	s_and_b32 vcc_lo, exec_lo, s2
	s_cbranch_vccnz .LBB39_24
; %bb.7:
	s_load_b256 s[24:31], s[0:1], 0x20
	s_mov_b32 s3, s21
	s_wait_kmcnt 0x0
	s_mov_b32 s2, s24
	s_delay_alu instid0(SALU_CYCLE_1) | instskip(NEXT) | instid1(SALU_CYCLE_1)
	s_mul_u64 s[2:3], s[20:21], s[2:3]
	s_add_co_i32 s2, s3, s20
	s_delay_alu instid0(SALU_CYCLE_1) | instskip(SKIP_2) | instid1(SALU_CYCLE_1)
	s_lshr_b32 s7, s2, s25
	s_load_b32 s2, s[0:1], 0x40
	s_mul_i32 s3, s7, s26
	s_sub_co_i32 s3, s20, s3
	s_delay_alu instid0(SALU_CYCLE_1) | instskip(NEXT) | instid1(SALU_CYCLE_1)
	s_mul_hi_u32 s8, s3, s27
	s_add_co_i32 s8, s3, s8
	s_delay_alu instid0(SALU_CYCLE_1) | instskip(NEXT) | instid1(SALU_CYCLE_1)
	s_lshr_b32 s8, s8, s28
	s_mul_i32 s9, s8, s29
	s_delay_alu instid0(SALU_CYCLE_1) | instskip(NEXT) | instid1(SALU_CYCLE_1)
	s_sub_co_i32 s9, s3, s9
	s_mul_hi_u32 s3, s9, s30
	s_delay_alu instid0(SALU_CYCLE_1) | instskip(NEXT) | instid1(SALU_CYCLE_1)
	s_add_co_i32 s3, s9, s3
	s_lshr_b32 s24, s3, s31
	s_mov_b32 s3, s21
	s_wait_kmcnt 0x0
	s_mul_i32 s2, s24, s2
	s_lshl_b32 s21, s24, 1
	s_sub_co_i32 s2, s9, s2
	s_delay_alu instid0(SALU_CYCLE_1) | instskip(SKIP_2) | instid1(SALU_CYCLE_1)
	s_mul_u64 s[10:11], s[2:3], s[22:23]
	s_lshr_b32 s3, ttmp7, 16
	s_add_co_i32 s2, s2, s11
	s_lshr_b32 s15, s2, s13
	s_and_b32 s2, ttmp7, 0xffff
	s_lshl_b32 s9, s15, 4
	s_delay_alu instid0(SALU_CYCLE_1) | instskip(NEXT) | instid1(SALU_CYCLE_1)
	s_add_co_i32 s9, s9, s2
	s_cmp_lt_i32 s9, s4
	s_cselect_b32 s9, -1, 0
	s_add_co_i32 s10, s21, s3
	s_delay_alu instid0(SALU_CYCLE_1) | instskip(SKIP_1) | instid1(SALU_CYCLE_1)
	s_cmp_lt_i32 s10, s6
	s_cselect_b32 s10, -1, 0
	s_and_b32 s9, s9, s10
	s_delay_alu instid0(SALU_CYCLE_1)
	s_and_not1_b32 vcc_lo, exec_lo, s9
	s_cbranch_vccnz .LBB39_24
; %bb.8:
	s_mul_i32 s4, s7, s4
	s_mul_i32 s6, s8, s6
	s_add_co_i32 s4, s4, s2
	s_load_b128 s[8:11], s[0:1], 0x0
	s_mul_i32 s4, s4, s5
	s_mul_i32 s1, s5, s15
	s_add_co_i32 s4, s4, s3
	s_lshl_b32 s1, s1, 11
	s_add_co_i32 s0, s4, s6
	s_lshl_b32 s15, s2, 1
	s_add_co_i32 s0, s0, s21
	s_add_co_i32 s15, s15, s3
	s_lshl_b32 s0, s0, 7
	v_cvt_f32_u32_e32 v4, s16
	s_add_co_i32 s1, s1, s0
	s_add_co_i32 s34, ttmp9, -1
	v_or_b32_e32 v1, s1, v0
	s_add_nc_u64 s[0:1], s[16:17], 0
	v_rcp_iflag_f32_e32 v4, v4
	s_wait_alu 0xfffe
	s_xor_b64 s[6:7], s[0:1], 0
	s_lshl_b32 s0, ttmp9, 5
	v_ashrrev_i32_e32 v2, 31, v1
	s_wait_alu 0xfffe
	s_cvt_f32_u32 s1, s6
	s_cvt_f32_u32 s2, s7
	s_add_co_i32 s0, s15, s0
	v_lshl_or_b32 v0, s15, 7, v0
	v_lshlrev_b64_e32 v[1:2], 2, v[1:2]
	s_wait_alu 0xfffe
	s_fmamk_f32 s2, s2, 0x4f800000, s1
	s_ashr_i32 s1, s0, 31
	s_sub_nc_u64 s[30:31], 0, s[6:7]
	s_wait_alu 0xfffe
	s_lshl_b64 s[0:1], s[0:1], 3
	v_s_rcp_f32 s2, s2
	s_wait_kmcnt 0x0
	v_add_co_u32 v1, vcc_lo, s8, v1
	s_delay_alu instid0(VALU_DEP_1)
	v_add_co_ci_u32_e64 v2, null, s9, v2, vcc_lo
	s_wait_alu 0xfffe
	s_add_nc_u64 s[0:1], s[10:11], s[0:1]
	s_mov_b32 s8, 0
	s_load_b64 s[26:27], s[0:1], 0x0
	global_load_b32 v3, v[1:2], off
	s_mul_f32 s2, s2, 0x5f7ffffc
	v_mul_f32_e32 v4, 0x4f7ffffe, v4
	s_lshl_b32 s0, s16, 7
	s_wait_alu 0xfffe
	s_mul_f32 s1, s2, 0x2f800000
	s_wait_alu 0xfffe
	s_delay_alu instid0(SALU_CYCLE_2)
	s_trunc_f32 s3, s1
	s_mov_b32 s1, s8
	s_wait_alu 0xfffe
	s_lshl_b64 s[0:1], s[0:1], 2
	s_fmamk_f32 s2, s3, 0xcf800000, s2
	s_cvt_u32_f32 s29, s3
	s_wait_alu 0xfffe
	s_add_nc_u64 s[24:25], s[10:11], s[0:1]
	s_cvt_u32_f32 s28, s2
	s_wait_kmcnt 0x0
	v_mov_b32_e32 v5, s27
	v_cvt_u32_f32_e32 v4, v4
.LBB39_9:                               ; =>This Inner Loop Header: Depth=1
	s_wait_alu 0xfffe
	s_ashr_i32 s35, s34, 31
	s_mov_b32 s2, -1
	s_wait_alu 0xfffe
	s_mul_u64 s[0:1], s[34:35], s[18:19]
                                        ; implicit-def: $sgpr38_sgpr39
	s_wait_alu 0xfffe
	s_mov_b32 s9, s1
	s_wait_alu 0xfffe
	s_cmp_lg_u64 s[8:9], 0
	s_cbranch_scc0 .LBB39_11
; %bb.10:                               ;   in Loop: Header=BB39_9 Depth=1
	s_mul_u64 s[2:3], s[30:31], s[28:29]
	s_mov_b32 s37, s8
	s_wait_alu 0xfffe
	s_mul_hi_u32 s5, s28, s3
	s_mul_i32 s4, s28, s3
	s_mul_hi_u32 s36, s28, s2
	s_mul_hi_u32 s9, s29, s2
	s_wait_alu 0xfffe
	s_add_nc_u64 s[4:5], s[36:37], s[4:5]
	s_mul_i32 s2, s29, s2
	s_mul_hi_u32 s17, s29, s3
	s_wait_alu 0xfffe
	s_add_co_u32 s2, s4, s2
	s_add_co_ci_u32 s2, s5, s9
	s_add_co_ci_u32 s5, s17, 0
	s_mul_i32 s4, s29, s3
	s_mov_b32 s3, s8
	s_mov_b32 s39, s8
	s_wait_alu 0xfffe
	s_add_nc_u64 s[2:3], s[2:3], s[4:5]
	s_wait_alu 0xfffe
	s_add_co_u32 s2, s28, s2
	s_cselect_b32 s4, -1, 0
	s_wait_alu 0xfffe
	s_cmp_lg_u32 s4, 0
	s_add_co_ci_u32 s3, s29, s3
	s_wait_alu 0xfffe
	s_mul_u64 s[4:5], s[30:31], s[2:3]
	s_wait_alu 0xfffe
	s_mul_hi_u32 s37, s2, s5
	s_mul_i32 s36, s2, s5
	s_mul_hi_u32 s38, s2, s4
	s_mul_hi_u32 s9, s3, s4
	s_mul_i32 s4, s3, s4
	s_wait_alu 0xfffe
	s_add_nc_u64 s[36:37], s[38:39], s[36:37]
	s_mul_hi_u32 s17, s3, s5
	s_wait_alu 0xfffe
	s_add_co_u32 s4, s36, s4
	s_add_co_ci_u32 s4, s37, s9
	s_add_co_ci_u32 s37, s17, 0
	s_mul_i32 s36, s3, s5
	s_mov_b32 s5, s8
	s_wait_alu 0xfffe
	s_add_nc_u64 s[4:5], s[4:5], s[36:37]
	s_mov_b32 s37, s8
	s_wait_alu 0xfffe
	s_add_co_u32 s9, s2, s4
	s_cselect_b32 s2, -1, 0
	s_wait_alu 0xfffe
	s_cmp_lg_u32 s2, 0
	s_add_co_ci_u32 s17, s3, s5
	s_ashr_i32 s2, s1, 31
	s_wait_alu 0xfffe
	s_mov_b32 s3, s2
	s_wait_alu 0xfffe
	s_add_nc_u64 s[4:5], s[0:1], s[2:3]
	s_wait_alu 0xfffe
	s_xor_b64 s[4:5], s[4:5], s[2:3]
	s_wait_alu 0xfffe
	s_mul_hi_u32 s39, s4, s17
	s_mul_i32 s38, s4, s17
	s_mul_hi_u32 s36, s4, s9
	s_mul_i32 s21, s5, s9
	s_wait_alu 0xfffe
	s_add_nc_u64 s[36:37], s[36:37], s[38:39]
	s_mul_hi_u32 s9, s5, s9
	s_mul_hi_u32 s1, s5, s17
	s_wait_alu 0xfffe
	s_add_co_u32 s21, s36, s21
	s_add_co_ci_u32 s36, s37, s9
	s_add_co_ci_u32 s39, s1, 0
	s_mul_i32 s38, s5, s17
	s_mov_b32 s37, s8
	s_wait_alu 0xfffe
	s_add_nc_u64 s[36:37], s[36:37], s[38:39]
	s_wait_alu 0xfffe
	s_mul_u64 s[38:39], s[6:7], s[36:37]
	s_add_nc_u64 s[40:41], s[36:37], 1
	s_sub_co_u32 s1, s4, s38
	s_cselect_b32 s4, -1, 0
	s_sub_co_i32 s9, s5, s39
	s_wait_alu 0xfffe
	s_cmp_lg_u32 s4, 0
	s_add_nc_u64 s[42:43], s[36:37], 2
	s_sub_co_ci_u32 s9, s9, s7
	s_sub_co_u32 s17, s1, s6
	s_cselect_b32 s21, -1, 0
	s_delay_alu instid0(SALU_CYCLE_1)
	s_cmp_lg_u32 s21, 0
	s_wait_alu 0xfffe
	s_sub_co_ci_u32 s9, s9, 0
	s_wait_alu 0xfffe
	s_cmp_ge_u32 s9, s7
	s_cselect_b32 s21, -1, 0
	s_cmp_ge_u32 s17, s6
	s_cselect_b32 s17, -1, 0
	s_cmp_eq_u32 s9, s7
	s_wait_alu 0xfffe
	s_cselect_b32 s9, s17, s21
	s_wait_alu 0xfffe
	s_cmp_lg_u32 s9, 0
	s_cselect_b32 s9, s42, s40
	s_cselect_b32 s17, s43, s41
	s_cmp_lg_u32 s4, 0
	s_sub_co_ci_u32 s4, s5, s39
	s_wait_alu 0xfffe
	s_cmp_ge_u32 s4, s7
	s_cselect_b32 s5, -1, 0
	s_cmp_ge_u32 s1, s6
	s_cselect_b32 s1, -1, 0
	s_cmp_eq_u32 s4, s7
	s_wait_alu 0xfffe
	s_cselect_b32 s1, s1, s5
	s_wait_alu 0xfffe
	s_cmp_lg_u32 s1, 0
	s_cselect_b32 s5, s17, s37
	s_cselect_b32 s4, s9, s36
	s_xor_b64 s[2:3], s[2:3], 0
	s_wait_alu 0xfffe
	s_xor_b64 s[4:5], s[4:5], s[2:3]
	s_wait_alu 0xfffe
	s_sub_nc_u64 s[38:39], s[4:5], s[2:3]
	s_mov_b32 s2, 0
.LBB39_11:                              ;   in Loop: Header=BB39_9 Depth=1
	s_wait_alu 0xfffe
	s_and_not1_b32 vcc_lo, exec_lo, s2
	s_wait_alu 0xfffe
	s_cbranch_vccnz .LBB39_13
; %bb.12:                               ;   in Loop: Header=BB39_9 Depth=1
	v_readfirstlane_b32 s1, v4
	s_sub_co_i32 s2, 0, s16
	s_wait_alu 0xfffe
	s_mul_i32 s2, s2, s1
	s_wait_alu 0xfffe
	s_mul_hi_u32 s2, s1, s2
	s_wait_alu 0xfffe
	s_add_co_i32 s1, s1, s2
	s_wait_alu 0xfffe
	s_mul_hi_u32 s1, s0, s1
	s_wait_alu 0xfffe
	s_mul_i32 s2, s1, s16
	s_wait_alu 0xfffe
	s_sub_co_i32 s0, s0, s2
	s_add_co_i32 s2, s1, 1
	s_wait_alu 0xfffe
	s_sub_co_i32 s3, s0, s16
	s_cmp_ge_u32 s0, s16
	s_cselect_b32 s1, s2, s1
	s_wait_alu 0xfffe
	s_cselect_b32 s0, s3, s0
	s_add_co_i32 s2, s1, 1
	s_wait_alu 0xfffe
	s_cmp_ge_u32 s0, s16
	s_cselect_b32 s38, s2, s1
.LBB39_13:                              ;   in Loop: Header=BB39_9 Depth=1
	v_readfirstlane_b32 s9, v0
	s_cmp_lg_u32 s20, s38
	s_mov_b32 s0, -1
                                        ; implicit-def: $sgpr21
                                        ; implicit-def: $vgpr6
                                        ; implicit-def: $vgpr7
                                        ; implicit-def: $sgpr17
                                        ; implicit-def: $sgpr27
	s_cbranch_scc1 .LBB39_16
; %bb.14:                               ;   in Loop: Header=BB39_9 Depth=1
	s_wait_alu 0xfffe
	s_and_not1_b32 vcc_lo, exec_lo, s0
	s_wait_alu 0xfffe
	s_cbranch_vccz .LBB39_19
.LBB39_15:                              ;   in Loop: Header=BB39_9 Depth=1
	s_and_not1_b32 vcc_lo, exec_lo, s21
	s_wait_alu 0xfffe
	s_cbranch_vccnz .LBB39_20
	s_branch .LBB39_23
.LBB39_16:                              ;   in Loop: Header=BB39_9 Depth=1
	s_add_co_i32 s0, s34, s16
	s_mov_b32 s1, s8
	s_wait_alu 0xfffe
	s_lshl_b32 s0, s0, 5
	v_max_num_f32_e64 v6, s26, s26
	s_wait_alu 0xfffe
	s_add_co_i32 s0, s0, s15
	s_mov_b32 s39, s8
	s_wait_alu 0xfffe
	s_lshl_b64 s[0:1], s[0:1], 3
	s_mul_u64 s[40:41], s[38:39], s[22:23]
	s_wait_alu 0xfffe
	s_add_nc_u64 s[0:1], s[10:11], s[0:1]
	s_mov_b32 s27, s20
	s_load_b64 s[36:37], s[0:1], 0x0
	v_readfirstlane_b32 s0, v6
	s_wait_kmcnt 0x0
	v_max_num_f32_e64 v7, s36, s36
	s_delay_alu instid0(VALU_DEP_1) | instskip(SKIP_2) | instid1(SALU_CYCLE_2)
	v_readfirstlane_b32 s1, v7
	s_max_num_f32 s9, s0, s1
	s_wait_alu 0xfffe
	s_sub_f32 s33, s26, s9
	s_sub_f32 s35, s36, s9
	s_wait_alu 0xfffe
	s_delay_alu instid0(SALU_CYCLE_1)
	s_cmp_nlt_f32 s33, 0xc2ce8ed0
	s_cselect_b32 s0, -1, 0
	s_cmp_ngt_f32 s33, 0x42b17218
	s_cselect_b32 s1, -1, 0
	s_cmp_ge_f32 s33, 0xc1a00000
	s_cselect_b32 s2, -1, 0
	s_cmp_nlt_f32 s35, 0xc2ce8ed0
	s_cselect_b32 s3, -1, 0
	s_cmp_ngt_f32 s35, 0x42b17218
	s_cselect_b32 s4, -1, 0
	s_cmp_ge_f32 s35, 0xc1a00000
	s_cselect_b32 s5, -1, 0
	s_add_co_i32 s17, s41, s38
	s_wait_alu 0xfffe
	s_lshr_b32 s17, s17, s13
	s_wait_alu 0xfffe
	s_mul_i32 s21, s17, s14
	s_delay_alu instid0(SALU_CYCLE_1)
	s_cmp_eq_u32 s21, s38
	s_cselect_b32 s21, -1, 0
	s_cmp_lt_u32 s17, s12
	s_cselect_b32 s17, -1, 0
	s_wait_alu 0xfffe
	s_or_b32 s17, s17, s21
	s_mov_b32 s21, -1
	s_wait_alu 0xfffe
	s_and_b32 vcc_lo, exec_lo, s17
	s_mov_b32 s17, s34
	s_wait_alu 0xfffe
	s_cbranch_vccnz .LBB39_18
; %bb.17:                               ;   in Loop: Header=BB39_9 Depth=1
	s_add_co_i32 s17, s34, -1
	s_mov_b32 s21, 0
	s_mov_b32 s27, s38
.LBB39_18:                              ;   in Loop: Header=BB39_9 Depth=1
	v_lshl_add_u32 v6, s34, 12, v0
	s_mul_f32 s36, s35, 0x3fb8aa3b
	s_mul_f32 s38, s33, 0x3fb8aa3b
	s_wait_alu 0xfffe
	s_delay_alu instid0(SALU_CYCLE_1)
	s_xor_b32 s39, s36, 0x80000000
	v_ashrrev_i32_e32 v7, 31, v6
	s_rndne_f32 s40, s36
	s_fmamk_f32 s39, s35, 0x3fb8aa3b, s39
	s_xor_b32 s41, s38, 0x80000000
	s_rndne_f32 s42, s38
	v_lshlrev_b64_e32 v[6:7], 2, v[6:7]
	s_sub_f32 s36, s36, s40
	s_fmamk_f32 s35, s35, 0x32a5705f, s39
	s_fmamk_f32 s39, s33, 0x3fb8aa3b, s41
	s_sub_f32 s38, s38, s42
	s_delay_alu instid0(VALU_DEP_1)
	v_add_co_u32 v6, vcc_lo, s24, v6
	s_wait_alu 0xfffd
	v_add_co_ci_u32_e64 v7, null, s25, v7, vcc_lo
	s_wait_alu 0xfffe
	s_add_f32 s35, s36, s35
	s_fmamk_f32 s33, s33, 0x32a5705f, s39
	s_cvt_i32_f32 s36, s40
	global_load_b32 v6, v[6:7], off
	s_wait_alu 0xfffe
	v_s_exp_f32 s35, s35
	s_add_f32 s33, s38, s33
	s_wait_alu 0xfffe
	s_delay_alu instid0(SALU_CYCLE_2) | instskip(NEXT) | instid1(TRANS32_DEP_2)
	v_s_exp_f32 s33, s33
	v_ldexp_f32 v7, s35, s36
	s_cvt_i32_f32 s35, s42
	s_wait_alu 0xf1fe
	s_delay_alu instid0(TRANS32_DEP_1) | instid1(SALU_CYCLE_2)
	v_ldexp_f32 v8, s33, s35
	s_delay_alu instid0(VALU_DEP_2) | instskip(NEXT) | instid1(VALU_DEP_2)
	v_cndmask_b32_e64 v7, 0, v7, s3
	v_cndmask_b32_e64 v8, 0, v8, s0
	s_delay_alu instid0(VALU_DEP_2) | instskip(NEXT) | instid1(VALU_DEP_2)
	v_cndmask_b32_e64 v7, 0x7f800000, v7, s4
	v_cndmask_b32_e64 v8, 0x7f800000, v8, s1
	;; [unrolled: 3-line block ×3, first 2 shown]
	s_wait_loadcnt 0x0
	s_delay_alu instid0(VALU_DEP_2) | instskip(SKIP_1) | instid1(VALU_DEP_1)
	v_mul_f32_e32 v6, v6, v7
	v_mul_f32_e32 v7, s37, v7
	v_fmac_f32_e32 v7, v5, v8
	s_delay_alu instid0(VALU_DEP_3)
	v_fmac_f32_e32 v6, v3, v8
	s_cbranch_execnz .LBB39_15
.LBB39_19:                              ;   in Loop: Header=BB39_9 Depth=1
	s_wait_loadcnt 0x0
	v_dual_mov_b32 v7, v5 :: v_dual_mov_b32 v6, v3
	s_add_co_i32 s17, s34, -1
	s_mov_b32 s27, s20
	s_mov_b32 s9, s26
	s_cbranch_execz .LBB39_23
.LBB39_20:                              ;   in Loop: Header=BB39_9 Depth=1
	v_mov_b32_e32 v5, v7
	s_wait_loadcnt 0x0
	v_mov_b32_e32 v3, v6
	s_wait_alu 0xfffe
	s_mov_b32 s20, s27
	s_mov_b32 s34, s17
	;; [unrolled: 1-line block ×3, first 2 shown]
	s_branch .LBB39_9
.LBB39_21:
                                        ; implicit-def: $sgpr20_sgpr21
	s_branch .LBB39_2
.LBB39_22:
                                        ; implicit-def: $sgpr10_sgpr11
	s_load_b96 s[12:14], s[0:1], 0x44
	s_branch .LBB39_5
.LBB39_23:
	v_div_scale_f32 v0, null, v7, v7, v6
	s_wait_loadcnt 0x0
	s_delay_alu instid0(VALU_DEP_1) | instskip(NEXT) | instid1(TRANS32_DEP_1)
	v_rcp_f32_e32 v3, v0
	v_fma_f32 v4, -v0, v3, 1.0
	s_delay_alu instid0(VALU_DEP_1) | instskip(SKIP_1) | instid1(VALU_DEP_1)
	v_fmac_f32_e32 v3, v4, v3
	v_div_scale_f32 v4, vcc_lo, v6, v7, v6
	v_mul_f32_e32 v5, v4, v3
	s_delay_alu instid0(VALU_DEP_1) | instskip(NEXT) | instid1(VALU_DEP_1)
	v_fma_f32 v8, -v0, v5, v4
	v_fmac_f32_e32 v5, v8, v3
	s_delay_alu instid0(VALU_DEP_1) | instskip(SKIP_1) | instid1(VALU_DEP_1)
	v_fma_f32 v0, -v0, v5, v4
	s_wait_alu 0xfffd
	v_div_fmas_f32 v0, v0, v3, v5
	s_delay_alu instid0(VALU_DEP_1)
	v_div_fixup_f32 v0, v0, v7, v6
	global_store_b32 v[1:2], v0, off
.LBB39_24:
	s_endpgm
	.section	.rodata,"a",@progbits
	.p2align	6, 0x0
	.amdhsa_kernel _ZL33flash_attn_stream_k_fixup_generalILi128ELi16ELi2EEvPfPK15HIP_vector_typeIfLj2EEiiiiS1_IjLj3EES5_S5_S5_
		.amdhsa_group_segment_fixed_size 0
		.amdhsa_private_segment_fixed_size 0
		.amdhsa_kernarg_size 336
		.amdhsa_user_sgpr_count 2
		.amdhsa_user_sgpr_dispatch_ptr 0
		.amdhsa_user_sgpr_queue_ptr 0
		.amdhsa_user_sgpr_kernarg_segment_ptr 1
		.amdhsa_user_sgpr_dispatch_id 0
		.amdhsa_user_sgpr_private_segment_size 0
		.amdhsa_wavefront_size32 1
		.amdhsa_uses_dynamic_stack 0
		.amdhsa_enable_private_segment 0
		.amdhsa_system_sgpr_workgroup_id_x 1
		.amdhsa_system_sgpr_workgroup_id_y 1
		.amdhsa_system_sgpr_workgroup_id_z 1
		.amdhsa_system_sgpr_workgroup_info 0
		.amdhsa_system_vgpr_workitem_id 0
		.amdhsa_next_free_vgpr 9
		.amdhsa_next_free_sgpr 44
		.amdhsa_reserve_vcc 1
		.amdhsa_float_round_mode_32 0
		.amdhsa_float_round_mode_16_64 0
		.amdhsa_float_denorm_mode_32 3
		.amdhsa_float_denorm_mode_16_64 3
		.amdhsa_fp16_overflow 0
		.amdhsa_workgroup_processor_mode 1
		.amdhsa_memory_ordered 1
		.amdhsa_forward_progress 1
		.amdhsa_inst_pref_size 28
		.amdhsa_round_robin_scheduling 0
		.amdhsa_exception_fp_ieee_invalid_op 0
		.amdhsa_exception_fp_denorm_src 0
		.amdhsa_exception_fp_ieee_div_zero 0
		.amdhsa_exception_fp_ieee_overflow 0
		.amdhsa_exception_fp_ieee_underflow 0
		.amdhsa_exception_fp_ieee_inexact 0
		.amdhsa_exception_int_div_zero 0
	.end_amdhsa_kernel
	.section	.text._ZL33flash_attn_stream_k_fixup_generalILi128ELi16ELi2EEvPfPK15HIP_vector_typeIfLj2EEiiiiS1_IjLj3EES5_S5_S5_,"axG",@progbits,_ZL33flash_attn_stream_k_fixup_generalILi128ELi16ELi2EEvPfPK15HIP_vector_typeIfLj2EEiiiiS1_IjLj3EES5_S5_S5_,comdat
.Lfunc_end39:
	.size	_ZL33flash_attn_stream_k_fixup_generalILi128ELi16ELi2EEvPfPK15HIP_vector_typeIfLj2EEiiiiS1_IjLj3EES5_S5_S5_, .Lfunc_end39-_ZL33flash_attn_stream_k_fixup_generalILi128ELi16ELi2EEvPfPK15HIP_vector_typeIfLj2EEiiiiS1_IjLj3EES5_S5_S5_
                                        ; -- End function
	.set _ZL33flash_attn_stream_k_fixup_generalILi128ELi16ELi2EEvPfPK15HIP_vector_typeIfLj2EEiiiiS1_IjLj3EES5_S5_S5_.num_vgpr, 9
	.set _ZL33flash_attn_stream_k_fixup_generalILi128ELi16ELi2EEvPfPK15HIP_vector_typeIfLj2EEiiiiS1_IjLj3EES5_S5_S5_.num_agpr, 0
	.set _ZL33flash_attn_stream_k_fixup_generalILi128ELi16ELi2EEvPfPK15HIP_vector_typeIfLj2EEiiiiS1_IjLj3EES5_S5_S5_.numbered_sgpr, 44
	.set _ZL33flash_attn_stream_k_fixup_generalILi128ELi16ELi2EEvPfPK15HIP_vector_typeIfLj2EEiiiiS1_IjLj3EES5_S5_S5_.num_named_barrier, 0
	.set _ZL33flash_attn_stream_k_fixup_generalILi128ELi16ELi2EEvPfPK15HIP_vector_typeIfLj2EEiiiiS1_IjLj3EES5_S5_S5_.private_seg_size, 0
	.set _ZL33flash_attn_stream_k_fixup_generalILi128ELi16ELi2EEvPfPK15HIP_vector_typeIfLj2EEiiiiS1_IjLj3EES5_S5_S5_.uses_vcc, 1
	.set _ZL33flash_attn_stream_k_fixup_generalILi128ELi16ELi2EEvPfPK15HIP_vector_typeIfLj2EEiiiiS1_IjLj3EES5_S5_S5_.uses_flat_scratch, 0
	.set _ZL33flash_attn_stream_k_fixup_generalILi128ELi16ELi2EEvPfPK15HIP_vector_typeIfLj2EEiiiiS1_IjLj3EES5_S5_S5_.has_dyn_sized_stack, 0
	.set _ZL33flash_attn_stream_k_fixup_generalILi128ELi16ELi2EEvPfPK15HIP_vector_typeIfLj2EEiiiiS1_IjLj3EES5_S5_S5_.has_recursion, 0
	.set _ZL33flash_attn_stream_k_fixup_generalILi128ELi16ELi2EEvPfPK15HIP_vector_typeIfLj2EEiiiiS1_IjLj3EES5_S5_S5_.has_indirect_call, 0
	.section	.AMDGPU.csdata,"",@progbits
; Kernel info:
; codeLenInByte = 3548
; TotalNumSgprs: 46
; NumVgprs: 9
; ScratchSize: 0
; MemoryBound: 0
; FloatMode: 240
; IeeeMode: 1
; LDSByteSize: 0 bytes/workgroup (compile time only)
; SGPRBlocks: 0
; VGPRBlocks: 1
; NumSGPRsForWavesPerEU: 46
; NumVGPRsForWavesPerEU: 9
; Occupancy: 16
; WaveLimiterHint : 0
; COMPUTE_PGM_RSRC2:SCRATCH_EN: 0
; COMPUTE_PGM_RSRC2:USER_SGPR: 2
; COMPUTE_PGM_RSRC2:TRAP_HANDLER: 0
; COMPUTE_PGM_RSRC2:TGID_X_EN: 1
; COMPUTE_PGM_RSRC2:TGID_Y_EN: 1
; COMPUTE_PGM_RSRC2:TGID_Z_EN: 1
; COMPUTE_PGM_RSRC2:TIDIG_COMP_CNT: 0
	.section	.text._ZL15flash_attn_tileILi128ELi128ELi8ELi2ELb0EEvPKcS1_S1_S1_S1_PKiPfP15HIP_vector_typeIfLj2EEffffjfiS5_IjLj3EEiiiiiiiiiiiliiliiiiil,"axG",@progbits,_ZL15flash_attn_tileILi128ELi128ELi8ELi2ELb0EEvPKcS1_S1_S1_S1_PKiPfP15HIP_vector_typeIfLj2EEffffjfiS5_IjLj3EEiiiiiiiiiiiliiliiiiil,comdat
	.globl	_ZL15flash_attn_tileILi128ELi128ELi8ELi2ELb0EEvPKcS1_S1_S1_S1_PKiPfP15HIP_vector_typeIfLj2EEffffjfiS5_IjLj3EEiiiiiiiiiiiliiliiiiil ; -- Begin function _ZL15flash_attn_tileILi128ELi128ELi8ELi2ELb0EEvPKcS1_S1_S1_S1_PKiPfP15HIP_vector_typeIfLj2EEffffjfiS5_IjLj3EEiiiiiiiiiiiliiliiiiil
	.p2align	8
	.type	_ZL15flash_attn_tileILi128ELi128ELi8ELi2ELb0EEvPKcS1_S1_S1_S1_PKiPfP15HIP_vector_typeIfLj2EEffffjfiS5_IjLj3EEiiiiiiiiiiiliiliiiiil,@function
_ZL15flash_attn_tileILi128ELi128ELi8ELi2ELb0EEvPKcS1_S1_S1_S1_PKiPfP15HIP_vector_typeIfLj2EEffffjfiS5_IjLj3EEiiiiiiiiiiiliiliiiiil: ; @_ZL15flash_attn_tileILi128ELi128ELi8ELi2ELb0EEvPKcS1_S1_S1_S1_PKiPfP15HIP_vector_typeIfLj2EEffffjfiS5_IjLj3EEiiiiiiiiiiiliiliiiiil
; %bb.0:
	s_clause 0x1
	s_load_b128 s[20:23], s[0:1], 0x5c
	s_load_b64 s[34:35], s[0:1], 0x80
	s_lshr_b32 s5, ttmp7, 16
	s_load_b64 s[38:39], s[0:1], 0xb8
	s_mov_b64 s[36:37], 0
	s_wait_kmcnt 0x0
	s_lshr_b32 s2, s23, 31
	s_delay_alu instid0(SALU_CYCLE_1) | instskip(NEXT) | instid1(SALU_CYCLE_1)
	s_add_co_i32 s2, s23, s2
	s_ashr_i32 s2, s2, 1
	s_delay_alu instid0(SALU_CYCLE_1) | instskip(SKIP_1) | instid1(SALU_CYCLE_2)
	s_cvt_f32_u32 s3, s2
	s_sub_co_i32 s4, 0, s2
	v_rcp_iflag_f32_e32 v1, s3
	s_delay_alu instid0(TRANS32_DEP_1) | instskip(SKIP_2) | instid1(SALU_CYCLE_2)
	v_readfirstlane_b32 s3, v1
	s_mul_f32 s3, s3, 0x4f7ffffe
	s_wait_alu 0xfffe
	s_cvt_u32_f32 s3, s3
	s_wait_alu 0xfffe
	s_delay_alu instid0(SALU_CYCLE_2) | instskip(NEXT) | instid1(SALU_CYCLE_1)
	s_mul_i32 s4, s4, s3
	s_mul_hi_u32 s4, s3, s4
	s_delay_alu instid0(SALU_CYCLE_1)
	s_add_co_i32 s3, s3, s4
	s_wait_alu 0xfffe
	s_mul_hi_u32 s3, s5, s3
	s_wait_alu 0xfffe
	s_mul_i32 s4, s3, s2
	s_add_co_i32 s6, s3, 1
	s_sub_co_i32 s4, s5, s4
	s_delay_alu instid0(SALU_CYCLE_1)
	s_sub_co_i32 s7, s4, s2
	s_cmp_ge_u32 s4, s2
	s_cselect_b32 s3, s6, s3
	s_cselect_b32 s4, s7, s4
	s_wait_alu 0xfffe
	s_add_co_i32 s6, s3, 1
	s_cmp_ge_u32 s4, s2
	s_cselect_b32 s28, s6, s3
	s_abs_i32 s2, s35
	s_abs_i32 s7, s23
	s_wait_alu 0xfffe
	s_cvt_f32_u32 s3, s2
	s_sub_co_i32 s4, 0, s2
	s_lshl_b32 s5, s5, 1
	s_mul_i32 s6, s28, s23
	s_wait_alu 0xfffe
	v_rcp_iflag_f32_e32 v1, s3
	s_sub_co_i32 s30, s5, s6
	s_delay_alu instid0(TRANS32_DEP_1) | instskip(SKIP_2) | instid1(SALU_CYCLE_2)
	v_readfirstlane_b32 s3, v1
	s_mul_f32 s3, s3, 0x4f7ffffe
	s_wait_alu 0xfffe
	s_cvt_u32_f32 s3, s3
	s_wait_alu 0xfffe
	s_delay_alu instid0(SALU_CYCLE_2) | instskip(NEXT) | instid1(SALU_CYCLE_1)
	s_mul_i32 s4, s4, s3
	s_mul_hi_u32 s4, s3, s4
	s_delay_alu instid0(SALU_CYCLE_1)
	s_add_co_i32 s3, s3, s4
	s_xor_b32 s4, s23, s35
	s_wait_alu 0xfffe
	s_mul_hi_u32 s3, s7, s3
	s_ashr_i32 s24, s4, 31
	s_wait_alu 0xfffe
	s_mul_i32 s5, s3, s2
	s_delay_alu instid0(SALU_CYCLE_1)
	s_sub_co_i32 s4, s7, s5
	s_add_co_i32 s5, s3, 1
	s_sub_co_i32 s6, s4, s2
	s_cmp_ge_u32 s4, s2
	s_cselect_b32 s3, s5, s3
	s_cselect_b32 s4, s6, s4
	s_wait_alu 0xfffe
	s_add_co_i32 s5, s3, 1
	s_cmp_ge_u32 s4, s2
	s_cselect_b32 s2, s5, s3
	s_load_b512 s[4:19], s[0:1], 0x0
	s_xor_b32 s2, s2, s24
	s_mov_b32 s3, 0
	s_wait_alu 0xfffe
	s_sub_co_i32 s33, s2, s24
	s_delay_alu instid0(SALU_CYCLE_1) | instskip(NEXT) | instid1(SALU_CYCLE_1)
	s_abs_i32 s31, s33
	s_cvt_f32_u32 s2, s31
	s_wait_alu 0xfffe
	s_delay_alu instid0(SALU_CYCLE_2) | instskip(SKIP_2) | instid1(TRANS32_DEP_1)
	v_rcp_iflag_f32_e32 v1, s2
	s_wait_kmcnt 0x0
	s_cmp_eq_u64 s[10:11], 0
	v_readfirstlane_b32 s2, v1
	s_cbranch_scc1 .LBB40_2
; %bb.1:
	s_abs_i32 s26, s38
	s_delay_alu instid0(SALU_CYCLE_1) | instskip(NEXT) | instid1(SALU_CYCLE_3)
	s_cvt_f32_u32 s24, s26
	v_rcp_iflag_f32_e32 v1, s24
	s_delay_alu instid0(TRANS32_DEP_1) | instskip(SKIP_2) | instid1(SALU_CYCLE_2)
	v_readfirstlane_b32 s24, v1
	s_mul_f32 s24, s24, 0x4f7ffffe
	s_wait_alu 0xfffe
	s_cvt_u32_f32 s27, s24
	s_sub_co_i32 s24, 0, s26
	s_wait_alu 0xfffe
	s_delay_alu instid0(SALU_CYCLE_1) | instskip(SKIP_4) | instid1(SALU_CYCLE_1)
	s_mul_i32 s24, s24, s27
	s_wait_alu 0xfffe
	s_mul_hi_u32 s29, s27, s24
	s_load_b64 s[24:25], s[0:1], 0xc8
	s_add_co_i32 s27, s27, s29
	s_mul_hi_u32 s27, s28, s27
	s_delay_alu instid0(SALU_CYCLE_1) | instskip(NEXT) | instid1(SALU_CYCLE_1)
	s_mul_i32 s27, s27, s26
	s_sub_co_i32 s27, s28, s27
	s_delay_alu instid0(SALU_CYCLE_1) | instskip(SKIP_2) | instid1(SALU_CYCLE_1)
	s_sub_co_i32 s29, s27, s26
	s_cmp_ge_u32 s27, s26
	s_cselect_b32 s27, s29, s27
	s_sub_co_i32 s29, s27, s26
	s_cmp_ge_u32 s27, s26
	s_cselect_b32 s26, s29, s27
	s_delay_alu instid0(SALU_CYCLE_1)
	s_ashr_i32 s27, s26, 31
	s_wait_kmcnt 0x0
	s_mul_u64 s[24:25], s[24:25], s[26:27]
	s_wait_alu 0xfffe
	s_add_nc_u64 s[36:37], s[10:11], s[24:25]
.LBB40_2:
	v_bfe_u32 v2, v0, 10, 10
	s_load_b96 s[24:26], s[0:1], 0x70
	v_and_b32_e32 v21, 0x3ff, v0
	s_delay_alu instid0(VALU_DEP_2) | instskip(NEXT) | instid1(VALU_DEP_2)
	v_lshl_add_u32 v20, ttmp9, 3, v2
	v_lshlrev_b32_e32 v0, 4, v21
	v_lshlrev_b32_e32 v174, 3, v21
	s_delay_alu instid0(VALU_DEP_3) | instskip(NEXT) | instid1(VALU_DEP_1)
	v_mul_hi_u32 v1, s20, v20
	v_add_nc_u32_e32 v1, v20, v1
	s_wait_kmcnt 0x0
	s_ashr_i32 s11, s24, 31
	s_mov_b32 s10, s24
	s_delay_alu instid0(VALU_DEP_1) | instskip(SKIP_2) | instid1(VALU_DEP_1)
	v_lshrrev_b32_e32 v1, s21, v1
	s_lshr_b64 s[20:21], s[10:11], 2
	s_lshr_b32 s10, s11, 2
	v_mul_lo_u32 v1, v1, s22
	s_delay_alu instid0(VALU_DEP_1) | instskip(SKIP_1) | instid1(VALU_DEP_1)
	v_sub_nc_u32_e32 v1, v20, v1
	s_wait_alu 0xfffe
	v_mad_co_u64_u32 v[3:4], null, s20, v1, 0
	s_mul_i32 s20, s30, s25
	s_wait_alu 0xfffe
	s_ashr_i32 s21, s20, 31
	v_mad_co_u64_u32 v[4:5], null, s10, v1, v[4:5]
	s_mul_i32 s10, s28, s26
	s_wait_alu 0xfffe
	s_ashr_i32 s11, s10, 31
	s_wait_alu 0xfffe
	s_add_nc_u64 s[4:5], s[4:5], s[10:11]
	s_delay_alu instid0(SALU_CYCLE_1) | instskip(SKIP_1) | instid1(VALU_DEP_1)
	s_add_nc_u64 s[4:5], s[4:5], s[20:21]
	v_lshlrev_b64_e32 v[3:4], 2, v[3:4]
	v_add_co_u32 v3, vcc_lo, s4, v3
	s_delay_alu instid0(VALU_DEP_1)
	v_add_co_ci_u32_e64 v4, null, s5, v4, vcc_lo
	s_and_b32 s5, s25, -4
	v_add_co_u32 v7, vcc_lo, v3, v0
	s_wait_alu 0xfffd
	v_add_co_ci_u32_e64 v8, null, 0, v4, vcc_lo
	s_ashr_i32 s4, s25, 31
	v_lshlrev_b32_e32 v0, 9, v2
	s_cmp_eq_u64 s[14:15], 0
	global_load_b128 v[3:6], v[7:8], off
	s_wait_alu 0xfffe
	v_add_co_u32 v7, vcc_lo, v7, s5
	s_wait_alu 0xfffd
	v_add_co_ci_u32_e64 v8, null, s4, v8, vcc_lo
	s_load_b32 s4, s[0:1], 0x40
	v_add_nc_u32_e32 v175, 0x9800, v0
	global_load_b128 v[7:10], v[7:8], off
	s_wait_loadcnt 0x1
	s_wait_kmcnt 0x0
	v_fma_mixlo_f16 v4, s4, v4, 0
	v_fma_mixlo_f16 v3, s4, v3, 0
	;; [unrolled: 1-line block ×4, first 2 shown]
	s_delay_alu instid0(VALU_DEP_4) | instskip(NEXT) | instid1(VALU_DEP_4)
	v_lshlrev_b32_e32 v4, 16, v4
	v_and_b32_e32 v3, 0xffff, v3
	s_delay_alu instid0(VALU_DEP_4)
	v_and_b32_e32 v5, 0xffff, v5
	s_wait_loadcnt 0x0
	v_fma_mixlo_f16 v8, s4, v8, 0
	v_fma_mixlo_f16 v7, s4, v7, 0
	;; [unrolled: 1-line block ×4, first 2 shown]
	v_lshlrev_b32_e32 v6, 16, v6
	v_lshlrev_b32_e32 v8, 16, v8
	v_and_b32_e32 v7, 0xffff, v7
	v_or_b32_e32 v3, v4, v3
	v_lshlrev_b32_e32 v10, 16, v10
	v_and_b32_e32 v9, 0xffff, v9
	v_or3_b32 v4, v6, v5, 0
	v_or_b32_e32 v7, v8, v7
	v_add_nc_u32_e32 v8, v175, v174
	v_or3_b32 v3, 0, 0, v3
	v_or3_b32 v6, v10, v9, 0
	s_delay_alu instid0(VALU_DEP_4)
	v_or3_b32 v5, 0, 0, v7
	ds_store_2addr_b64 v8, v[3:4], v[5:6] offset1:32
	s_wait_dscnt 0x0
	s_barrier_signal -1
	s_barrier_wait -1
	global_inv scope:SCOPE_SE
	s_cbranch_scc1 .LBB40_4
; %bb.3:
	s_load_b32 s4, s[0:1], 0xd0
	s_mov_b32 s5, 0
	s_wait_kmcnt 0x0
	s_mul_i32 s4, s4, s28
	s_wait_alu 0xfffe
	s_add_co_i32 s4, s4, ttmp9
	s_wait_alu 0xfffe
	s_lshl_b64 s[4:5], s[4:5], 2
	s_wait_alu 0xfffe
	s_add_nc_u64 s[4:5], s[14:15], s[4:5]
	s_load_b32 s34, s[4:5], 0x0
.LBB40_4:
	s_and_b32 s14, ttmp7, 0xffff
	v_mbcnt_lo_u32_b32 v176, -1, 0
	s_lshl_b32 s20, s14, 7
	s_wait_kmcnt 0x0
	s_wait_alu 0xfffe
	s_cmp_lt_i32 s20, s34
	s_cbranch_scc1 .LBB40_7
; %bb.5:
	v_mbcnt_lo_u32_b32 v3, -1, 0
	v_mov_b32_e32 v6, 32
	s_delay_alu instid0(VALU_DEP_2)
	v_xor_b32_e32 v184, 16, v3
	v_xor_b32_e32 v182, 8, v3
	;; [unrolled: 1-line block ×5, first 2 shown]
	v_lshlrev_b32_e32 v33, 2, v21
	s_mov_b32 s29, 0
	s_cbranch_execz .LBB40_8
; %bb.6:
	v_dual_mov_b32 v38, 0 :: v_dual_mov_b32 v171, 0xfeffffff
	v_dual_mov_b32 v100, 0 :: v_dual_mov_b32 v219, 0
	;; [unrolled: 1-line block ×4, first 2 shown]
	s_branch .LBB40_11
.LBB40_7:
                                        ; implicit-def: $vgpr3
                                        ; implicit-def: $vgpr6
                                        ; implicit-def: $vgpr184
                                        ; implicit-def: $vgpr182
                                        ; implicit-def: $vgpr181
                                        ; implicit-def: $vgpr180
                                        ; implicit-def: $vgpr178
	v_lshlrev_b32_e32 v33, 2, v21
	s_mov_b32 s29, 0
.LBB40_8:
	scratch_store_b64 off, v[20:21], off offset:132 ; 8-byte Folded Spill
	s_mul_f32 s2, s2, 0x4f7ffffe
	s_clause 0x1
	s_load_b128 s[24:27], s[0:1], 0x98
	s_load_b64 s[4:5], s[0:1], 0x8c
	s_sub_co_i32 s15, 0, s31
	s_mov_b32 s11, s3
	s_cvt_u32_f32 s10, s2
	s_abs_i32 s2, s30
	v_lshrrev_b32_e32 v3, 4, v21
	s_ashr_i32 s21, s30, 31
	s_wait_alu 0xfffe
	s_mul_i32 s15, s15, s10
	s_ashr_i32 s33, s33, 31
	s_mul_hi_u32 s15, s10, s15
	v_lshl_add_u32 v13, v2, 1, v3
	s_add_co_i32 s10, s10, s15
	s_xor_b32 s15, s21, s33
	s_wait_alu 0xfffe
	s_mul_u64 s[10:11], s[2:3], s[10:11]
	s_ashr_i32 s10, s39, 1
	s_wait_alu 0xfffe
	s_mul_i32 s3, s11, s31
	s_add_co_i32 s21, s11, 1
	s_wait_alu 0xfffe
	s_sub_co_i32 s2, s2, s3
	s_load_b64 s[40:41], s[0:1], 0xa8
	s_wait_kmcnt 0x0
	s_ashr_i32 s26, s26, 2
	s_ashr_i32 s38, s4, 2
	s_sub_co_i32 s3, s2, s31
	s_cmp_ge_u32 s2, s31
	v_mul_lo_u32 v2, s38, v13
	s_cselect_b32 s4, s21, s11
	s_wait_alu 0xfffe
	s_cselect_b32 s2, s3, s2
	s_add_co_i32 s3, s4, 1
	s_wait_alu 0xfffe
	s_cmp_ge_u32 s2, s31
	v_and_b32_e32 v32, 60, v33
	s_cselect_b32 s4, s3, s4
	s_mul_u64 s[2:3], s[24:25], s[28:29]
	s_wait_alu 0xfffe
	s_xor_b32 s4, s4, s15
	v_dual_mov_b32 v36, 0 :: v_dual_lshlrev_b32 v17, 2, v32
	s_wait_alu 0xfffe
	s_sub_co_i32 s11, s4, s15
	s_lshl_b32 s15, s38, 4
	s_delay_alu instid0(SALU_CYCLE_1)
	v_dual_mov_b32 v171, 0xfeffffff :: v_dual_add_nc_u32 v4, s15, v2
	v_mov_b32_e32 v37, 0
	s_wait_alu 0xfffe
	s_mul_i32 s4, s11, s5
	v_mad_u32_u24 v23, 0x110, v13, v17
	v_lshl_or_b32 v31, v13, 8, v17
	v_dual_mov_b32 v39, 0 :: v_dual_add_nc_u32 v6, s15, v4
	s_add_nc_u64 s[2:3], s[6:7], s[2:3]
	s_wait_alu 0xfffe
	s_ashr_i32 s5, s4, 31
	v_mul_lo_u32 v12, s26, v13
	v_dual_mov_b32 v219, 0 :: v_dual_add_nc_u32 v8, s15, v6
	s_mul_u64 s[6:7], s[40:41], s[28:29]
	s_wait_alu 0xfffe
	s_add_nc_u64 s[24:25], s[2:3], s[4:5]
	s_mul_i32 s2, s11, s27
	v_add_nc_u32_e32 v10, s15, v8
	v_ashrrev_i32_e32 v3, 31, v2
	v_dual_mov_b32 v38, 0 :: v_dual_add_nc_u32 v5, 0x1100, v23
	v_add_nc_u32_e32 v193, 0x8800, v0
	s_delay_alu instid0(VALU_DEP_4)
	v_add_nc_u32_e32 v14, s15, v10
	v_add_nc_u32_e32 v0, 0x1000, v31
	s_add_nc_u64 s[4:5], s[8:9], s[6:7]
	s_wait_alu 0xfffe
	s_ashr_i32 s3, s2, 31
	v_lshlrev_b64_e32 v[2:3], 2, v[2:3]
	v_add_nc_u32_e32 v18, s15, v14
	s_wait_alu 0xfffe
	s_add_nc_u64 s[40:41], s[4:5], s[2:3]
	s_lshl_b32 s2, s26, 4
	v_dual_mov_b32 v100, 0 :: v_dual_add_nc_u32 v7, 0x2200, v23
	v_add_nc_u32_e32 v22, s15, v18
	s_clause 0x1
	scratch_store_b32 off, v5, off offset:4
	scratch_store_b32 off, v23, off
	v_ashrrev_i32_e32 v5, 31, v4
	s_wait_alu 0xfffe
	v_add_nc_u32_e32 v16, s2, v12
	v_mad_co_u64_u32 v[27:28], null, v1, s10, v[21:22]
	v_add_nc_u32_e32 v1, 0x2000, v31
	v_mov_b32_e32 v13, v21
	s_clause 0x1
	scratch_store_b32 off, v0, off offset:44
	scratch_store_b32 off, v31, off offset:32
	v_add_nc_u32_e32 v29, 0x6000, v31
	s_clause 0x1
	scratch_store_b32 off, v1, off offset:48
	scratch_store_b64 off, v[27:28], off offset:36
	v_add_nc_u32_e32 v1, 0x3000, v31
	v_add_nc_u32_e32 v20, s2, v16
	scratch_store_b64 off, v[2:3], off offset:72 ; 8-byte Folded Spill
	v_lshlrev_b64_e32 v[2:3], 2, v[4:5]
	v_add_nc_u32_e32 v9, 0x3300, v23
	s_clause 0x2
	scratch_store_b32 off, v1, off offset:52
	scratch_store_b64 off, v[13:14], off offset:140
	scratch_store_b32 off, v7, off offset:8
	v_ashrrev_i32_e32 v7, 31, v6
	v_add_nc_u32_e32 v1, 0x4000, v31
	v_add_nc_u32_e32 v24, s2, v20
	s_clause 0x1
	scratch_store_b64 off, v[2:3], off offset:80
	scratch_store_b32 off, v33, off offset:148
	v_lshlrev_b64_e32 v[2:3], 2, v[6:7]
	scratch_store_b32 off, v1, off offset:56 ; 4-byte Folded Spill
	v_add_nc_u32_e32 v11, 0x4400, v23
	scratch_store_b32 off, v9, off offset:12 ; 4-byte Folded Spill
	v_ashrrev_i32_e32 v9, 31, v8
	v_add_nc_u32_e32 v1, 0x5000, v31
	v_add_nc_u32_e32 v31, 0x7000, v31
	;; [unrolled: 1-line block ×3, first 2 shown]
	scratch_store_b64 off, v[2:3], off offset:88 ; 8-byte Folded Spill
	v_lshlrev_b64_e32 v[2:3], 2, v[8:9]
	s_clause 0x1
	scratch_store_b32 off, v1, off offset:60
	scratch_store_b32 off, v31, off offset:68
	v_add_nc_u32_e32 v15, 0x5500, v23
	scratch_store_b32 off, v11, off offset:16 ; 4-byte Folded Spill
	v_ashrrev_i32_e32 v11, 31, v10
	v_add_nc_u32_e32 v0, s2, v26
	scratch_store_b64 off, v[2:3], off offset:96 ; 8-byte Folded Spill
	v_add_nc_u32_e32 v19, 0x6600, v23
	scratch_store_b32 off, v15, off offset:20 ; 4-byte Folded Spill
	v_lshlrev_b64_e32 v[2:3], 2, v[10:11]
	v_ashrrev_i32_e32 v15, 31, v14
	v_add_nc_u32_e32 v28, s2, v0
	v_add_nc_u32_e32 v23, 0x7700, v23
	scratch_store_b32 off, v19, off offset:24 ; 4-byte Folded Spill
	v_ashrrev_i32_e32 v19, 31, v18
	scratch_store_b64 off, v[2:3], off offset:104 ; 8-byte Folded Spill
	v_lshlrev_b64_e32 v[2:3], 2, v[14:15]
	v_add_nc_u32_e32 v30, s2, v28
	scratch_store_b32 off, v23, off offset:28 ; 4-byte Folded Spill
	v_ashrrev_i32_e32 v23, 31, v22
	v_mul_u32_u24_e32 v191, 0x110, v21
	v_ashrrev_i32_e32 v13, 31, v12
	v_ashrrev_i32_e32 v17, 31, v16
	v_ashrrev_i32_e32 v21, 31, v20
	v_ashrrev_i32_e32 v25, 31, v24
	v_ashrrev_i32_e32 v27, 31, v26
	v_ashrrev_i32_e32 v1, 31, v0
	scratch_store_b32 off, v29, off offset:64 ; 4-byte Folded Spill
	v_ashrrev_i32_e32 v29, 31, v28
	v_ashrrev_i32_e32 v31, 31, v30
	scratch_store_b64 off, v[2:3], off offset:112 ; 8-byte Folded Spill
	v_lshlrev_b64_e32 v[2:3], 2, v[18:19]
	v_lshlrev_b64_e32 v[153:154], 2, v[22:23]
	;; [unrolled: 1-line block ×10, first 2 shown]
	v_dual_mov_b32 v172, 0xfeffffff :: v_dual_lshlrev_b32 v201, 2, v32
	scratch_store_b64 off, v[2:3], off offset:120 ; 8-byte Folded Spill
	v_xor_b32_e32 v184, 16, v176
	v_xor_b32_e32 v182, 8, v176
	;; [unrolled: 1-line block ×5, first 2 shown]
	v_add_nc_u32_e32 v2, v193, v33
	s_ashr_i32 s39, s38, 31
	s_ashr_i32 s27, s26, 31
	s_add_nc_u64 s[42:43], s[0:1], 0xd0
	scratch_store_b32 off, v2, off offset:128 ; 4-byte Folded Spill
.LBB40_9:                               ; =>This Inner Loop Header: Depth=1
	s_clause 0x3
	scratch_load_b64 v[0:1], off, off offset:36
	scratch_load_b64 v[6:7], off, off offset:88
	;; [unrolled: 1-line block ×4, first 2 shown]
	v_cmp_gt_i32_e32 vcc_lo, 32, v184
	v_mov_b32_e32 v26, 0
	s_ashr_i32 s21, s20, 31
	v_dual_mov_b32 v20, 0 :: v_dual_mov_b32 v23, 0
	s_wait_loadcnt 0x3
	s_wait_alu 0xfffd
	v_cndmask_b32_e32 v1, v176, v184, vcc_lo
	v_cmp_gt_i32_e32 vcc_lo, 32, v182
	s_wait_alu 0xfffe
	s_mul_u64 s[2:3], s[20:21], s[38:39]
	s_mul_u64 s[4:5], s[20:21], s[26:27]
	s_wait_alu 0xfffe
	s_lshl_b64 s[2:3], s[2:3], 2
	s_lshl_b64 s[4:5], s[4:5], 2
	s_wait_alu 0xfffd
	v_cndmask_b32_e32 v2, v176, v182, vcc_lo
	v_cmp_gt_i32_e32 vcc_lo, 32, v181
	s_wait_alu 0xfffe
	s_add_nc_u64 s[2:3], s[24:25], s[2:3]
	s_add_nc_u64 s[4:5], s[40:41], s[4:5]
	v_dual_mov_b32 v18, v172 :: v_dual_mov_b32 v21, 0
	v_dual_mov_b32 v22, 0 :: v_dual_mov_b32 v25, 0
	;; [unrolled: 1-line block ×4, first 2 shown]
	s_wait_alu 0xfffd
	v_cndmask_b32_e32 v3, v176, v181, vcc_lo
	v_cmp_gt_i32_e32 vcc_lo, 32, v180
	v_lshlrev_b32_e32 v32, 2, v1
	s_clause 0x1
	scratch_load_b64 v[8:9], off, off offset:96
	scratch_load_b64 v[12:13], off, off offset:112
	v_lshlrev_b32_e32 v30, 2, v3
	s_wait_alu 0xfffd
	v_cndmask_b32_e32 v4, v176, v180, vcc_lo
	v_cmp_gt_i32_e32 vcc_lo, 32, v178
	v_add_nc_u32_e32 v118, 0x1000, v174
	s_delay_alu instid0(VALU_DEP_3)
	v_lshlrev_b32_e32 v29, 2, v4
	s_wait_alu 0xfffd
	v_cndmask_b32_e32 v5, v176, v178, vcc_lo
	v_lshlrev_b32_e32 v31, 2, v2
	scratch_load_b64 v[2:3], off, off offset:72 ; 8-byte Folded Reload
	v_lshlrev_b32_e32 v28, 2, v5
	scratch_load_b64 v[4:5], off, off offset:80 ; 8-byte Folded Reload
	v_add_nc_u32_e32 v0, s20, v0
	s_delay_alu instid0(VALU_DEP_1) | instskip(NEXT) | instid1(VALU_DEP_1)
	v_ashrrev_i32_e32 v1, 31, v0
	v_lshlrev_b64_e32 v[0:1], 1, v[0:1]
	s_wait_loadcnt 0x1
	s_wait_alu 0xfffe
	v_add_co_u32 v2, vcc_lo, s2, v2
	s_wait_alu 0xfffd
	v_add_co_ci_u32_e64 v3, null, s3, v3, vcc_lo
	s_wait_loadcnt 0x0
	v_add_co_u32 v4, vcc_lo, s2, v4
	s_wait_alu 0xfffd
	v_add_co_ci_u32_e64 v5, null, s3, v5, vcc_lo
	v_add_co_u32 v6, vcc_lo, s2, v6
	s_wait_alu 0xfffd
	v_add_co_ci_u32_e64 v7, null, s3, v7, vcc_lo
	;; [unrolled: 3-line block ×32, first 2 shown]
	s_clause 0x7
	global_load_b128 v[40:43], v[33:34], off
	global_load_b128 v[45:48], v[45:46], off
	;; [unrolled: 1-line block ×8, first 2 shown]
	scratch_load_b32 v33, off, off          ; 4-byte Folded Reload
	s_wait_loadcnt 0x0
	ds_store_b128 v33, v[40:43]
	scratch_load_b32 v33, off, off offset:4 ; 4-byte Folded Reload
	s_wait_loadcnt 0x0
	ds_store_b128 v33, v[45:48]
	scratch_load_b32 v33, off, off offset:8 ; 4-byte Folded Reload
	;; [unrolled: 3-line block ×7, first 2 shown]
	s_wait_loadcnt 0x0
	ds_store_b128 v33, v[69:72]
	s_wait_storecnt_dscnt 0x0
	s_barrier_signal -1
	s_barrier_wait -1
	global_inv scope:SCOPE_SE
	ds_load_b128 v[40:43], v191
	ds_load_b128 v[45:48], v175
	ds_load_b128 v[49:52], v175 offset:256
	ds_load_b128 v[53:56], v191 offset:8704
	;; [unrolled: 1-line block ×4, first 2 shown]
	s_wait_dscnt 0x4
	;;#ASMSTART
	v_dot2_f32_f16 v20, v40, v45, v20
	;;#ASMEND
	;;#ASMSTART
	v_dot2_f32_f16 v20, v41, v46, v20
	;;#ASMEND
	;;#ASMSTART
	v_dot2_f32_f16 v20, v42, v47, v20
	;;#ASMEND
	;;#ASMSTART
	v_dot2_f32_f16 v20, v43, v48, v20
	;;#ASMEND
	s_wait_dscnt 0x3
	;;#ASMSTART
	v_dot2_f32_f16 v21, v40, v49, v21
	;;#ASMEND
	;;#ASMSTART
	v_dot2_f32_f16 v21, v41, v50, v21
	;;#ASMEND
	;;#ASMSTART
	v_dot2_f32_f16 v21, v42, v51, v21
	;;#ASMEND
	;;#ASMSTART
	v_dot2_f32_f16 v21, v43, v52, v21
	;;#ASMEND
	;; [unrolled: 13-line block ×3, first 2 shown]
	;;#ASMSTART
	v_dot2_f32_f16 v23, v53, v49, v23
	;;#ASMEND
	;;#ASMSTART
	v_dot2_f32_f16 v23, v54, v50, v23
	;;#ASMEND
	;; [unrolled: 3-line block ×4, first 2 shown]
	s_wait_dscnt 0x1
	;;#ASMSTART
	v_dot2_f32_f16 v24, v57, v45, v24
	;;#ASMEND
	;;#ASMSTART
	v_dot2_f32_f16 v24, v58, v46, v24
	;;#ASMEND
	;; [unrolled: 3-line block ×8, first 2 shown]
	s_wait_dscnt 0x0
	;;#ASMSTART
	v_dot2_f32_f16 v26, v61, v45, v26
	;;#ASMEND
	;;#ASMSTART
	v_dot2_f32_f16 v26, v62, v46, v26
	;;#ASMEND
	;; [unrolled: 3-line block ×8, first 2 shown]
	ds_load_b128 v[40:43], v191 offset:16
	ds_load_b128 v[45:48], v175 offset:16
	;; [unrolled: 1-line block ×6, first 2 shown]
	s_wait_dscnt 0x4
	;;#ASMSTART
	v_dot2_f32_f16 v20, v40, v45, v20
	;;#ASMEND
	;;#ASMSTART
	v_dot2_f32_f16 v20, v41, v46, v20
	;;#ASMEND
	;;#ASMSTART
	v_dot2_f32_f16 v20, v42, v47, v20
	;;#ASMEND
	;;#ASMSTART
	v_dot2_f32_f16 v20, v43, v48, v20
	;;#ASMEND
	s_wait_dscnt 0x3
	;;#ASMSTART
	v_dot2_f32_f16 v21, v40, v49, v21
	;;#ASMEND
	;;#ASMSTART
	v_dot2_f32_f16 v21, v41, v50, v21
	;;#ASMEND
	;;#ASMSTART
	v_dot2_f32_f16 v21, v42, v51, v21
	;;#ASMEND
	;;#ASMSTART
	v_dot2_f32_f16 v21, v43, v52, v21
	;;#ASMEND
	;; [unrolled: 13-line block ×3, first 2 shown]
	;;#ASMSTART
	v_dot2_f32_f16 v23, v53, v49, v23
	;;#ASMEND
	;;#ASMSTART
	v_dot2_f32_f16 v23, v54, v50, v23
	;;#ASMEND
	;; [unrolled: 3-line block ×4, first 2 shown]
	s_wait_dscnt 0x1
	;;#ASMSTART
	v_dot2_f32_f16 v24, v57, v45, v24
	;;#ASMEND
	;;#ASMSTART
	v_dot2_f32_f16 v24, v58, v46, v24
	;;#ASMEND
	;; [unrolled: 3-line block ×8, first 2 shown]
	s_wait_dscnt 0x0
	;;#ASMSTART
	v_dot2_f32_f16 v26, v61, v45, v26
	;;#ASMEND
	;;#ASMSTART
	v_dot2_f32_f16 v26, v62, v46, v26
	;;#ASMEND
	;; [unrolled: 3-line block ×8, first 2 shown]
	ds_load_b128 v[40:43], v191 offset:32
	ds_load_b128 v[45:48], v175 offset:32
	;; [unrolled: 1-line block ×6, first 2 shown]
	s_wait_dscnt 0x4
	;;#ASMSTART
	v_dot2_f32_f16 v20, v40, v45, v20
	;;#ASMEND
	;;#ASMSTART
	v_dot2_f32_f16 v20, v41, v46, v20
	;;#ASMEND
	;;#ASMSTART
	v_dot2_f32_f16 v20, v42, v47, v20
	;;#ASMEND
	;;#ASMSTART
	v_dot2_f32_f16 v20, v43, v48, v20
	;;#ASMEND
	s_wait_dscnt 0x3
	;;#ASMSTART
	v_dot2_f32_f16 v21, v40, v49, v21
	;;#ASMEND
	;;#ASMSTART
	v_dot2_f32_f16 v21, v41, v50, v21
	;;#ASMEND
	;;#ASMSTART
	v_dot2_f32_f16 v21, v42, v51, v21
	;;#ASMEND
	;;#ASMSTART
	v_dot2_f32_f16 v21, v43, v52, v21
	;;#ASMEND
	;; [unrolled: 13-line block ×3, first 2 shown]
	;;#ASMSTART
	v_dot2_f32_f16 v23, v53, v49, v23
	;;#ASMEND
	;;#ASMSTART
	v_dot2_f32_f16 v23, v54, v50, v23
	;;#ASMEND
	;;#ASMSTART
	v_dot2_f32_f16 v23, v55, v51, v23
	;;#ASMEND
	;;#ASMSTART
	v_dot2_f32_f16 v23, v56, v52, v23
	;;#ASMEND
	s_wait_dscnt 0x1
	;;#ASMSTART
	v_dot2_f32_f16 v24, v57, v45, v24
	;;#ASMEND
	;;#ASMSTART
	v_dot2_f32_f16 v24, v58, v46, v24
	;;#ASMEND
	;; [unrolled: 3-line block ×8, first 2 shown]
	s_wait_dscnt 0x0
	;;#ASMSTART
	v_dot2_f32_f16 v26, v61, v45, v26
	;;#ASMEND
	;;#ASMSTART
	v_dot2_f32_f16 v26, v62, v46, v26
	;;#ASMEND
	;; [unrolled: 3-line block ×8, first 2 shown]
	ds_load_b128 v[40:43], v191 offset:48
	ds_load_b128 v[45:48], v175 offset:48
	;; [unrolled: 1-line block ×6, first 2 shown]
	s_wait_dscnt 0x4
	;;#ASMSTART
	v_dot2_f32_f16 v20, v40, v45, v20
	;;#ASMEND
	;;#ASMSTART
	v_dot2_f32_f16 v20, v41, v46, v20
	;;#ASMEND
	;;#ASMSTART
	v_dot2_f32_f16 v20, v42, v47, v20
	;;#ASMEND
	;;#ASMSTART
	v_dot2_f32_f16 v20, v43, v48, v20
	;;#ASMEND
	s_wait_dscnt 0x3
	;;#ASMSTART
	v_dot2_f32_f16 v21, v40, v49, v21
	;;#ASMEND
	;;#ASMSTART
	v_dot2_f32_f16 v21, v41, v50, v21
	;;#ASMEND
	;;#ASMSTART
	v_dot2_f32_f16 v21, v42, v51, v21
	;;#ASMEND
	;;#ASMSTART
	v_dot2_f32_f16 v21, v43, v52, v21
	;;#ASMEND
	s_wait_dscnt 0x2
	;;#ASMSTART
	v_dot2_f32_f16 v22, v53, v45, v22
	;;#ASMEND
	;;#ASMSTART
	v_dot2_f32_f16 v22, v54, v46, v22
	;;#ASMEND
	;;#ASMSTART
	v_dot2_f32_f16 v22, v55, v47, v22
	;;#ASMEND
	;;#ASMSTART
	v_dot2_f32_f16 v22, v56, v48, v22
	;;#ASMEND
	;;#ASMSTART
	v_dot2_f32_f16 v23, v53, v49, v23
	;;#ASMEND
	;;#ASMSTART
	v_dot2_f32_f16 v23, v54, v50, v23
	;;#ASMEND
	;; [unrolled: 3-line block ×4, first 2 shown]
	s_wait_dscnt 0x1
	;;#ASMSTART
	v_dot2_f32_f16 v24, v57, v45, v24
	;;#ASMEND
	;;#ASMSTART
	v_dot2_f32_f16 v24, v58, v46, v24
	;;#ASMEND
	;; [unrolled: 3-line block ×8, first 2 shown]
	s_wait_dscnt 0x0
	;;#ASMSTART
	v_dot2_f32_f16 v26, v61, v45, v26
	;;#ASMEND
	;;#ASMSTART
	v_dot2_f32_f16 v26, v62, v46, v26
	;;#ASMEND
	;; [unrolled: 3-line block ×8, first 2 shown]
	ds_load_b128 v[40:43], v191 offset:64
	ds_load_b128 v[45:48], v175 offset:64
	;; [unrolled: 1-line block ×6, first 2 shown]
	s_wait_dscnt 0x4
	;;#ASMSTART
	v_dot2_f32_f16 v20, v40, v45, v20
	;;#ASMEND
	;;#ASMSTART
	v_dot2_f32_f16 v20, v41, v46, v20
	;;#ASMEND
	;;#ASMSTART
	v_dot2_f32_f16 v20, v42, v47, v20
	;;#ASMEND
	;;#ASMSTART
	v_dot2_f32_f16 v20, v43, v48, v20
	;;#ASMEND
	s_wait_dscnt 0x3
	;;#ASMSTART
	v_dot2_f32_f16 v21, v40, v49, v21
	;;#ASMEND
	;;#ASMSTART
	v_dot2_f32_f16 v21, v41, v50, v21
	;;#ASMEND
	;;#ASMSTART
	v_dot2_f32_f16 v21, v42, v51, v21
	;;#ASMEND
	;;#ASMSTART
	v_dot2_f32_f16 v21, v43, v52, v21
	;;#ASMEND
	;; [unrolled: 13-line block ×3, first 2 shown]
	;;#ASMSTART
	v_dot2_f32_f16 v23, v53, v49, v23
	;;#ASMEND
	;;#ASMSTART
	v_dot2_f32_f16 v23, v54, v50, v23
	;;#ASMEND
	;;#ASMSTART
	v_dot2_f32_f16 v23, v55, v51, v23
	;;#ASMEND
	;;#ASMSTART
	v_dot2_f32_f16 v23, v56, v52, v23
	;;#ASMEND
	s_wait_dscnt 0x1
	;;#ASMSTART
	v_dot2_f32_f16 v24, v57, v45, v24
	;;#ASMEND
	;;#ASMSTART
	v_dot2_f32_f16 v24, v58, v46, v24
	;;#ASMEND
	;; [unrolled: 3-line block ×8, first 2 shown]
	s_wait_dscnt 0x0
	;;#ASMSTART
	v_dot2_f32_f16 v26, v61, v45, v26
	;;#ASMEND
	;;#ASMSTART
	v_dot2_f32_f16 v26, v62, v46, v26
	;;#ASMEND
	;; [unrolled: 3-line block ×8, first 2 shown]
	ds_load_b128 v[40:43], v191 offset:80
	ds_load_b128 v[45:48], v175 offset:80
	;; [unrolled: 1-line block ×6, first 2 shown]
	s_wait_dscnt 0x4
	;;#ASMSTART
	v_dot2_f32_f16 v20, v40, v45, v20
	;;#ASMEND
	;;#ASMSTART
	v_dot2_f32_f16 v20, v41, v46, v20
	;;#ASMEND
	;;#ASMSTART
	v_dot2_f32_f16 v20, v42, v47, v20
	;;#ASMEND
	;;#ASMSTART
	v_dot2_f32_f16 v20, v43, v48, v20
	;;#ASMEND
	s_wait_dscnt 0x3
	;;#ASMSTART
	v_dot2_f32_f16 v21, v40, v49, v21
	;;#ASMEND
	;;#ASMSTART
	v_dot2_f32_f16 v21, v41, v50, v21
	;;#ASMEND
	;;#ASMSTART
	v_dot2_f32_f16 v21, v42, v51, v21
	;;#ASMEND
	;;#ASMSTART
	v_dot2_f32_f16 v21, v43, v52, v21
	;;#ASMEND
	;; [unrolled: 13-line block ×3, first 2 shown]
	;;#ASMSTART
	v_dot2_f32_f16 v23, v53, v49, v23
	;;#ASMEND
	;;#ASMSTART
	v_dot2_f32_f16 v23, v54, v50, v23
	;;#ASMEND
	;; [unrolled: 3-line block ×4, first 2 shown]
	s_wait_dscnt 0x1
	;;#ASMSTART
	v_dot2_f32_f16 v24, v57, v45, v24
	;;#ASMEND
	;;#ASMSTART
	v_dot2_f32_f16 v24, v58, v46, v24
	;;#ASMEND
	;; [unrolled: 3-line block ×8, first 2 shown]
	s_wait_dscnt 0x0
	;;#ASMSTART
	v_dot2_f32_f16 v26, v61, v45, v26
	;;#ASMEND
	;;#ASMSTART
	v_dot2_f32_f16 v26, v62, v46, v26
	;;#ASMEND
	;; [unrolled: 3-line block ×8, first 2 shown]
	ds_load_b128 v[40:43], v191 offset:96
	ds_load_b128 v[45:48], v175 offset:96
	;; [unrolled: 1-line block ×6, first 2 shown]
	s_wait_dscnt 0x4
	;;#ASMSTART
	v_dot2_f32_f16 v20, v40, v45, v20
	;;#ASMEND
	;;#ASMSTART
	v_dot2_f32_f16 v20, v41, v46, v20
	;;#ASMEND
	;;#ASMSTART
	v_dot2_f32_f16 v20, v42, v47, v20
	;;#ASMEND
	;;#ASMSTART
	v_dot2_f32_f16 v20, v43, v48, v20
	;;#ASMEND
	s_wait_dscnt 0x3
	;;#ASMSTART
	v_dot2_f32_f16 v21, v40, v49, v21
	;;#ASMEND
	;;#ASMSTART
	v_dot2_f32_f16 v21, v41, v50, v21
	;;#ASMEND
	;;#ASMSTART
	v_dot2_f32_f16 v21, v42, v51, v21
	;;#ASMEND
	;;#ASMSTART
	v_dot2_f32_f16 v21, v43, v52, v21
	;;#ASMEND
	;; [unrolled: 13-line block ×3, first 2 shown]
	;;#ASMSTART
	v_dot2_f32_f16 v23, v53, v49, v23
	;;#ASMEND
	;;#ASMSTART
	v_dot2_f32_f16 v23, v54, v50, v23
	;;#ASMEND
	;; [unrolled: 3-line block ×4, first 2 shown]
	s_wait_dscnt 0x1
	;;#ASMSTART
	v_dot2_f32_f16 v24, v57, v45, v24
	;;#ASMEND
	;;#ASMSTART
	v_dot2_f32_f16 v24, v58, v46, v24
	;;#ASMEND
	;; [unrolled: 3-line block ×8, first 2 shown]
	s_wait_dscnt 0x0
	;;#ASMSTART
	v_dot2_f32_f16 v26, v61, v45, v26
	;;#ASMEND
	;;#ASMSTART
	v_dot2_f32_f16 v26, v62, v46, v26
	;;#ASMEND
	;; [unrolled: 3-line block ×8, first 2 shown]
	ds_load_b128 v[40:43], v191 offset:112
	ds_load_b128 v[45:48], v175 offset:112
	;; [unrolled: 1-line block ×6, first 2 shown]
	s_wait_dscnt 0x4
	;;#ASMSTART
	v_dot2_f32_f16 v20, v40, v45, v20
	;;#ASMEND
	;;#ASMSTART
	v_dot2_f32_f16 v20, v41, v46, v20
	;;#ASMEND
	;;#ASMSTART
	v_dot2_f32_f16 v20, v42, v47, v20
	;;#ASMEND
	;;#ASMSTART
	v_dot2_f32_f16 v20, v43, v48, v20
	;;#ASMEND
	s_wait_dscnt 0x3
	;;#ASMSTART
	v_dot2_f32_f16 v21, v40, v49, v21
	;;#ASMEND
	;;#ASMSTART
	v_dot2_f32_f16 v21, v41, v50, v21
	;;#ASMEND
	;;#ASMSTART
	v_dot2_f32_f16 v21, v42, v51, v21
	;;#ASMEND
	;;#ASMSTART
	v_dot2_f32_f16 v21, v43, v52, v21
	;;#ASMEND
	;; [unrolled: 13-line block ×3, first 2 shown]
	;;#ASMSTART
	v_dot2_f32_f16 v23, v53, v49, v23
	;;#ASMEND
	;;#ASMSTART
	v_dot2_f32_f16 v23, v54, v50, v23
	;;#ASMEND
	;; [unrolled: 3-line block ×4, first 2 shown]
	s_wait_dscnt 0x1
	;;#ASMSTART
	v_dot2_f32_f16 v24, v57, v45, v24
	;;#ASMEND
	;;#ASMSTART
	v_dot2_f32_f16 v24, v58, v46, v24
	;;#ASMEND
	;; [unrolled: 3-line block ×8, first 2 shown]
	s_wait_dscnt 0x0
	;;#ASMSTART
	v_dot2_f32_f16 v26, v61, v45, v26
	;;#ASMEND
	;;#ASMSTART
	v_dot2_f32_f16 v26, v62, v46, v26
	;;#ASMEND
	;; [unrolled: 3-line block ×8, first 2 shown]
	ds_load_b128 v[40:43], v191 offset:128
	ds_load_b128 v[45:48], v175 offset:128
	;; [unrolled: 1-line block ×6, first 2 shown]
	s_wait_dscnt 0x4
	;;#ASMSTART
	v_dot2_f32_f16 v20, v40, v45, v20
	;;#ASMEND
	;;#ASMSTART
	v_dot2_f32_f16 v20, v41, v46, v20
	;;#ASMEND
	;;#ASMSTART
	v_dot2_f32_f16 v20, v42, v47, v20
	;;#ASMEND
	;;#ASMSTART
	v_dot2_f32_f16 v20, v43, v48, v20
	;;#ASMEND
	s_wait_dscnt 0x3
	;;#ASMSTART
	v_dot2_f32_f16 v21, v40, v49, v21
	;;#ASMEND
	;;#ASMSTART
	v_dot2_f32_f16 v21, v41, v50, v21
	;;#ASMEND
	;;#ASMSTART
	v_dot2_f32_f16 v21, v42, v51, v21
	;;#ASMEND
	;;#ASMSTART
	v_dot2_f32_f16 v21, v43, v52, v21
	;;#ASMEND
	;; [unrolled: 13-line block ×3, first 2 shown]
	;;#ASMSTART
	v_dot2_f32_f16 v23, v53, v49, v23
	;;#ASMEND
	;;#ASMSTART
	v_dot2_f32_f16 v23, v54, v50, v23
	;;#ASMEND
	;; [unrolled: 3-line block ×4, first 2 shown]
	s_wait_dscnt 0x1
	;;#ASMSTART
	v_dot2_f32_f16 v24, v57, v45, v24
	;;#ASMEND
	;;#ASMSTART
	v_dot2_f32_f16 v24, v58, v46, v24
	;;#ASMEND
	;; [unrolled: 3-line block ×8, first 2 shown]
	s_wait_dscnt 0x0
	;;#ASMSTART
	v_dot2_f32_f16 v26, v61, v45, v26
	;;#ASMEND
	;;#ASMSTART
	v_dot2_f32_f16 v26, v62, v46, v26
	;;#ASMEND
	;; [unrolled: 3-line block ×8, first 2 shown]
	ds_load_b128 v[40:43], v191 offset:144
	ds_load_b128 v[45:48], v175 offset:144
	;; [unrolled: 1-line block ×6, first 2 shown]
	s_wait_dscnt 0x4
	;;#ASMSTART
	v_dot2_f32_f16 v20, v40, v45, v20
	;;#ASMEND
	;;#ASMSTART
	v_dot2_f32_f16 v20, v41, v46, v20
	;;#ASMEND
	;;#ASMSTART
	v_dot2_f32_f16 v20, v42, v47, v20
	;;#ASMEND
	;;#ASMSTART
	v_dot2_f32_f16 v20, v43, v48, v20
	;;#ASMEND
	s_wait_dscnt 0x3
	;;#ASMSTART
	v_dot2_f32_f16 v21, v40, v49, v21
	;;#ASMEND
	;;#ASMSTART
	v_dot2_f32_f16 v21, v41, v50, v21
	;;#ASMEND
	;;#ASMSTART
	v_dot2_f32_f16 v21, v42, v51, v21
	;;#ASMEND
	;;#ASMSTART
	v_dot2_f32_f16 v21, v43, v52, v21
	;;#ASMEND
	;; [unrolled: 13-line block ×3, first 2 shown]
	;;#ASMSTART
	v_dot2_f32_f16 v23, v53, v49, v23
	;;#ASMEND
	;;#ASMSTART
	v_dot2_f32_f16 v23, v54, v50, v23
	;;#ASMEND
	;; [unrolled: 3-line block ×4, first 2 shown]
	s_wait_dscnt 0x1
	;;#ASMSTART
	v_dot2_f32_f16 v24, v57, v45, v24
	;;#ASMEND
	;;#ASMSTART
	v_dot2_f32_f16 v24, v58, v46, v24
	;;#ASMEND
	;; [unrolled: 3-line block ×8, first 2 shown]
	s_wait_dscnt 0x0
	;;#ASMSTART
	v_dot2_f32_f16 v26, v61, v45, v26
	;;#ASMEND
	;;#ASMSTART
	v_dot2_f32_f16 v26, v62, v46, v26
	;;#ASMEND
	;; [unrolled: 3-line block ×8, first 2 shown]
	ds_load_b128 v[40:43], v191 offset:160
	ds_load_b128 v[45:48], v175 offset:160
	;; [unrolled: 1-line block ×6, first 2 shown]
	s_wait_dscnt 0x4
	;;#ASMSTART
	v_dot2_f32_f16 v20, v40, v45, v20
	;;#ASMEND
	;;#ASMSTART
	v_dot2_f32_f16 v20, v41, v46, v20
	;;#ASMEND
	;;#ASMSTART
	v_dot2_f32_f16 v20, v42, v47, v20
	;;#ASMEND
	;;#ASMSTART
	v_dot2_f32_f16 v20, v43, v48, v20
	;;#ASMEND
	s_wait_dscnt 0x3
	;;#ASMSTART
	v_dot2_f32_f16 v21, v40, v49, v21
	;;#ASMEND
	;;#ASMSTART
	v_dot2_f32_f16 v21, v41, v50, v21
	;;#ASMEND
	;;#ASMSTART
	v_dot2_f32_f16 v21, v42, v51, v21
	;;#ASMEND
	;;#ASMSTART
	v_dot2_f32_f16 v21, v43, v52, v21
	;;#ASMEND
	;; [unrolled: 13-line block ×3, first 2 shown]
	;;#ASMSTART
	v_dot2_f32_f16 v23, v53, v49, v23
	;;#ASMEND
	;;#ASMSTART
	v_dot2_f32_f16 v23, v54, v50, v23
	;;#ASMEND
	;; [unrolled: 3-line block ×4, first 2 shown]
	s_wait_dscnt 0x1
	;;#ASMSTART
	v_dot2_f32_f16 v24, v57, v45, v24
	;;#ASMEND
	;;#ASMSTART
	v_dot2_f32_f16 v24, v58, v46, v24
	;;#ASMEND
	;;#ASMSTART
	v_dot2_f32_f16 v24, v59, v47, v24
	;;#ASMEND
	;;#ASMSTART
	v_dot2_f32_f16 v24, v60, v48, v24
	;;#ASMEND
	;;#ASMSTART
	v_dot2_f32_f16 v25, v57, v49, v25
	;;#ASMEND
	;;#ASMSTART
	v_dot2_f32_f16 v25, v58, v50, v25
	;;#ASMEND
	;;#ASMSTART
	v_dot2_f32_f16 v25, v59, v51, v25
	;;#ASMEND
	;;#ASMSTART
	v_dot2_f32_f16 v25, v60, v52, v25
	;;#ASMEND
	s_wait_dscnt 0x0
	;;#ASMSTART
	v_dot2_f32_f16 v26, v61, v45, v26
	;;#ASMEND
	;;#ASMSTART
	v_dot2_f32_f16 v26, v62, v46, v26
	;;#ASMEND
	;; [unrolled: 3-line block ×8, first 2 shown]
	ds_load_b128 v[40:43], v191 offset:176
	ds_load_b128 v[45:48], v175 offset:176
	;; [unrolled: 1-line block ×6, first 2 shown]
	s_wait_dscnt 0x4
	;;#ASMSTART
	v_dot2_f32_f16 v20, v40, v45, v20
	;;#ASMEND
	;;#ASMSTART
	v_dot2_f32_f16 v20, v41, v46, v20
	;;#ASMEND
	;;#ASMSTART
	v_dot2_f32_f16 v20, v42, v47, v20
	;;#ASMEND
	;;#ASMSTART
	v_dot2_f32_f16 v20, v43, v48, v20
	;;#ASMEND
	s_wait_dscnt 0x3
	;;#ASMSTART
	v_dot2_f32_f16 v21, v40, v49, v21
	;;#ASMEND
	;;#ASMSTART
	v_dot2_f32_f16 v21, v41, v50, v21
	;;#ASMEND
	;;#ASMSTART
	v_dot2_f32_f16 v21, v42, v51, v21
	;;#ASMEND
	;;#ASMSTART
	v_dot2_f32_f16 v21, v43, v52, v21
	;;#ASMEND
	;; [unrolled: 13-line block ×3, first 2 shown]
	;;#ASMSTART
	v_dot2_f32_f16 v23, v53, v49, v23
	;;#ASMEND
	;;#ASMSTART
	v_dot2_f32_f16 v23, v54, v50, v23
	;;#ASMEND
	;; [unrolled: 3-line block ×4, first 2 shown]
	s_wait_dscnt 0x1
	;;#ASMSTART
	v_dot2_f32_f16 v24, v57, v45, v24
	;;#ASMEND
	;;#ASMSTART
	v_dot2_f32_f16 v24, v58, v46, v24
	;;#ASMEND
	;; [unrolled: 3-line block ×8, first 2 shown]
	s_wait_dscnt 0x0
	;;#ASMSTART
	v_dot2_f32_f16 v26, v61, v45, v26
	;;#ASMEND
	;;#ASMSTART
	v_dot2_f32_f16 v26, v62, v46, v26
	;;#ASMEND
	;; [unrolled: 3-line block ×8, first 2 shown]
	ds_load_b128 v[40:43], v191 offset:192
	ds_load_b128 v[45:48], v175 offset:192
	;; [unrolled: 1-line block ×6, first 2 shown]
	s_wait_dscnt 0x4
	;;#ASMSTART
	v_dot2_f32_f16 v20, v40, v45, v20
	;;#ASMEND
	;;#ASMSTART
	v_dot2_f32_f16 v20, v41, v46, v20
	;;#ASMEND
	;;#ASMSTART
	v_dot2_f32_f16 v20, v42, v47, v20
	;;#ASMEND
	;;#ASMSTART
	v_dot2_f32_f16 v20, v43, v48, v20
	;;#ASMEND
	s_wait_dscnt 0x3
	;;#ASMSTART
	v_dot2_f32_f16 v21, v40, v49, v21
	;;#ASMEND
	;;#ASMSTART
	v_dot2_f32_f16 v21, v41, v50, v21
	;;#ASMEND
	;;#ASMSTART
	v_dot2_f32_f16 v21, v42, v51, v21
	;;#ASMEND
	;;#ASMSTART
	v_dot2_f32_f16 v21, v43, v52, v21
	;;#ASMEND
	;; [unrolled: 13-line block ×3, first 2 shown]
	;;#ASMSTART
	v_dot2_f32_f16 v23, v53, v49, v23
	;;#ASMEND
	;;#ASMSTART
	v_dot2_f32_f16 v23, v54, v50, v23
	;;#ASMEND
	;; [unrolled: 3-line block ×4, first 2 shown]
	s_wait_dscnt 0x1
	;;#ASMSTART
	v_dot2_f32_f16 v24, v57, v45, v24
	;;#ASMEND
	;;#ASMSTART
	v_dot2_f32_f16 v24, v58, v46, v24
	;;#ASMEND
	;; [unrolled: 3-line block ×8, first 2 shown]
	s_wait_dscnt 0x0
	;;#ASMSTART
	v_dot2_f32_f16 v26, v61, v45, v26
	;;#ASMEND
	;;#ASMSTART
	v_dot2_f32_f16 v26, v62, v46, v26
	;;#ASMEND
	;; [unrolled: 3-line block ×8, first 2 shown]
	ds_load_b128 v[40:43], v191 offset:208
	ds_load_b128 v[45:48], v175 offset:208
	;; [unrolled: 1-line block ×6, first 2 shown]
	s_wait_dscnt 0x4
	;;#ASMSTART
	v_dot2_f32_f16 v20, v40, v45, v20
	;;#ASMEND
	;;#ASMSTART
	v_dot2_f32_f16 v20, v41, v46, v20
	;;#ASMEND
	;;#ASMSTART
	v_dot2_f32_f16 v20, v42, v47, v20
	;;#ASMEND
	;;#ASMSTART
	v_dot2_f32_f16 v20, v43, v48, v20
	;;#ASMEND
	s_wait_dscnt 0x3
	;;#ASMSTART
	v_dot2_f32_f16 v21, v40, v49, v21
	;;#ASMEND
	;;#ASMSTART
	v_dot2_f32_f16 v21, v41, v50, v21
	;;#ASMEND
	;;#ASMSTART
	v_dot2_f32_f16 v21, v42, v51, v21
	;;#ASMEND
	;;#ASMSTART
	v_dot2_f32_f16 v21, v43, v52, v21
	;;#ASMEND
	;; [unrolled: 13-line block ×3, first 2 shown]
	;;#ASMSTART
	v_dot2_f32_f16 v23, v53, v49, v23
	;;#ASMEND
	;;#ASMSTART
	v_dot2_f32_f16 v23, v54, v50, v23
	;;#ASMEND
	;; [unrolled: 3-line block ×4, first 2 shown]
	s_wait_dscnt 0x1
	;;#ASMSTART
	v_dot2_f32_f16 v24, v57, v45, v24
	;;#ASMEND
	;;#ASMSTART
	v_dot2_f32_f16 v24, v58, v46, v24
	;;#ASMEND
	;; [unrolled: 3-line block ×8, first 2 shown]
	s_wait_dscnt 0x0
	;;#ASMSTART
	v_dot2_f32_f16 v26, v61, v45, v26
	;;#ASMEND
	;;#ASMSTART
	v_dot2_f32_f16 v26, v62, v46, v26
	;;#ASMEND
	;; [unrolled: 3-line block ×8, first 2 shown]
	ds_load_b128 v[40:43], v191 offset:224
	ds_load_b128 v[45:48], v175 offset:224
	;; [unrolled: 1-line block ×6, first 2 shown]
	s_wait_dscnt 0x4
	;;#ASMSTART
	v_dot2_f32_f16 v20, v40, v45, v20
	;;#ASMEND
	;;#ASMSTART
	v_dot2_f32_f16 v20, v41, v46, v20
	;;#ASMEND
	;;#ASMSTART
	v_dot2_f32_f16 v20, v42, v47, v20
	;;#ASMEND
	;;#ASMSTART
	v_dot2_f32_f16 v20, v43, v48, v20
	;;#ASMEND
	s_wait_dscnt 0x3
	;;#ASMSTART
	v_dot2_f32_f16 v21, v40, v49, v21
	;;#ASMEND
	;;#ASMSTART
	v_dot2_f32_f16 v21, v41, v50, v21
	;;#ASMEND
	;;#ASMSTART
	v_dot2_f32_f16 v21, v42, v51, v21
	;;#ASMEND
	;;#ASMSTART
	v_dot2_f32_f16 v21, v43, v52, v21
	;;#ASMEND
	;; [unrolled: 13-line block ×3, first 2 shown]
	;;#ASMSTART
	v_dot2_f32_f16 v23, v53, v49, v23
	;;#ASMEND
	;;#ASMSTART
	v_dot2_f32_f16 v23, v54, v50, v23
	;;#ASMEND
	;; [unrolled: 3-line block ×4, first 2 shown]
	s_wait_dscnt 0x1
	;;#ASMSTART
	v_dot2_f32_f16 v24, v57, v45, v24
	;;#ASMEND
	;;#ASMSTART
	v_dot2_f32_f16 v24, v58, v46, v24
	;;#ASMEND
	;; [unrolled: 3-line block ×8, first 2 shown]
	s_wait_dscnt 0x0
	;;#ASMSTART
	v_dot2_f32_f16 v26, v61, v45, v26
	;;#ASMEND
	;;#ASMSTART
	v_dot2_f32_f16 v26, v62, v46, v26
	;;#ASMEND
	;; [unrolled: 3-line block ×8, first 2 shown]
	ds_load_b128 v[40:43], v191 offset:240
	ds_load_b128 v[45:48], v175 offset:240
	;; [unrolled: 1-line block ×6, first 2 shown]
	s_wait_dscnt 0x4
	;;#ASMSTART
	v_dot2_f32_f16 v20, v40, v45, v20
	;;#ASMEND
	;;#ASMSTART
	v_dot2_f32_f16 v20, v41, v46, v20
	;;#ASMEND
	;;#ASMSTART
	v_dot2_f32_f16 v20, v42, v47, v20
	;;#ASMEND
	;;#ASMSTART
	v_dot2_f32_f16 v20, v43, v48, v20
	;;#ASMEND
	s_wait_dscnt 0x3
	;;#ASMSTART
	v_dot2_f32_f16 v21, v40, v49, v21
	;;#ASMEND
	;;#ASMSTART
	v_dot2_f32_f16 v21, v41, v50, v21
	;;#ASMEND
	;;#ASMSTART
	v_dot2_f32_f16 v21, v42, v51, v21
	;;#ASMEND
	;;#ASMSTART
	v_dot2_f32_f16 v21, v43, v52, v21
	;;#ASMEND
	;; [unrolled: 13-line block ×3, first 2 shown]
	;;#ASMSTART
	v_dot2_f32_f16 v23, v53, v49, v23
	;;#ASMEND
	;;#ASMSTART
	v_dot2_f32_f16 v23, v54, v50, v23
	;;#ASMEND
	;; [unrolled: 3-line block ×4, first 2 shown]
	s_wait_dscnt 0x1
	;;#ASMSTART
	v_dot2_f32_f16 v24, v57, v45, v24
	;;#ASMEND
	;;#ASMSTART
	v_dot2_f32_f16 v24, v58, v46, v24
	;;#ASMEND
	;; [unrolled: 3-line block ×8, first 2 shown]
	s_wait_dscnt 0x0
	;;#ASMSTART
	v_dot2_f32_f16 v26, v61, v45, v26
	;;#ASMEND
	;;#ASMSTART
	v_dot2_f32_f16 v26, v62, v46, v26
	;;#ASMEND
	;; [unrolled: 3-line block ×8, first 2 shown]
	s_clause 0x3
	global_load_u16 v33, v[16:17], off
	global_load_u16 v34, v[16:17], off offset:64
	global_load_u16 v35, v[16:17], off offset:128
	global_load_u16 v16, v[16:17], off offset:192
	s_wait_loadcnt 0x0
	s_barrier_signal -1
	s_barrier_wait -1
	global_inv scope:SCOPE_SE
	s_clause 0x7
	global_load_b128 v[40:43], v[0:1], off
	global_load_b128 v[0:3], v[2:3], off
	;; [unrolled: 1-line block ×8, first 2 shown]
	v_cvt_f32_f16_e32 v17, v33
	v_cvt_f32_f16_e32 v33, v34
	;; [unrolled: 1-line block ×4, first 2 shown]
	v_mov_b32_e32 v218, v100
	s_delay_alu instid0(VALU_DEP_4)
	v_add_f32_e32 v22, v22, v33
	v_add_f32_e32 v20, v20, v17
	v_dual_add_f32 v17, v21, v17 :: v_dual_add_f32 v24, v24, v34
	v_dual_add_f32 v21, v23, v33 :: v_dual_add_f32 v26, v26, v16
	;; [unrolled: 1-line block ×3, first 2 shown]
	v_add_f32_e32 v27, 0x40051340, v22
	v_add_f32_e32 v25, 0x40051340, v20
	;; [unrolled: 1-line block ×4, first 2 shown]
	v_dual_add_f32 v33, 0x40051340, v24 :: v_dual_add_f32 v34, 0x40051340, v26
	s_delay_alu instid0(VALU_DEP_4) | instskip(NEXT) | instid1(VALU_DEP_3)
	v_max3_num_f32 v25, v19, v25, v27
	v_max3_num_f32 v27, v18, v35, v45
	s_delay_alu instid0(VALU_DEP_2) | instskip(SKIP_4) | instid1(VALU_DEP_2)
	v_max3_num_f32 v25, v25, v33, v34
	ds_bpermute_b32 v33, v32, v25
	s_wait_dscnt 0x0
	v_dual_max_num_f32 v33, v33, v33 :: v_dual_add_f32 v46, 0x40051340, v23
	v_add_f32_e32 v47, 0x40051340, v16
	v_max_num_f32_e32 v25, v25, v33
	s_delay_alu instid0(VALU_DEP_2) | instskip(SKIP_3) | instid1(VALU_DEP_1)
	v_max3_num_f32 v27, v27, v46, v47
	ds_bpermute_b32 v32, v32, v27
	s_wait_dscnt 0x0
	v_max_num_f32_e32 v32, v32, v32
	v_max_num_f32_e32 v27, v27, v32
	ds_bpermute_b32 v32, v31, v25
	ds_bpermute_b32 v31, v31, v27
	s_wait_dscnt 0x0
	v_dual_max_num_f32 v32, v32, v32 :: v_dual_max_num_f32 v31, v31, v31
	s_delay_alu instid0(VALU_DEP_1) | instskip(NEXT) | instid1(VALU_DEP_2)
	v_max_num_f32_e32 v25, v25, v32
	v_max_num_f32_e32 v27, v27, v31
	ds_bpermute_b32 v31, v30, v25
	ds_bpermute_b32 v30, v30, v27
	s_wait_dscnt 0x0
	v_dual_max_num_f32 v31, v31, v31 :: v_dual_max_num_f32 v30, v30, v30
	s_delay_alu instid0(VALU_DEP_1) | instskip(NEXT) | instid1(VALU_DEP_2)
	;; [unrolled: 7-line block ×3, first 2 shown]
	v_max_num_f32_e32 v25, v25, v30
	v_max_num_f32_e32 v27, v27, v29
	ds_bpermute_b32 v29, v28, v25
	ds_bpermute_b32 v28, v28, v27
	s_wait_dscnt 0x0
	v_dual_max_num_f32 v29, v29, v29 :: v_dual_max_num_f32 v28, v28, v28
	s_delay_alu instid0(VALU_DEP_1) | instskip(NEXT) | instid1(VALU_DEP_1)
	v_dual_max_num_f32 v171, v25, v29 :: v_dual_max_num_f32 v172, v27, v28
	v_sub_f32_e32 v24, v24, v171
	s_delay_alu instid0(VALU_DEP_2) | instskip(NEXT) | instid1(VALU_DEP_2)
	v_sub_f32_e32 v16, v16, v172
	v_mul_f32_e32 v28, 0x3fb8aa3b, v24
	v_sub_f32_e32 v20, v20, v171
	v_sub_f32_e32 v25, v26, v171
	;; [unrolled: 1-line block ×3, first 2 shown]
	v_mul_f32_e32 v34, 0x3fb8aa3b, v16
	v_rndne_f32_e32 v62, v28
	v_mul_f32_e32 v26, 0x3fb8aa3b, v20
	v_sub_f32_e32 v23, v23, v172
	v_fma_f32 v61, 0x3fb8aa3b, v24, -v28
	v_fma_f32 v73, 0x3fb8aa3b, v16, -v34
	v_rndne_f32_e32 v74, v34
	v_rndne_f32_e32 v46, v26
	v_sub_f32_e32 v21, v21, v172
	v_fma_f32 v45, 0x3fb8aa3b, v20, -v26
	v_dual_sub_f32 v28, v28, v62 :: v_dual_mul_f32 v33, 0x3fb8aa3b, v23
	v_sub_f32_e32 v34, v34, v74
	v_dual_sub_f32 v26, v26, v46 :: v_dual_sub_f32 v19, v19, v171
	v_dual_mul_f32 v32, 0x3fb8aa3b, v21 :: v_dual_sub_f32 v17, v17, v172
	v_fmac_f32_e32 v73, 0x32a5705f, v16
	v_cvt_i32_f32_e32 v46, v46
	s_delay_alu instid0(VALU_DEP_4) | instskip(NEXT) | instid1(VALU_DEP_4)
	v_mul_f32_e32 v30, 0x3fb8aa3b, v19
	v_fma_f32 v69, 0x3fb8aa3b, v21, -v32
	v_rndne_f32_e32 v70, v32
	v_mul_f32_e32 v31, 0x3fb8aa3b, v17
	v_cmp_ngt_f32_e32 vcc_lo, 0xc2ce8ed0, v22
	v_cmp_ngt_f32_e64 s10, 0xc2ce8ed0, v20
	v_sub_f32_e32 v18, v18, v172
	v_fmac_f32_e32 v61, 0x32a5705f, v24
	v_cvt_i32_f32_e32 v62, v62
	v_cmp_ngt_f32_e64 s2, 0xc2ce8ed0, v24
	v_cmp_ngt_f32_e64 s3, 0xc2ce8ed0, v25
	s_delay_alu instid0(VALU_DEP_4) | instskip(SKIP_3) | instid1(VALU_DEP_4)
	v_dual_mul_f32 v35, 0x3fb8aa3b, v18 :: v_dual_add_f32 v28, v28, v61
	v_cmp_ngt_f32_e64 s4, 0xc2ce8ed0, v19
	v_fma_f32 v71, 0x3fb8aa3b, v23, -v33
	v_rndne_f32_e32 v72, v33
	v_fma_f32 v75, 0x3fb8aa3b, v18, -v35
	v_exp_f32_e32 v28, v28
	v_rndne_f32_e32 v76, v35
	v_fmac_f32_e32 v71, 0x32a5705f, v23
	v_sub_f32_e32 v33, v33, v72
	v_fmac_f32_e32 v75, 0x32a5705f, v18
	v_cvt_i32_f32_e32 v72, v72
	v_sub_f32_e32 v35, v35, v76
	v_cvt_i32_f32_e32 v74, v74
	v_cvt_i32_f32_e32 v76, v76
	v_cmp_ngt_f32_e64 s5, 0xc2ce8ed0, v17
	v_cmp_ngt_f32_e64 s6, 0xc2ce8ed0, v21
	;; [unrolled: 1-line block ×5, first 2 shown]
	v_fma_f32 v65, 0x3fb8aa3b, v19, -v30
	v_rndne_f32_e32 v66, v30
	v_mul_f32_e32 v29, 0x3fb8aa3b, v25
	v_dual_fmac_f32 v69, 0x32a5705f, v21 :: v_dual_sub_f32 v32, v32, v70
	v_fma_f32 v67, 0x3fb8aa3b, v17, -v31
	v_rndne_f32_e32 v68, v31
	v_add_f32_e32 v33, v33, v71
	v_add_f32_e32 v35, v35, v75
	v_cvt_i32_f32_e32 v70, v70
	v_dual_fmac_f32 v65, 0x32a5705f, v19 :: v_dual_sub_f32 v30, v30, v66
	v_fmac_f32_e32 v45, 0x32a5705f, v20
	v_fma_f32 v63, 0x3fb8aa3b, v25, -v29
	v_rndne_f32_e32 v64, v29
	v_cvt_i32_f32_e32 v66, v66
	v_ldexp_f32 v28, v28, v62
	v_fmac_f32_e32 v67, 0x32a5705f, v17
	v_exp_f32_e32 v33, v33
	v_exp_f32_e32 v35, v35
	v_dual_add_f32 v30, v30, v65 :: v_dual_mul_f32 v27, 0x3fb8aa3b, v22
	v_add_f32_e32 v26, v26, v45
	v_add_f32_e32 v32, v32, v69
	;; [unrolled: 1-line block ×3, first 2 shown]
	s_delay_alu instid0(VALU_DEP_4)
	v_exp_f32_e32 v30, v30
	v_fma_f32 v47, 0x3fb8aa3b, v22, -v27
	v_rndne_f32_e32 v60, v27
	v_exp_f32_e32 v26, v26
	v_ldexp_f32 v33, v33, v72
	v_ldexp_f32 v35, v35, v76
	v_fmac_f32_e32 v47, 0x32a5705f, v22
	v_sub_f32_e32 v27, v27, v60
	v_cvt_i32_f32_e32 v60, v60
	v_exp_f32_e32 v32, v32
	v_ldexp_f32 v30, v30, v66
	v_exp_f32_e32 v34, v34
	v_add_f32_e32 v27, v27, v47
	v_ldexp_f32 v26, v26, v46
	s_delay_alu instid0(VALU_DEP_2) | instskip(SKIP_1) | instid1(VALU_DEP_1)
	v_exp_f32_e32 v27, v27
	s_wait_alu 0xf1ff
	v_cndmask_b32_e64 v26, 0, v26, s10
	v_cmp_nlt_f32_e64 s10, 0x42b17218, v20
	s_delay_alu instid0(TRANS32_DEP_3) | instskip(NEXT) | instid1(TRANS32_DEP_2)
	v_ldexp_f32 v32, v32, v70
	v_ldexp_f32 v34, v34, v74
	s_delay_alu instid0(TRANS32_DEP_1) | instskip(SKIP_1) | instid1(VALU_DEP_1)
	v_ldexp_f32 v27, v27, v60
	s_wait_alu 0xfffd
	v_cndmask_b32_e32 v27, 0, v27, vcc_lo
	v_cmp_nlt_f32_e32 vcc_lo, 0x42b17218, v22
	v_sub_f32_e32 v29, v29, v64
	v_cvt_i32_f32_e32 v64, v64
	v_cndmask_b32_e64 v22, 0, v28, s2
	v_cmp_nlt_f32_e64 s2, 0x42b17218, v24
	s_wait_alu 0xfffd
	v_cndmask_b32_e32 v20, 0x7f800000, v27, vcc_lo
	v_fmac_f32_e32 v63, 0x32a5705f, v25
	s_wait_alu 0xf1ff
	v_cndmask_b32_e64 v22, 0x7f800000, v22, s2
	s_delay_alu instid0(VALU_DEP_2) | instskip(NEXT) | instid1(VALU_DEP_1)
	v_add_f32_e32 v29, v29, v63
	v_exp_f32_e32 v29, v29
	s_delay_alu instid0(TRANS32_DEP_1) | instskip(NEXT) | instid1(VALU_DEP_1)
	v_ldexp_f32 v29, v29, v64
	v_cndmask_b32_e64 v24, 0, v29, s3
	v_cmp_nlt_f32_e64 s3, 0x42b17218, v25
	v_cndmask_b32_e64 v25, 0, v30, s4
	v_cmp_nlt_f32_e64 s4, 0x42b17218, v19
	s_wait_alu 0xf1ff
	s_delay_alu instid0(VALU_DEP_3) | instskip(NEXT) | instid1(VALU_DEP_2)
	v_cndmask_b32_e64 v24, 0x7f800000, v24, s3
	v_cndmask_b32_e64 v47, 0x7f800000, v25, s4
	v_cvt_f16_f32_e32 v25, v22
	s_delay_alu instid0(VALU_DEP_2) | instskip(SKIP_2) | instid1(VALU_DEP_2)
	v_cvt_f16_f32_e32 v27, v47
	v_sub_f32_e32 v31, v31, v68
	v_cvt_i32_f32_e32 v68, v68
	v_add_f32_e32 v31, v31, v67
	s_delay_alu instid0(VALU_DEP_1) | instskip(NEXT) | instid1(TRANS32_DEP_1)
	v_exp_f32_e32 v31, v31
	v_ldexp_f32 v31, v31, v68
	s_delay_alu instid0(VALU_DEP_1)
	v_cndmask_b32_e64 v19, 0, v31, s5
	v_cmp_nlt_f32_e64 s5, 0x42b17218, v17
	v_cndmask_b32_e64 v17, 0, v32, s6
	v_cmp_nlt_f32_e64 s6, 0x42b17218, v21
	;; [unrolled: 2-line block ×5, first 2 shown]
	v_cndmask_b32_e64 v18, 0x7f800000, v26, s10
	v_cvt_f16_f32_e32 v26, v24
	s_wait_alu 0xf1ff
	v_cndmask_b32_e64 v19, 0x7f800000, v19, s5
	v_cndmask_b32_e64 v17, 0x7f800000, v17, s6
	v_cndmask_b32_e64 v220, 0x7f800000, v16, s9
	v_cvt_f16_f32_e32 v16, v18
	v_add_f32_e32 v18, v18, v20
	v_cndmask_b32_e64 v21, 0x7f800000, v21, s7
	v_cndmask_b32_e64 v23, 0x7f800000, v23, s8
	v_cvt_f16_f32_e32 v20, v20
	v_cvt_f16_f32_e32 v28, v19
	v_dual_add_f32 v18, v22, v18 :: v_dual_add_f32 v19, v19, v17
	v_cvt_f16_f32_e32 v17, v17
	v_cvt_f16_f32_e32 v29, v21
	;; [unrolled: 1-line block ×3, first 2 shown]
	v_cvt_f16_f32_e64 v30, v220
	v_dual_add_f32 v219, v24, v18 :: v_dual_and_b32 v22, 0xffff, v27
	scratch_load_b32 v18, off, off offset:128 ; 4-byte Folded Reload
	v_pack_b32_f16 v16, v16, v28
	v_pack_b32_f16 v17, v20, v17
	;; [unrolled: 1-line block ×4, first 2 shown]
	v_add_f32_e32 v19, v21, v19
	v_and_b32_e32 v21, 0xffff, v30
	v_mul_u32_u24_e32 v46, 0x10001, v22
	s_wait_loadcnt 0x0
	ds_store_2addr_b32 v18, v16, v17 offset1:32
	ds_store_2addr_b32 v18, v20, v25 offset0:64 offset1:96
	v_add_f32_e32 v221, v23, v19
	v_mul_u32_u24_e32 v45, 0x10001, v21
	v_pk_mul_f16 v39, v39, v46
	scratch_load_b32 v16, off, off offset:32 ; 4-byte Folded Reload
	v_pk_mul_f16 v36, v36, v45
	s_wait_loadcnt 0x0
	ds_store_b128 v16, v[40:43]
	scratch_load_b32 v16, off, off offset:44 ; 4-byte Folded Reload
	s_wait_loadcnt 0x0
	ds_store_b128 v16, v[0:3]
	scratch_load_b32 v0, off, off offset:48 ; 4-byte Folded Reload
	;; [unrolled: 3-line block ×7, first 2 shown]
	s_wait_loadcnt 0x0
	ds_store_b128 v0, v[12:15]
	s_wait_dscnt 0x0
	s_barrier_signal -1
	s_barrier_wait -1
	global_inv scope:SCOPE_SE
	ds_load_2addr_b64 v[4:7], v174 offset1:32
	ds_load_2addr_b64 v[8:11], v174 offset0:64 offset1:96
	ds_load_2addr_b64 v[12:15], v174 offset0:128 offset1:160
	ds_load_b128 v[48:51], v193
	ds_load_b128 v[52:55], v193 offset:16
	ds_load_2addr_b64 v[16:19], v174 offset0:192 offset1:224
	v_add_nc_u32_e32 v0, 0x800, v174
	ds_load_2addr_b64 v[20:23], v0 offset1:32
	ds_load_2addr_b64 v[24:27], v0 offset0:64 offset1:96
	ds_load_2addr_b64 v[28:31], v0 offset0:128 offset1:160
	ds_load_b128 v[56:59], v193 offset:32
	ds_load_b128 v[60:63], v193 offset:48
	ds_load_2addr_b64 v[32:35], v0 offset0:192 offset1:224
	ds_load_2addr_b64 v[40:43], v118 offset1:32
	ds_load_b128 v[64:67], v193 offset:64
	ds_load_b128 v[68:71], v193 offset:80
	;; [unrolled: 1-line block ×10, first 2 shown]
	s_wait_dscnt 0x9
	v_lshrrev_b32_e32 v190, 16, v64
	v_and_b32_e32 v137, 0xffff, v64
	s_wait_dscnt 0x8
	v_and_b32_e32 v206, 0xffff, v71
	s_wait_dscnt 0x7
	v_dual_fmac_f32 v219, v44, v47 :: v_dual_and_b32 v210, 0xffff, v73
	v_and_b32_e32 v47, 0xffff, v48
	v_lshrrev_b32_e32 v44, 16, v48
	v_lshrrev_b32_e32 v102, 16, v50
	v_and_b32_e32 v103, 0xffff, v50
	v_and_b32_e32 v101, 0xffff, v49
	v_mul_u32_u24_e32 v50, 0x10001, v47
	v_mul_u32_u24_e32 v44, 0x10001, v44
	v_lshrrev_b32_e32 v100, 16, v49
	v_lshrrev_b32_e32 v104, 16, v51
	v_and_b32_e32 v105, 0xffff, v51
	v_pk_mul_f16 v47, v4, v50
	v_mul_u32_u24_e32 v51, 0x10001, v101
	v_pk_mul_f16 v4, v4, v44
	v_pk_fma_f16 v39, v5, v50, v39
	v_pk_fma_f16 v5, v5, v44, v36
	;; [unrolled: 1-line block ×3, first 2 shown]
	v_lshrrev_b32_e32 v106, 16, v52
	v_pk_fma_f16 v4, v37, v45, v4
	v_pk_fma_f16 v36, v7, v51, v39
	v_and_b32_e32 v107, 0xffff, v52
	v_pk_fma_f16 v37, v6, v51, v38
	v_mul_u32_u24_e32 v38, 0x10001, v100
	v_lshrrev_b32_e32 v108, 16, v53
	v_and_b32_e32 v109, 0xffff, v53
	v_lshrrev_b32_e32 v110, 16, v54
	v_and_b32_e32 v54, 0xffff, v54
	v_pk_fma_f16 v5, v7, v38, v5
	v_pk_fma_f16 v4, v6, v38, v4
	v_mul_u32_u24_e32 v6, 0x10001, v103
	v_mul_u32_u24_e32 v7, 0x10001, v102
	;; [unrolled: 1-line block ×3, first 2 shown]
	v_lshrrev_b32_e32 v111, 16, v55
	v_and_b32_e32 v55, 0xffff, v55
	v_pk_fma_f16 v36, v9, v6, v36
	v_pk_fma_f16 v5, v9, v7, v5
	;; [unrolled: 1-line block ×4, first 2 shown]
	v_mul_u32_u24_e32 v8, 0x10001, v104
	v_pk_fma_f16 v7, v11, v38, v36
	v_mul_u32_u24_e32 v9, 0x10001, v106
	v_pk_fma_f16 v6, v10, v38, v6
	v_lshrrev_b32_e32 v112, 16, v56
	v_pk_fma_f16 v5, v11, v8, v5
	v_pk_fma_f16 v4, v10, v8, v4
	v_mul_u32_u24_e32 v8, 0x10001, v107
	v_mul_u32_u24_e32 v10, 0x10001, v109
	v_and_b32_e32 v56, 0xffff, v56
	v_pk_fma_f16 v5, v13, v9, v5
	v_pk_fma_f16 v4, v12, v9, v4
	v_pk_fma_f16 v7, v13, v8, v7
	v_pk_fma_f16 v6, v12, v8, v6
	v_mul_u32_u24_e32 v8, 0x10001, v108
	v_mul_u32_u24_e32 v9, 0x10001, v110
	v_lshrrev_b32_e32 v113, 16, v57
	v_pk_fma_f16 v7, v15, v10, v7
	v_pk_fma_f16 v6, v14, v10, v6
	;; [unrolled: 1-line block ×4, first 2 shown]
	v_mul_u32_u24_e32 v8, 0x10001, v54
	v_mul_u32_u24_e32 v10, 0x10001, v55
	v_and_b32_e32 v57, 0xffff, v57
	v_pk_fma_f16 v5, v17, v9, v5
	v_pk_fma_f16 v4, v16, v9, v4
	;; [unrolled: 1-line block ×4, first 2 shown]
	v_mul_u32_u24_e32 v8, 0x10001, v111
	v_mul_u32_u24_e32 v9, 0x10001, v112
	v_lshrrev_b32_e32 v114, 16, v58
	v_pk_fma_f16 v7, v19, v10, v7
	v_pk_fma_f16 v6, v18, v10, v6
	;; [unrolled: 1-line block ×4, first 2 shown]
	v_mul_u32_u24_e32 v8, 0x10001, v56
	v_and_b32_e32 v58, 0xffff, v58
	v_mul_u32_u24_e32 v10, 0x10001, v57
	v_pk_fma_f16 v5, v21, v9, v5
	v_pk_fma_f16 v4, v20, v9, v4
	;; [unrolled: 1-line block ×4, first 2 shown]
	v_mul_u32_u24_e32 v8, 0x10001, v113
	v_lshrrev_b32_e32 v115, 16, v59
	v_and_b32_e32 v59, 0xffff, v59
	v_pk_fma_f16 v7, v23, v10, v7
	v_pk_fma_f16 v6, v22, v10, v6
	;; [unrolled: 1-line block ×4, first 2 shown]
	v_mul_u32_u24_e32 v8, 0x10001, v58
	v_mul_u32_u24_e32 v9, 0x10001, v114
	v_lshrrev_b32_e32 v116, 16, v60
	v_and_b32_e32 v117, 0xffff, v60
	v_mul_u32_u24_e32 v10, 0x10001, v59
	v_pk_fma_f16 v7, v25, v8, v7
	v_pk_fma_f16 v5, v25, v9, v5
	;; [unrolled: 1-line block ×4, first 2 shown]
	v_mul_u32_u24_e32 v8, 0x10001, v115
	v_lshrrev_b32_e32 v126, 16, v61
	v_and_b32_e32 v127, 0xffff, v61
	v_pk_fma_f16 v7, v27, v10, v7
	v_pk_fma_f16 v6, v26, v10, v6
	;; [unrolled: 1-line block ×4, first 2 shown]
	v_mul_u32_u24_e32 v8, 0x10001, v117
	v_mul_u32_u24_e32 v9, 0x10001, v116
	v_lshrrev_b32_e32 v255, 16, v62
	v_and_b32_e32 v173, 0xffff, v62
	v_add_nc_u32_e32 v11, 0x2000, v174
	v_mul_u32_u24_e32 v10, 0x10001, v127
	v_pk_fma_f16 v7, v29, v8, v7
	v_pk_fma_f16 v5, v29, v9, v5
	;; [unrolled: 1-line block ×4, first 2 shown]
	v_mul_u32_u24_e32 v12, 0x10001, v126
	v_lshrrev_b32_e32 v136, 16, v63
	v_and_b32_e32 v189, 0xffff, v63
	ds_load_2addr_b64 v[246:249], v11 offset1:32
	ds_load_2addr_b64 v[16:19], v11 offset0:64 offset1:96
	ds_load_2addr_b64 v[250:253], v11 offset0:128 offset1:160
	;; [unrolled: 1-line block ×3, first 2 shown]
	v_pk_fma_f16 v11, v31, v10, v7
	v_pk_fma_f16 v10, v30, v10, v6
	;; [unrolled: 1-line block ×4, first 2 shown]
	v_mul_u32_u24_e32 v24, 0x10001, v173
	v_mul_u32_u24_e32 v25, 0x10001, v255
	ds_load_2addr_b64 v[46:49], v118 offset0:64 offset1:96
	v_mul_u32_u24_e32 v26, 0x10001, v189
	v_lshrrev_b32_e32 v177, 16, v65
	v_pk_fma_f16 v11, v33, v24, v11
	v_pk_fma_f16 v5, v33, v25, v5
	;; [unrolled: 1-line block ×4, first 2 shown]
	v_mul_u32_u24_e32 v24, 0x10001, v136
	v_and_b32_e32 v183, 0xffff, v65
	v_pk_fma_f16 v11, v35, v26, v11
	v_pk_fma_f16 v10, v34, v26, v10
	v_mul_u32_u24_e32 v25, 0x10001, v190
	v_pk_fma_f16 v5, v35, v24, v5
	v_pk_fma_f16 v4, v34, v24, v4
	v_mul_u32_u24_e32 v24, 0x10001, v137
	v_lshrrev_b32_e32 v254, 16, v66
	v_and_b32_e32 v198, 0xffff, v66
	ds_load_2addr_b64 v[50:53], v118 offset0:128 offset1:160
	v_mul_u32_u24_e32 v26, 0x10001, v183
	v_pk_fma_f16 v11, v41, v24, v11
	v_pk_fma_f16 v5, v41, v25, v5
	;; [unrolled: 1-line block ×4, first 2 shown]
	v_mul_u32_u24_e32 v24, 0x10001, v177
	v_lshrrev_b32_e32 v199, 16, v67
	v_and_b32_e32 v200, 0xffff, v67
	v_pk_fma_f16 v11, v43, v26, v11
	v_pk_fma_f16 v10, v42, v26, v10
	;; [unrolled: 1-line block ×4, first 2 shown]
	v_mul_u32_u24_e32 v24, 0x10001, v198
	v_mul_u32_u24_e32 v25, 0x10001, v254
	v_lshrrev_b32_e32 v202, 16, v68
	v_and_b32_e32 v138, 0xffff, v68
	ds_load_2addr_b64 v[60:63], v118 offset0:192 offset1:224
	v_mul_u32_u24_e32 v26, 0x10001, v200
	s_wait_dscnt 0x2
	v_pk_fma_f16 v11, v47, v24, v11
	v_pk_fma_f16 v5, v47, v25, v5
	v_pk_fma_f16 v10, v46, v24, v10
	v_pk_fma_f16 v4, v46, v25, v4
	v_mul_u32_u24_e32 v24, 0x10001, v199
	v_lshrrev_b32_e32 v179, 16, v69
	v_and_b32_e32 v192, 0xffff, v69
	v_add_nc_u32_e32 v36, 0x1800, v174
	v_pk_fma_f16 v11, v49, v26, v11
	v_pk_fma_f16 v10, v48, v26, v10
	;; [unrolled: 1-line block ×4, first 2 shown]
	v_mul_u32_u24_e32 v24, 0x10001, v138
	v_mul_u32_u24_e32 v25, 0x10001, v202
	v_lshrrev_b32_e32 v203, 16, v70
	v_and_b32_e32 v204, 0xffff, v70
	ds_load_2addr_b64 v[64:67], v36 offset1:32
	v_mul_u32_u24_e32 v26, 0x10001, v192
	s_wait_dscnt 0x2
	v_pk_fma_f16 v11, v51, v24, v11
	v_pk_fma_f16 v5, v51, v25, v5
	;; [unrolled: 1-line block ×4, first 2 shown]
	v_mul_u32_u24_e32 v24, 0x10001, v179
	v_lshrrev_b32_e32 v205, 16, v71
	v_pk_fma_f16 v11, v53, v26, v11
	v_pk_fma_f16 v10, v52, v26, v10
	v_mul_u32_u24_e32 v25, 0x10001, v203
	v_pk_fma_f16 v5, v53, v24, v5
	v_pk_fma_f16 v4, v52, v24, v4
	v_mul_u32_u24_e32 v24, 0x10001, v204
	v_lshrrev_b32_e32 v207, 16, v72
	v_and_b32_e32 v208, 0xffff, v72
	ds_load_2addr_b64 v[68:71], v36 offset0:64 offset1:96
	v_mul_u32_u24_e32 v26, 0x10001, v206
	s_wait_dscnt 0x2
	v_pk_fma_f16 v11, v61, v24, v11
	v_pk_fma_f16 v5, v61, v25, v5
	;; [unrolled: 1-line block ×4, first 2 shown]
	v_mul_u32_u24_e32 v24, 0x10001, v205
	v_lshrrev_b32_e32 v209, 16, v73
	v_pk_fma_f16 v11, v63, v26, v11
	v_pk_fma_f16 v10, v62, v26, v10
	v_mul_u32_u24_e32 v25, 0x10001, v207
	v_pk_fma_f16 v5, v63, v24, v5
	v_pk_fma_f16 v4, v62, v24, v4
	v_mul_u32_u24_e32 v24, 0x10001, v208
	v_lshrrev_b32_e32 v211, 16, v74
	v_and_b32_e32 v212, 0xffff, v74
	ds_load_2addr_b64 v[118:121], v36 offset0:128 offset1:160
	v_mul_u32_u24_e32 v26, 0x10001, v210
	s_wait_dscnt 0x2
	v_pk_fma_f16 v11, v65, v24, v11
	v_pk_fma_f16 v5, v65, v25, v5
	;; [unrolled: 1-line block ×4, first 2 shown]
	v_mul_u32_u24_e32 v24, 0x10001, v209
	v_lshrrev_b32_e32 v213, 16, v75
	v_and_b32_e32 v214, 0xffff, v75
	v_pk_fma_f16 v11, v67, v26, v11
	v_pk_fma_f16 v10, v66, v26, v10
	;; [unrolled: 1-line block ×4, first 2 shown]
	v_mul_u32_u24_e32 v24, 0x10001, v212
	v_mul_u32_u24_e32 v25, 0x10001, v211
	v_lshrrev_b32_e32 v215, 16, v76
	v_and_b32_e32 v216, 0xffff, v76
	ds_load_2addr_b64 v[122:125], v36 offset0:192 offset1:224
	v_mul_u32_u24_e32 v26, 0x10001, v214
	s_wait_dscnt 0x2
	v_pk_fma_f16 v11, v69, v24, v11
	v_pk_fma_f16 v5, v69, v25, v5
	v_pk_fma_f16 v10, v68, v24, v10
	v_pk_fma_f16 v4, v68, v25, v4
	v_mul_u32_u24_e32 v24, 0x10001, v213
	v_lshrrev_b32_e32 v217, 16, v77
	v_and_b32_e32 v139, 0xffff, v77
	v_pk_fma_f16 v11, v71, v26, v11
	v_pk_fma_f16 v10, v70, v26, v10
	v_pk_fma_f16 v5, v71, v24, v5
	v_pk_fma_f16 v4, v70, v24, v4
	v_mul_u32_u24_e32 v24, 0x10001, v216
	v_mul_u32_u24_e32 v25, 0x10001, v215
	v_lshrrev_b32_e32 v140, 16, v78
	v_and_b32_e32 v141, 0xffff, v78
	v_mul_u32_u24_e32 v26, 0x10001, v139
	s_wait_dscnt 0x1
	v_pk_fma_f16 v11, v119, v24, v11
	v_pk_fma_f16 v5, v119, v25, v5
	v_pk_fma_f16 v10, v118, v24, v10
	v_pk_fma_f16 v4, v118, v25, v4
	v_mul_u32_u24_e32 v24, 0x10001, v217
	v_lshrrev_b32_e32 v142, 16, v79
	v_and_b32_e32 v143, 0xffff, v79
	v_pk_fma_f16 v11, v121, v26, v11
	v_pk_fma_f16 v10, v120, v26, v10
	v_pk_fma_f16 v5, v121, v24, v5
	v_pk_fma_f16 v4, v120, v24, v4
	v_mul_u32_u24_e32 v24, 0x10001, v141
	v_mul_u32_u24_e32 v25, 0x10001, v140
	v_lshrrev_b32_e32 v144, 16, v80
	v_and_b32_e32 v145, 0xffff, v80
	;; [unrolled: 17-line block ×3, first 2 shown]
	v_mul_u32_u24_e32 v26, 0x10001, v147
	v_pk_fma_f16 v11, v247, v24, v11
	v_pk_fma_f16 v5, v247, v25, v5
	;; [unrolled: 1-line block ×4, first 2 shown]
	v_mul_u32_u24_e32 v24, 0x10001, v146
	v_lshrrev_b32_e32 v150, 16, v83
	v_and_b32_e32 v151, 0xffff, v83
	v_pk_fma_f16 v11, v249, v26, v11
	v_pk_fma_f16 v10, v248, v26, v10
	;; [unrolled: 1-line block ×4, first 2 shown]
	v_mul_u32_u24_e32 v24, 0x10001, v149
	v_mul_u32_u24_e32 v25, 0x10001, v148
	v_lshrrev_b32_e32 v129, 16, v84
	v_and_b32_e32 v130, 0xffff, v84
	v_mul_u32_u24_e32 v26, 0x10001, v151
	v_pk_fma_f16 v11, v17, v24, v11
	v_pk_fma_f16 v5, v17, v25, v5
	;; [unrolled: 1-line block ×4, first 2 shown]
	v_mul_u32_u24_e32 v16, 0x10001, v150
	v_lshrrev_b32_e32 v128, 16, v85
	v_and_b32_e32 v131, 0xffff, v85
	v_add_nc_u32_e32 v13, 0x2800, v174
	v_pk_fma_f16 v11, v19, v26, v11
	v_pk_fma_f16 v10, v18, v26, v10
	;; [unrolled: 1-line block ×4, first 2 shown]
	v_mul_u32_u24_e32 v16, 0x10001, v130
	v_mul_u32_u24_e32 v17, 0x10001, v129
	v_lshrrev_b32_e32 v243, 16, v86
	v_and_b32_e32 v244, 0xffff, v86
	ds_load_2addr_b64 v[194:197], v13 offset1:32
	v_mul_u32_u24_e32 v18, 0x10001, v131
	v_pk_fma_f16 v11, v251, v16, v11
	v_pk_fma_f16 v5, v251, v17, v5
	;; [unrolled: 1-line block ×4, first 2 shown]
	v_mul_u32_u24_e32 v16, 0x10001, v128
	v_lshrrev_b32_e32 v135, 16, v87
	v_and_b32_e32 v245, 0xffff, v87
	v_pk_fma_f16 v11, v253, v18, v11
	v_pk_fma_f16 v10, v252, v18, v10
	;; [unrolled: 1-line block ×4, first 2 shown]
	v_mul_u32_u24_e32 v16, 0x10001, v244
	v_mul_u32_u24_e32 v17, 0x10001, v243
	v_lshrrev_b32_e32 v132, 16, v88
	v_and_b32_e32 v133, 0xffff, v88
	ds_load_2addr_b64 v[20:23], v13 offset0:64 offset1:96
	v_mul_u32_u24_e32 v18, 0x10001, v245
	v_pk_fma_f16 v11, v186, v16, v11
	v_pk_fma_f16 v5, v186, v17, v5
	;; [unrolled: 1-line block ×4, first 2 shown]
	v_mul_u32_u24_e32 v16, 0x10001, v135
	v_lshrrev_b32_e32 v242, 16, v89
	v_and_b32_e32 v134, 0xffff, v89
	v_pk_fma_f16 v11, v188, v18, v11
	v_pk_fma_f16 v10, v187, v18, v10
	;; [unrolled: 1-line block ×4, first 2 shown]
	v_mul_u32_u24_e32 v16, 0x10001, v133
	v_mul_u32_u24_e32 v17, 0x10001, v132
	v_lshrrev_b32_e32 v239, 16, v90
	v_and_b32_e32 v240, 0xffff, v90
	ds_load_2addr_b64 v[6:9], v13 offset0:128 offset1:160
	v_mul_u32_u24_e32 v18, 0x10001, v134
	s_wait_dscnt 0x2
	v_pk_fma_f16 v11, v195, v16, v11
	v_pk_fma_f16 v5, v195, v17, v5
	;; [unrolled: 1-line block ×4, first 2 shown]
	v_mul_u32_u24_e32 v16, 0x10001, v242
	v_lshrrev_b32_e32 v238, 16, v91
	v_and_b32_e32 v241, 0xffff, v91
	v_pk_fma_f16 v11, v197, v18, v11
	v_pk_fma_f16 v10, v196, v18, v10
	;; [unrolled: 1-line block ×4, first 2 shown]
	v_mul_u32_u24_e32 v24, 0x10001, v240
	v_mul_u32_u24_e32 v25, 0x10001, v239
	v_lshrrev_b32_e32 v235, 16, v92
	v_and_b32_e32 v236, 0xffff, v92
	ds_load_2addr_b64 v[12:15], v13 offset0:192 offset1:224
	v_mul_u32_u24_e32 v26, 0x10001, v241
	s_wait_dscnt 0x2
	v_pk_fma_f16 v11, v21, v24, v11
	v_pk_fma_f16 v5, v21, v25, v5
	;; [unrolled: 1-line block ×4, first 2 shown]
	v_mul_u32_u24_e32 v20, 0x10001, v238
	v_and_b32_e32 v237, 0xffff, v93
	v_add_nc_u32_e32 v27, 0x3000, v174
	v_pk_fma_f16 v11, v23, v26, v11
	v_pk_fma_f16 v10, v22, v26, v10
	;; [unrolled: 1-line block ×4, first 2 shown]
	v_mul_u32_u24_e32 v20, 0x10001, v236
	v_mul_u32_u24_e32 v21, 0x10001, v235
	v_lshrrev_b32_e32 v234, 16, v93
	v_and_b32_e32 v232, 0xffff, v94
	ds_load_2addr_b64 v[36:39], v27 offset1:32
	v_mul_u32_u24_e32 v22, 0x10001, v237
	s_wait_dscnt 0x2
	v_pk_fma_f16 v11, v7, v20, v11
	v_pk_fma_f16 v23, v7, v21, v5
	;; [unrolled: 1-line block ×3, first 2 shown]
	v_lshrrev_b32_e32 v231, 16, v94
	v_and_b32_e32 v233, 0xffff, v95
	v_pk_fma_f16 v10, v6, v21, v4
	v_pk_fma_f16 v20, v9, v22, v11
	v_pk_fma_f16 v21, v8, v22, v5
	v_mul_u32_u24_e32 v11, 0x10001, v234
	v_mul_u32_u24_e32 v136, 0x10001, v232
	v_lshrrev_b32_e32 v230, 16, v95
	v_and_b32_e32 v228, 0xffff, v96
	v_mul_u32_u24_e32 v137, 0x10001, v231
	v_pk_fma_f16 v22, v9, v11, v23
	v_pk_fma_f16 v23, v8, v11, v10
	v_mul_u32_u24_e32 v138, 0x10001, v233
	s_wait_dscnt 0x1
	v_pk_fma_f16 v20, v13, v136, v20
	v_pk_fma_f16 v21, v12, v136, v21
	v_lshrrev_b32_e32 v227, 16, v96
	v_and_b32_e32 v229, 0xffff, v97
	ds_load_2addr_b64 v[56:59], v27 offset0:64 offset1:96
	v_pk_fma_f16 v13, v13, v137, v22
	v_pk_fma_f16 v12, v12, v137, v23
	;; [unrolled: 1-line block ×4, first 2 shown]
	v_mul_u32_u24_e32 v22, 0x10001, v230
	v_mul_u32_u24_e32 v136, 0x10001, v228
	v_lshrrev_b32_e32 v226, 16, v97
	v_mul_u32_u24_e32 v137, 0x10001, v227
	v_mul_u32_u24_e32 v138, 0x10001, v229
	v_pk_fma_f16 v23, v15, v22, v13
	v_pk_fma_f16 v22, v14, v22, v12
	s_wait_dscnt 0x1
	v_pk_fma_f16 v20, v37, v136, v20
	v_pk_fma_f16 v21, v36, v136, v21
	v_lshrrev_b32_e32 v223, 16, v98
	v_and_b32_e32 v224, 0xffff, v98
	v_pk_fma_f16 v37, v37, v137, v23
	v_pk_fma_f16 v36, v36, v137, v22
	;; [unrolled: 1-line block ×4, first 2 shown]
	v_mul_u32_u24_e32 v138, 0x10001, v226
	v_lshrrev_b32_e32 v222, 16, v99
	v_and_b32_e32 v225, 0xffff, v99
	ds_load_2addr_b64 v[100:103], v27 offset0:128 offset1:160
	ds_load_2addr_b64 v[96:99], v27 offset0:192 offset1:224
	v_add_nc_u32_e32 v27, 0x3800, v174
	v_pk_fma_f16 v37, v39, v138, v37
	v_pk_fma_f16 v36, v38, v138, v36
	v_mul_u32_u24_e32 v38, 0x10001, v224
	v_mul_u32_u24_e32 v39, 0x10001, v223
	ds_load_2addr_b64 v[88:91], v27 offset1:32
	ds_load_2addr_b64 v[92:95], v27 offset0:64 offset1:96
	ds_load_2addr_b64 v[84:87], v27 offset0:128 offset1:160
	;; [unrolled: 1-line block ×3, first 2 shown]
	v_add_nc_u32_e32 v27, 0x4000, v174
	v_mul_u32_u24_e32 v138, 0x10001, v225
	s_wait_dscnt 0x6
	v_pk_fma_f16 v136, v57, v38, v136
	v_pk_fma_f16 v57, v57, v39, v37
	;; [unrolled: 1-line block ×3, first 2 shown]
	ds_load_2addr_b64 v[80:83], v27 offset1:32
	ds_load_2addr_b64 v[76:79], v27 offset0:64 offset1:96
	ds_load_2addr_b64 v[60:63], v27 offset0:128 offset1:160
	;; [unrolled: 1-line block ×3, first 2 shown]
	v_add_nc_u32_e32 v27, 0x4800, v174
	v_add_nc_u32_e32 v139, 0x5800, v174
	v_pk_fma_f16 v56, v56, v39, v36
	v_pk_fma_f16 v136, v59, v138, v136
	;; [unrolled: 1-line block ×3, first 2 shown]
	v_mul_u32_u24_e32 v138, 0x10001, v222
	v_and_b32_e32 v140, 0xffff, v0
	v_lshrrev_b32_e32 v0, 16, v0
	ds_load_2addr_b64 v[64:67], v27 offset1:32
	ds_load_2addr_b64 v[52:55], v27 offset0:64 offset1:96
	ds_load_2addr_b64 v[48:51], v27 offset0:128 offset1:160
	;; [unrolled: 1-line block ×3, first 2 shown]
	ds_load_2addr_b64 v[24:27], v139 offset1:32
	ds_load_2addr_b64 v[4:7], v139 offset0:64 offset1:96
	ds_load_2addr_b64 v[8:11], v139 offset0:128 offset1:160
	;; [unrolled: 1-line block ×3, first 2 shown]
	v_pk_fma_f16 v139, v59, v138, v57
	v_pk_fma_f16 v138, v58, v138, v56
	v_mul_u32_u24_e32 v140, 0x10001, v140
	v_mul_u32_u24_e32 v0, 0x10001, v0
	ds_load_b128 v[104:107], v193 offset:224
	ds_load_b128 v[108:111], v193 offset:240
	;; [unrolled: 1-line block ×4, first 2 shown]
	s_wait_dscnt 0x15
	v_pk_fma_f16 v136, v101, v140, v136
	v_pk_fma_f16 v137, v100, v140, v137
	;; [unrolled: 1-line block ×4, first 2 shown]
	v_and_b32_e32 v100, 0xffff, v1
	v_lshrrev_b32_e32 v1, 16, v1
	v_and_b32_e32 v139, 0xffff, v3
	v_lshrrev_b32_e32 v138, 16, v3
	ds_load_b128 v[120:123], v193 offset:288
	ds_load_b128 v[124:127], v193 offset:304
	v_mul_u32_u24_e32 v100, 0x10001, v100
	v_mul_u32_u24_e32 v1, 0x10001, v1
	ds_load_b128 v[128:131], v193 offset:320
	ds_load_b128 v[132:135], v193 offset:336
	v_add_nc_u32_e32 v19, 0x5000, v174
	v_pk_fma_f16 v136, v103, v100, v136
	v_pk_fma_f16 v137, v102, v100, v137
	;; [unrolled: 1-line block ×4, first 2 shown]
	v_and_b32_e32 v0, 0xffff, v2
	v_lshrrev_b32_e32 v103, 16, v2
	s_wait_dscnt 0x7
	v_lshrrev_b32_e32 v140, 16, v107
	v_and_b32_e32 v107, 0xffff, v107
	ds_load_2addr_b64 v[32:35], v19 offset1:32
	v_mul_u32_u24_e32 v0, 0x10001, v0
	v_mul_u32_u24_e32 v103, 0x10001, v103
	ds_load_2addr_b64 v[40:43], v19 offset0:64 offset1:96
	ds_load_2addr_b64 v[28:31], v19 offset0:128 offset1:160
	ds_load_2addr_b64 v[16:19], v19 offset0:192 offset1:224
	v_pk_fma_f16 v136, v97, v0, v136
	v_pk_fma_f16 v137, v96, v0, v137
	;; [unrolled: 1-line block ×3, first 2 shown]
	v_mul_u32_u24_e32 v102, 0x10001, v139
	v_pk_fma_f16 v97, v97, v103, v101
	v_lshrrev_b32_e32 v101, 16, v104
	v_and_b32_e32 v104, 0xffff, v104
	v_lshrrev_b32_e32 v139, 16, v106
	v_pk_fma_f16 v103, v99, v102, v136
	v_mul_u32_u24_e32 v136, 0x10001, v138
	v_pk_fma_f16 v102, v98, v102, v137
	v_lshrrev_b32_e32 v138, 16, v105
	v_and_b32_e32 v105, 0xffff, v105
	v_mul_u32_u24_e32 v101, 0x10001, v101
	v_pk_fma_f16 v137, v99, v136, v97
	v_pk_fma_f16 v136, v98, v136, v96
	v_mul_u32_u24_e32 v96, 0x10001, v104
	v_and_b32_e32 v106, 0xffff, v106
	ds_load_b128 v[185:188], v193 offset:352
	ds_load_b128 v[194:197], v193 offset:368
	v_add_nc_u32_e32 v141, 0x6000, v174
	v_pk_fma_f16 v103, v89, v96, v103
	v_pk_fma_f16 v102, v88, v96, v102
	;; [unrolled: 1-line block ×4, first 2 shown]
	v_mul_u32_u24_e32 v101, 0x10001, v105
	s_wait_dscnt 0xc
	v_lshrrev_b32_e32 v136, 16, v108
	v_and_b32_e32 v105, 0xffff, v108
	v_lshrrev_b32_e32 v108, 16, v109
	v_and_b32_e32 v109, 0xffff, v109
	v_pk_fma_f16 v103, v91, v101, v103
	v_pk_fma_f16 v101, v90, v101, v102
	v_mul_u32_u24_e32 v102, 0x10001, v138
	v_mul_u32_u24_e32 v136, 0x10001, v136
	v_lshrrev_b32_e32 v137, 16, v110
	v_and_b32_e32 v110, 0xffff, v110
	v_lshrrev_b32_e32 v138, 16, v111
	v_pk_fma_f16 v89, v91, v102, v89
	v_pk_fma_f16 v88, v90, v102, v88
	v_mul_u32_u24_e32 v90, 0x10001, v106
	v_mul_u32_u24_e32 v106, 0x10001, v139
	v_and_b32_e32 v111, 0xffff, v111
	s_wait_dscnt 0xb
	v_lshrrev_b32_e32 v139, 16, v115
	v_and_b32_e32 v115, 0xffff, v115
	v_pk_fma_f16 v91, v93, v90, v103
	v_pk_fma_f16 v90, v92, v90, v101
	;; [unrolled: 1-line block ×4, first 2 shown]
	v_mul_u32_u24_e32 v92, 0x10001, v107
	v_mul_u32_u24_e32 v93, 0x10001, v140
	v_lshrrev_b32_e32 v106, 16, v112
	v_lshrrev_b32_e32 v107, 16, v113
	s_wait_dscnt 0xa
	v_lshrrev_b32_e32 v140, 16, v119
	v_pk_fma_f16 v91, v95, v92, v91
	v_pk_fma_f16 v90, v94, v92, v90
	;; [unrolled: 1-line block ×4, first 2 shown]
	v_mul_u32_u24_e32 v88, 0x10001, v105
	v_and_b32_e32 v92, 0xffff, v112
	v_and_b32_e32 v112, 0xffff, v113
	v_mul_u32_u24_e32 v106, 0x10001, v106
	v_lshrrev_b32_e32 v113, 16, v114
	v_pk_fma_f16 v94, v85, v88, v91
	v_pk_fma_f16 v105, v84, v88, v90
	;; [unrolled: 1-line block ×4, first 2 shown]
	v_mul_u32_u24_e32 v93, 0x10001, v109
	v_mul_u32_u24_e32 v95, 0x10001, v108
	v_and_b32_e32 v114, 0xffff, v114
	v_mul_u32_u24_e32 v113, 0x10001, v113
	v_lshrrev_b32_e32 v136, 16, v116
	v_pk_fma_f16 v94, v87, v93, v94
	v_pk_fma_f16 v93, v86, v93, v105
	;; [unrolled: 1-line block ×4, first 2 shown]
	v_mul_u32_u24_e32 v84, 0x10001, v110
	v_mul_u32_u24_e32 v110, 0x10001, v137
	v_and_b32_e32 v105, 0xffff, v116
	v_lshrrev_b32_e32 v109, 16, v117
	v_and_b32_e32 v116, 0xffff, v117
	v_pk_fma_f16 v94, v73, v84, v94
	v_pk_fma_f16 v93, v72, v84, v93
	;; [unrolled: 1-line block ×3, first 2 shown]
	v_mul_u32_u24_e32 v95, 0x10001, v111
	v_pk_fma_f16 v73, v73, v110, v108
	v_lshrrev_b32_e32 v117, 16, v118
	v_and_b32_e32 v118, 0xffff, v118
	v_mul_u32_u24_e32 v109, 0x10001, v109
	v_pk_fma_f16 v94, v75, v95, v94
	v_pk_fma_f16 v93, v74, v95, v93
	v_mul_u32_u24_e32 v95, 0x10001, v138
	v_and_b32_e32 v119, 0xffff, v119
	v_mul_u32_u24_e32 v117, 0x10001, v117
	s_wait_dscnt 0x9
	v_lshrrev_b32_e32 v108, 16, v120
	v_and_b32_e32 v110, 0xffff, v120
	v_pk_fma_f16 v73, v75, v95, v73
	v_pk_fma_f16 v72, v74, v95, v72
	v_mul_u32_u24_e32 v74, 0x10001, v92
	v_lshrrev_b32_e32 v111, 16, v121
	v_and_b32_e32 v120, 0xffff, v121
	v_pk_fma_f16 v73, v81, v106, v73
	v_pk_fma_f16 v72, v80, v106, v72
	;; [unrolled: 1-line block ×4, first 2 shown]
	v_mul_u32_u24_e32 v81, 0x10001, v112
	v_mul_u32_u24_e32 v106, 0x10001, v107
	s_wait_dscnt 0x8
	v_lshrrev_b32_e32 v80, 16, v124
	v_and_b32_e32 v107, 0xffff, v125
	v_lshrrev_b32_e32 v112, 16, v126
	v_pk_fma_f16 v75, v83, v81, v75
	v_pk_fma_f16 v74, v82, v81, v74
	;; [unrolled: 1-line block ×4, first 2 shown]
	v_mul_u32_u24_e32 v72, 0x10001, v114
	v_and_b32_e32 v81, 0xffff, v124
	v_lshrrev_b32_e32 v106, 16, v125
	v_and_b32_e32 v124, 0xffff, v126
	v_lshrrev_b32_e32 v125, 16, v127
	v_and_b32_e32 v126, 0xffff, v127
	v_pk_fma_f16 v114, v77, v72, v75
	v_pk_fma_f16 v127, v76, v72, v74
	;; [unrolled: 1-line block ×4, first 2 shown]
	v_mul_u32_u24_e32 v83, 0x10001, v115
	v_mul_u32_u24_e32 v115, 0x10001, v139
	;; [unrolled: 1-line block ×3, first 2 shown]
	v_lshrrev_b32_e32 v121, 16, v122
	v_and_b32_e32 v122, 0xffff, v122
	v_pk_fma_f16 v113, v79, v83, v114
	v_pk_fma_f16 v83, v78, v83, v127
	;; [unrolled: 1-line block ×4, first 2 shown]
	v_mul_u32_u24_e32 v76, 0x10001, v105
	v_mul_u32_u24_e32 v111, 0x10001, v111
	v_lshrrev_b32_e32 v137, 16, v123
	v_and_b32_e32 v123, 0xffff, v123
	v_mul_u32_u24_e32 v121, 0x10001, v121
	v_pk_fma_f16 v105, v61, v76, v113
	v_mul_u32_u24_e32 v113, 0x10001, v136
	v_pk_fma_f16 v83, v60, v76, v83
	v_mul_u32_u24_e32 v80, 0x10001, v80
	v_mul_u32_u24_e32 v106, 0x10001, v106
	;; [unrolled: 1-line block ×3, first 2 shown]
	v_pk_fma_f16 v61, v61, v113, v127
	v_pk_fma_f16 v60, v60, v113, v115
	v_mul_u32_u24_e32 v115, 0x10001, v116
	s_wait_dscnt 0x7
	v_lshrrev_b32_e32 v82, 16, v128
	v_and_b32_e32 v114, 0xffff, v128
	v_pk_fma_f16 v116, v63, v109, v61
	v_pk_fma_f16 v109, v62, v109, v60
	;; [unrolled: 1-line block ×4, first 2 shown]
	v_mul_u32_u24_e32 v60, 0x10001, v118
	v_lshrrev_b32_e32 v128, 16, v129
	v_and_b32_e32 v129, 0xffff, v129
	v_mul_u32_u24_e32 v82, 0x10001, v82
	v_lshrrev_b32_e32 v138, 16, v130
	v_pk_fma_f16 v105, v69, v60, v105
	v_pk_fma_f16 v83, v68, v60, v83
	;; [unrolled: 1-line block ×4, first 2 shown]
	v_mul_u32_u24_e32 v116, 0x10001, v119
	v_mul_u32_u24_e32 v117, 0x10001, v140
	v_and_b32_e32 v130, 0xffff, v130
	v_lshrrev_b32_e32 v139, 16, v131
	v_and_b32_e32 v131, 0xffff, v131
	v_pk_fma_f16 v105, v71, v116, v105
	v_pk_fma_f16 v83, v70, v116, v83
	;; [unrolled: 1-line block ×4, first 2 shown]
	v_mul_u32_u24_e32 v68, 0x10001, v110
	v_mul_u32_u24_e32 v110, 0x10001, v120
	s_wait_dscnt 0x6
	v_lshrrev_b32_e32 v113, 16, v132
	v_and_b32_e32 v115, 0xffff, v132
	v_and_b32_e32 v132, 0xffff, v133
	v_pk_fma_f16 v105, v65, v68, v105
	v_pk_fma_f16 v83, v64, v68, v83
	;; [unrolled: 1-line block ×4, first 2 shown]
	v_mul_u32_u24_e32 v113, 0x10001, v113
	v_pk_fma_f16 v105, v67, v110, v105
	v_pk_fma_f16 v83, v66, v110, v83
	;; [unrolled: 1-line block ×4, first 2 shown]
	v_mul_u32_u24_e32 v64, 0x10001, v122
	v_lshrrev_b32_e32 v127, 16, v133
	v_lshrrev_b32_e32 v133, 16, v134
	v_and_b32_e32 v134, 0xffff, v134
	v_lshrrev_b32_e32 v136, 16, v135
	v_pk_fma_f16 v105, v53, v64, v105
	v_pk_fma_f16 v83, v52, v64, v83
	;; [unrolled: 1-line block ×4, first 2 shown]
	v_mul_u32_u24_e32 v117, 0x10001, v123
	v_mul_u32_u24_e32 v121, 0x10001, v137
	v_and_b32_e32 v135, 0xffff, v135
	v_mul_u32_u24_e32 v133, 0x10001, v133
	s_wait_dscnt 0x1
	v_lshrrev_b32_e32 v109, 16, v185
	v_pk_fma_f16 v105, v55, v117, v105
	v_pk_fma_f16 v83, v54, v117, v83
	;; [unrolled: 1-line block ×4, first 2 shown]
	v_mul_u32_u24_e32 v52, 0x10001, v81
	v_and_b32_e32 v116, 0xffff, v185
	v_and_b32_e32 v140, 0xffff, v186
	v_mul_u32_u24_e32 v109, 0x10001, v109
	ds_load_2addr_b64 v[20:23], v141 offset1:32
	v_pk_fma_f16 v81, v49, v52, v105
	v_pk_fma_f16 v83, v48, v52, v83
	v_pk_fma_f16 v49, v49, v80, v122
	v_pk_fma_f16 v48, v48, v80, v121
	v_mul_u32_u24_e32 v105, 0x10001, v107
	ds_load_2addr_b64 v[36:39], v141 offset0:64 offset1:96
	ds_load_2addr_b64 v[56:59], v141 offset0:128 offset1:160
	v_pk_fma_f16 v107, v51, v106, v49
	v_pk_fma_f16 v106, v50, v106, v48
	;; [unrolled: 1-line block ×4, first 2 shown]
	v_mul_u32_u24_e32 v48, 0x10001, v124
	ds_load_2addr_b64 v[0:3], v141 offset0:192 offset1:224
	v_add_nc_u32_e32 v141, 0x6800, v174
	v_lshrrev_b32_e32 v119, 16, v186
	v_and_b32_e32 v142, 0xffff, v187
	v_pk_fma_f16 v81, v45, v48, v81
	v_pk_fma_f16 v83, v44, v48, v83
	;; [unrolled: 1-line block ×3, first 2 shown]
	v_mul_u32_u24_e32 v107, 0x10001, v126
	v_pk_fma_f16 v44, v44, v112, v106
	ds_load_2addr_b64 v[96:99], v141 offset1:32
	ds_load_2addr_b64 v[88:91], v141 offset0:64 offset1:96
	ds_load_2addr_b64 v[84:87], v141 offset0:128 offset1:160
	v_pk_fma_f16 v81, v47, v107, v81
	v_pk_fma_f16 v83, v46, v107, v83
	v_mul_u32_u24_e32 v107, 0x10001, v125
	ds_load_2addr_b64 v[72:75], v141 offset0:192 offset1:224
	v_lshrrev_b32_e32 v141, 16, v187
	v_lshrrev_b32_e32 v143, 16, v188
	v_and_b32_e32 v144, 0xffff, v188
	v_pk_fma_f16 v112, v47, v107, v45
	v_pk_fma_f16 v107, v46, v107, v44
	v_mul_u32_u24_e32 v44, 0x10001, v114
	v_mul_u32_u24_e32 v141, 0x10001, v141
	ds_load_b128 v[226:229], v193 offset:384
	ds_load_b128 v[222:225], v193 offset:400
	s_wait_dscnt 0xa
	v_lshrrev_b32_e32 v108, 16, v194
	v_pk_fma_f16 v81, v33, v44, v81
	v_pk_fma_f16 v83, v32, v44, v83
	;; [unrolled: 1-line block ×3, first 2 shown]
	v_mul_u32_u24_e32 v107, 0x10001, v129
	v_pk_fma_f16 v33, v33, v82, v112
	v_and_b32_e32 v110, 0xffff, v194
	v_mul_u32_u24_e32 v143, 0x10001, v143
	v_lshrrev_b32_e32 v118, 16, v195
	v_pk_fma_f16 v81, v35, v107, v81
	v_pk_fma_f16 v83, v34, v107, v83
	v_mul_u32_u24_e32 v107, 0x10001, v128
	v_and_b32_e32 v120, 0xffff, v195
	v_mul_u32_u24_e32 v110, 0x10001, v110
	v_mul_u32_u24_e32 v108, 0x10001, v108
	v_lshrrev_b32_e32 v145, 16, v196
	v_pk_fma_f16 v112, v35, v107, v33
	v_pk_fma_f16 v107, v34, v107, v32
	v_mul_u32_u24_e32 v32, 0x10001, v130
	v_mul_u32_u24_e32 v130, 0x10001, v138
	v_and_b32_e32 v146, 0xffff, v196
	v_mul_u32_u24_e32 v120, 0x10001, v120
	v_mul_u32_u24_e32 v118, 0x10001, v118
	v_pk_fma_f16 v81, v41, v32, v81
	v_pk_fma_f16 v83, v40, v32, v83
	;; [unrolled: 1-line block ×3, first 2 shown]
	v_mul_u32_u24_e32 v112, 0x10001, v131
	v_pk_fma_f16 v40, v40, v130, v107
	v_lshrrev_b32_e32 v147, 16, v197
	v_and_b32_e32 v148, 0xffff, v197
	v_mul_u32_u24_e32 v145, 0x10001, v145
	v_pk_fma_f16 v81, v43, v112, v81
	v_pk_fma_f16 v83, v42, v112, v83
	v_mul_u32_u24_e32 v112, 0x10001, v139
	s_wait_dscnt 0x1
	v_lshrrev_b32_e32 v111, 16, v226
	v_and_b32_e32 v117, 0xffff, v226
	v_mul_u32_u24_e32 v147, 0x10001, v147
	v_lshrrev_b32_e32 v123, 16, v227
	v_pk_fma_f16 v130, v43, v112, v41
	v_pk_fma_f16 v112, v42, v112, v40
	v_mul_u32_u24_e32 v40, 0x10001, v115
	v_and_b32_e32 v137, 0xffff, v227
	v_mul_u32_u24_e32 v117, 0x10001, v117
	v_mul_u32_u24_e32 v111, 0x10001, v111
	v_lshrrev_b32_e32 v149, 16, v228
	v_pk_fma_f16 v81, v29, v40, v81
	v_pk_fma_f16 v83, v28, v40, v83
	;; [unrolled: 1-line block ×4, first 2 shown]
	v_mul_u32_u24_e32 v113, 0x10001, v132
	v_and_b32_e32 v150, 0xffff, v228
	v_mul_u32_u24_e32 v137, 0x10001, v137
	v_mul_u32_u24_e32 v123, 0x10001, v123
	v_lshrrev_b32_e32 v151, 16, v229
	v_pk_fma_f16 v81, v31, v113, v81
	v_pk_fma_f16 v83, v30, v113, v83
	v_mul_u32_u24_e32 v113, 0x10001, v127
	v_and_b32_e32 v152, 0xffff, v229
	v_mul_u32_u24_e32 v149, 0x10001, v149
	ds_load_b128 v[101:104], v193 offset:416
	ds_load_b128 v[92:95], v193 offset:432
	v_pk_fma_f16 v115, v31, v113, v29
	v_pk_fma_f16 v113, v30, v113, v28
	v_mul_u32_u24_e32 v28, 0x10001, v134
	s_wait_dscnt 0x2
	v_lshrrev_b32_e32 v80, 16, v222
	v_and_b32_e32 v105, 0xffff, v222
	v_mul_u32_u24_e32 v151, 0x10001, v151
	v_lshrrev_b32_e32 v121, 16, v223
	v_pk_fma_f16 v81, v17, v28, v81
	v_pk_fma_f16 v83, v16, v28, v83
	v_pk_fma_f16 v17, v17, v133, v115
	v_mul_u32_u24_e32 v115, 0x10001, v135
	v_pk_fma_f16 v16, v16, v133, v113
	v_and_b32_e32 v122, 0xffff, v223
	v_mul_u32_u24_e32 v105, 0x10001, v105
	v_mul_u32_u24_e32 v80, 0x10001, v80
	v_pk_fma_f16 v81, v19, v115, v81
	v_pk_fma_f16 v83, v18, v115, v83
	v_mul_u32_u24_e32 v115, 0x10001, v136
	v_lshrrev_b32_e32 v173, 16, v224
	v_and_b32_e32 v177, 0xffff, v224
	v_mul_u32_u24_e32 v122, 0x10001, v122
	v_mul_u32_u24_e32 v121, 0x10001, v121
	v_pk_fma_f16 v133, v19, v115, v17
	v_pk_fma_f16 v115, v18, v115, v16
	v_mul_u32_u24_e32 v16, 0x10001, v116
	v_lshrrev_b32_e32 v179, 16, v225
	v_and_b32_e32 v183, 0xffff, v225
	v_mul_u32_u24_e32 v173, 0x10001, v173
	s_wait_dscnt 0x1
	v_lshrrev_b32_e32 v106, 16, v101
	v_pk_fma_f16 v81, v25, v16, v81
	v_pk_fma_f16 v83, v24, v16, v83
	;; [unrolled: 1-line block ×3, first 2 shown]
	v_mul_u32_u24_e32 v115, 0x10001, v140
	v_pk_fma_f16 v25, v25, v109, v133
	v_and_b32_e32 v101, 0xffff, v101
	v_mul_u32_u24_e32 v179, 0x10001, v179
	v_lshrrev_b32_e32 v124, 16, v102
	v_pk_fma_f16 v81, v27, v115, v81
	v_pk_fma_f16 v83, v26, v115, v83
	v_mul_u32_u24_e32 v115, 0x10001, v119
	v_and_b32_e32 v102, 0xffff, v102
	v_mul_u32_u24_e32 v101, 0x10001, v101
	v_mul_u32_u24_e32 v106, 0x10001, v106
	v_lshrrev_b32_e32 v125, 16, v103
	v_pk_fma_f16 v116, v27, v115, v25
	v_pk_fma_f16 v115, v26, v115, v24
	v_mul_u32_u24_e32 v24, 0x10001, v142
	v_mul_u32_u24_e32 v142, 0x10001, v144
	v_mul_u32_u24_e32 v144, 0x10001, v146
	v_mul_u32_u24_e32 v146, 0x10001, v148
	v_mul_u32_u24_e32 v148, 0x10001, v150
	v_pk_fma_f16 v81, v5, v24, v81
	v_pk_fma_f16 v83, v4, v24, v83
	;; [unrolled: 1-line block ×4, first 2 shown]
	v_mul_u32_u24_e32 v150, 0x10001, v152
	v_pk_fma_f16 v81, v7, v142, v81
	v_mul_u32_u24_e32 v152, 0x10001, v177
	v_pk_fma_f16 v5, v7, v143, v5
	v_pk_fma_f16 v7, v6, v142, v83
	;; [unrolled: 1-line block ×4, first 2 shown]
	v_mul_u32_u24_e32 v177, 0x10001, v183
	v_pk_fma_f16 v5, v9, v108, v5
	v_pk_fma_f16 v7, v8, v110, v7
	;; [unrolled: 1-line block ×4, first 2 shown]
	v_and_b32_e32 v103, 0xffff, v103
	v_pk_fma_f16 v5, v11, v118, v5
	v_pk_fma_f16 v7, v10, v120, v7
	;; [unrolled: 1-line block ×4, first 2 shown]
	v_mul_u32_u24_e32 v102, 0x10001, v102
	v_pk_fma_f16 v5, v13, v145, v5
	v_pk_fma_f16 v7, v12, v144, v7
	;; [unrolled: 1-line block ×4, first 2 shown]
	v_mul_u32_u24_e32 v124, 0x10001, v124
	v_pk_fma_f16 v5, v15, v147, v5
	v_pk_fma_f16 v7, v14, v146, v7
	v_pk_fma_f16 v4, v14, v147, v4
	v_pk_fma_f16 v9, v21, v117, v9
	v_lshrrev_b32_e32 v126, 16, v104
	v_pk_fma_f16 v5, v21, v111, v5
	v_pk_fma_f16 v7, v20, v117, v7
	;; [unrolled: 1-line block ×4, first 2 shown]
	v_and_b32_e32 v104, 0xffff, v104
	v_pk_fma_f16 v5, v23, v123, v5
	v_pk_fma_f16 v7, v22, v137, v7
	;; [unrolled: 1-line block ×4, first 2 shown]
	v_mul_u32_u24_e32 v103, 0x10001, v103
	v_pk_fma_f16 v5, v37, v149, v5
	v_pk_fma_f16 v7, v36, v148, v7
	;; [unrolled: 1-line block ×4, first 2 shown]
	v_mul_u32_u24_e32 v125, 0x10001, v125
	v_pk_fma_f16 v5, v39, v151, v5
	v_pk_fma_f16 v7, v38, v150, v7
	;; [unrolled: 1-line block ×4, first 2 shown]
	ds_load_b128 v[60:63], v193 offset:448
	ds_load_b128 v[52:55], v193 offset:464
	v_pk_fma_f16 v5, v57, v80, v5
	v_pk_fma_f16 v7, v56, v105, v7
	;; [unrolled: 1-line block ×4, first 2 shown]
	s_wait_dscnt 0x2
	v_lshrrev_b32_e32 v82, 16, v92
	v_pk_fma_f16 v5, v59, v121, v5
	v_pk_fma_f16 v7, v58, v122, v7
	v_pk_fma_f16 v4, v58, v121, v4
	v_pk_fma_f16 v9, v1, v152, v9
	v_and_b32_e32 v92, 0xffff, v92
	v_pk_fma_f16 v1, v1, v173, v5
	v_pk_fma_f16 v5, v0, v152, v7
	;; [unrolled: 1-line block ×4, first 2 shown]
	v_mul_u32_u24_e32 v104, 0x10001, v104
	v_pk_fma_f16 v1, v3, v179, v1
	v_pk_fma_f16 v3, v2, v177, v5
	;; [unrolled: 1-line block ×4, first 2 shown]
	v_mul_u32_u24_e32 v126, 0x10001, v126
	v_pk_fma_f16 v1, v97, v106, v1
	v_pk_fma_f16 v3, v96, v101, v3
	;; [unrolled: 1-line block ×4, first 2 shown]
	v_add_nc_u32_e32 v189, 0x7000, v174
	v_pk_fma_f16 v1, v99, v124, v1
	v_pk_fma_f16 v3, v98, v102, v3
	;; [unrolled: 1-line block ×4, first 2 shown]
	v_lshrrev_b32_e32 v114, 16, v93
	v_pk_fma_f16 v1, v89, v125, v1
	v_pk_fma_f16 v3, v88, v103, v3
	;; [unrolled: 1-line block ×3, first 2 shown]
	v_and_b32_e32 v93, 0xffff, v93
	v_mul_u32_u24_e32 v92, 0x10001, v92
	v_mul_u32_u24_e32 v82, 0x10001, v82
	v_pk_fma_f16 v5, v91, v104, v5
	v_pk_fma_f16 v1, v91, v126, v1
	;; [unrolled: 1-line block ×4, first 2 shown]
	ds_load_2addr_b64 v[76:79], v189 offset1:32
	v_lshrrev_b32_e32 v128, 16, v94
	v_and_b32_e32 v94, 0xffff, v94
	v_mul_u32_u24_e32 v93, 0x10001, v93
	v_mul_u32_u24_e32 v114, 0x10001, v114
	v_pk_fma_f16 v5, v85, v92, v5
	v_pk_fma_f16 v1, v85, v82, v1
	;; [unrolled: 1-line block ×4, first 2 shown]
	v_lshrrev_b32_e32 v129, 16, v95
	v_and_b32_e32 v95, 0xffff, v95
	v_mul_u32_u24_e32 v94, 0x10001, v94
	v_mul_u32_u24_e32 v6, 0x10001, v128
	v_pk_fma_f16 v5, v87, v93, v5
	v_pk_fma_f16 v1, v87, v114, v1
	;; [unrolled: 1-line block ×4, first 2 shown]
	ds_load_2addr_b64 v[68:71], v189 offset0:64 offset1:96
	s_wait_dscnt 0x3
	v_lshrrev_b32_e32 v107, 16, v60
	v_and_b32_e32 v60, 0xffff, v60
	v_mul_u32_u24_e32 v8, 0x10001, v95
	v_mul_u32_u24_e32 v10, 0x10001, v129
	v_pk_fma_f16 v5, v73, v94, v5
	v_pk_fma_f16 v1, v73, v6, v1
	;; [unrolled: 1-line block ×4, first 2 shown]
	v_lshrrev_b32_e32 v131, 16, v61
	v_and_b32_e32 v61, 0xffff, v61
	v_mul_u32_u24_e32 v11, 0x10001, v60
	v_mul_u32_u24_e32 v12, 0x10001, v107
	v_pk_fma_f16 v5, v75, v8, v5
	v_pk_fma_f16 v1, v75, v10, v1
	;; [unrolled: 1-line block ×4, first 2 shown]
	ds_load_2addr_b64 v[64:67], v189 offset0:128 offset1:160
	v_lshrrev_b32_e32 v138, 16, v62
	v_and_b32_e32 v62, 0xffff, v62
	v_mul_u32_u24_e32 v13, 0x10001, v61
	v_mul_u32_u24_e32 v14, 0x10001, v131
	s_wait_dscnt 0x2
	v_pk_fma_f16 v5, v77, v11, v5
	v_pk_fma_f16 v1, v77, v12, v1
	;; [unrolled: 1-line block ×4, first 2 shown]
	v_lshrrev_b32_e32 v139, 16, v63
	v_and_b32_e32 v63, 0xffff, v63
	v_mul_u32_u24_e32 v15, 0x10001, v62
	v_mul_u32_u24_e32 v20, 0x10001, v138
	v_pk_fma_f16 v5, v79, v13, v5
	v_pk_fma_f16 v1, v79, v14, v1
	;; [unrolled: 1-line block ×4, first 2 shown]
	ds_load_2addr_b64 v[48:51], v189 offset0:192 offset1:224
	ds_load_b128 v[32:35], v193 offset:480
	ds_load_b128 v[28:31], v193 offset:496
	v_lshrrev_b32_e32 v112, 16, v52
	v_and_b32_e32 v52, 0xffff, v52
	v_mul_u32_u24_e32 v21, 0x10001, v63
	v_mul_u32_u24_e32 v22, 0x10001, v139
	s_wait_dscnt 0x4
	v_pk_fma_f16 v5, v69, v15, v5
	v_pk_fma_f16 v1, v69, v20, v1
	;; [unrolled: 1-line block ×4, first 2 shown]
	v_add_nc_u32_e32 v185, 0x7800, v174
	v_lshrrev_b32_e32 v127, 16, v53
	v_and_b32_e32 v53, 0xffff, v53
	v_mul_u32_u24_e32 v4, 0x10001, v52
	v_mul_u32_u24_e32 v2, 0x10001, v112
	v_pk_fma_f16 v5, v71, v21, v5
	v_pk_fma_f16 v1, v71, v22, v1
	;; [unrolled: 1-line block ×4, first 2 shown]
	ds_load_2addr_b64 v[44:47], v185 offset1:32
	v_lshrrev_b32_e32 v130, 16, v54
	v_and_b32_e32 v54, 0xffff, v54
	v_mul_u32_u24_e32 v7, 0x10001, v53
	v_mul_u32_u24_e32 v9, 0x10001, v127
	s_wait_dscnt 0x4
	v_pk_fma_f16 v5, v65, v4, v5
	v_pk_fma_f16 v1, v65, v2, v1
	;; [unrolled: 1-line block ×4, first 2 shown]
	v_lshrrev_b32_e32 v132, 16, v55
	v_and_b32_e32 v55, 0xffff, v55
	v_mul_u32_u24_e32 v23, 0x10001, v54
	v_mul_u32_u24_e32 v36, 0x10001, v130
	v_pk_fma_f16 v4, v67, v7, v5
	v_pk_fma_f16 v1, v67, v9, v1
	;; [unrolled: 1-line block ×4, first 2 shown]
	ds_load_2addr_b64 v[40:43], v185 offset0:64 offset1:96
	s_wait_dscnt 0x3
	v_lshrrev_b32_e32 v113, 16, v32
	v_and_b32_e32 v32, 0xffff, v32
	v_mul_u32_u24_e32 v37, 0x10001, v55
	v_mul_u32_u24_e32 v38, 0x10001, v132
	v_pk_fma_f16 v4, v49, v23, v4
	v_pk_fma_f16 v1, v49, v36, v1
	;; [unrolled: 1-line block ×4, first 2 shown]
	v_lshrrev_b32_e32 v134, 16, v33
	v_and_b32_e32 v33, 0xffff, v33
	v_mul_u32_u24_e32 v6, 0x10001, v32
	v_mul_u32_u24_e32 v8, 0x10001, v113
	v_pk_fma_f16 v4, v51, v37, v4
	v_pk_fma_f16 v1, v51, v38, v1
	v_pk_fma_f16 v3, v50, v37, v3
	v_pk_fma_f16 v0, v50, v38, v0
	v_lshrrev_b32_e32 v135, 16, v34
	v_and_b32_e32 v34, 0xffff, v34
	ds_load_2addr_b64 v[16:19], v185 offset0:128 offset1:160
	v_mul_u32_u24_e32 v10, 0x10001, v33
	v_mul_u32_u24_e32 v11, 0x10001, v134
	s_wait_dscnt 0x2
	v_pk_fma_f16 v4, v45, v6, v4
	v_pk_fma_f16 v1, v45, v8, v1
	;; [unrolled: 1-line block ×4, first 2 shown]
	v_lshrrev_b32_e32 v136, 16, v35
	v_and_b32_e32 v35, 0xffff, v35
	v_mul_u32_u24_e32 v12, 0x10001, v34
	v_mul_u32_u24_e32 v13, 0x10001, v135
	v_pk_fma_f16 v4, v47, v10, v4
	v_pk_fma_f16 v1, v47, v11, v1
	;; [unrolled: 1-line block ×4, first 2 shown]
	v_lshrrev_b32_e32 v109, 16, v28
	v_and_b32_e32 v28, 0xffff, v28
	ds_load_2addr_b64 v[24:27], v185 offset0:192 offset1:224
	v_mul_u32_u24_e32 v2, 0x10001, v35
	v_mul_u32_u24_e32 v5, 0x10001, v136
	s_wait_dscnt 0x2
	v_pk_fma_f16 v4, v41, v12, v4
	v_pk_fma_f16 v1, v41, v13, v1
	;; [unrolled: 1-line block ×4, first 2 shown]
	s_wait_loadcnt_dscnt 0x0
	s_barrier_signal -1
	s_barrier_wait -1
	global_inv scope:SCOPE_SE
	s_load_b32 s2, s[42:43], 0x4
	v_lshrrev_b32_e32 v119, 16, v29
	v_and_b32_e32 v29, 0xffff, v29
	v_mul_u32_u24_e32 v7, 0x10001, v28
	v_mul_u32_u24_e32 v9, 0x10001, v109
	v_pk_fma_f16 v4, v43, v2, v4
	v_pk_fma_f16 v1, v43, v5, v1
	v_pk_fma_f16 v2, v42, v2, v3
	v_pk_fma_f16 v0, v42, v5, v0
	v_lshrrev_b32_e32 v133, 16, v30
	v_and_b32_e32 v30, 0xffff, v30
	v_mul_u32_u24_e32 v6, 0x10001, v29
	v_mul_u32_u24_e32 v8, 0x10001, v119
	v_pk_fma_f16 v4, v17, v7, v4
	v_pk_fma_f16 v1, v17, v9, v1
	v_pk_fma_f16 v2, v16, v7, v2
	v_pk_fma_f16 v0, v16, v9, v0
	;; [unrolled: 8-line block ×3, first 2 shown]
	v_mov_b32_e32 v100, v221
	v_mul_u32_u24_e32 v5, 0x10001, v31
	v_mul_u32_u24_e32 v6, 0x10001, v140
	v_pk_fma_f16 v4, v25, v10, v4
	v_pk_fma_f16 v1, v25, v3, v1
	;; [unrolled: 1-line block ×4, first 2 shown]
	s_wait_kmcnt 0x0
	s_lshl_b32 s2, s2, 7
	v_fmac_f32_e32 v100, v218, v220
	v_pk_fma_f16 v39, v27, v5, v4
	v_pk_fma_f16 v36, v27, v6, v1
	;; [unrolled: 1-line block ×4, first 2 shown]
	s_wait_alu 0xfffe
	s_add_co_i32 s20, s2, s20
	s_wait_alu 0xfffe
	s_cmp_ge_i32 s20, s34
	s_cbranch_scc0 .LBB40_9
; %bb.10:
	scratch_load_b64 v[20:21], off, off offset:132 ; 8-byte Folded Reload
	s_wait_loadcnt 0x0
	s_clause 0x1
	scratch_load_b64 v[21:22], off, off offset:140
	scratch_load_b32 v33, off, off offset:148
	v_dual_mov_b32 v3, v176 :: v_dual_mov_b32 v6, 32
.LBB40_11:
	s_delay_alu instid0(VALU_DEP_1)
	v_cmp_lt_i32_e32 vcc_lo, v184, v6
	s_cmp_lg_u64 s[12:13], 0
	s_cselect_b32 s2, -1, 0
	s_cmp_eq_u32 s14, 0
	s_wait_alu 0xfffd
	v_cndmask_b32_e32 v0, v3, v184, vcc_lo
	v_cmp_lt_i32_e32 vcc_lo, v182, v6
	s_cselect_b32 s3, -1, 0
	s_wait_alu 0xfffe
	s_and_b32 s2, s3, s2
	s_wait_alu 0xfffd
	v_cndmask_b32_e32 v2, v3, v182, vcc_lo
	v_cmp_lt_i32_e32 vcc_lo, v181, v6
	s_wait_alu 0xfffd
	s_delay_alu instid0(VALU_DEP_2) | instskip(SKIP_1) | instid1(VALU_DEP_2)
	v_dual_cndmask_b32 v5, v3, v181 :: v_dual_lshlrev_b32 v2, 2, v2
	v_cmp_lt_i32_e32 vcc_lo, v180, v6
	v_lshlrev_b32_e32 v5, 2, v5
	v_lshlrev_b32_e32 v0, 2, v0
	ds_bpermute_b32 v1, v0, v219
	s_wait_dscnt 0x0
	v_add_f32_e32 v1, v219, v1
	ds_bpermute_b32 v0, v0, v100
	ds_bpermute_b32 v4, v2, v1
	s_wait_dscnt 0x1
	v_add_f32_e32 v0, v100, v0
	s_wait_dscnt 0x0
	v_add_f32_e32 v1, v1, v4
	ds_bpermute_b32 v2, v2, v0
	s_wait_dscnt 0x0
	v_add_f32_e32 v0, v0, v2
	ds_bpermute_b32 v2, v5, v1
	ds_bpermute_b32 v4, v5, v0
	s_wait_alu 0xfffd
	v_cndmask_b32_e32 v5, v3, v180, vcc_lo
	v_cmp_lt_i32_e32 vcc_lo, v178, v6
	s_delay_alu instid0(VALU_DEP_2)
	v_lshlrev_b32_e32 v5, 2, v5
	s_wait_dscnt 0x0
	v_dual_add_f32 v1, v1, v2 :: v_dual_add_f32 v0, v0, v4
	ds_bpermute_b32 v2, v5, v1
	ds_bpermute_b32 v4, v5, v0
	s_wait_alu 0xfffd
	v_cndmask_b32_e32 v3, v3, v178, vcc_lo
	s_wait_alu 0xfffe
	s_and_b32 vcc_lo, exec_lo, s2
	s_wait_dscnt 0x0
	v_dual_add_f32 v1, v1, v2 :: v_dual_add_f32 v2, v0, v4
	v_lshlrev_b32_e32 v3, 2, v3
	ds_bpermute_b32 v0, v3, v1
	s_wait_dscnt 0x0
	v_add_f32_e32 v0, v1, v0
	ds_bpermute_b32 v3, v3, v2
	s_wait_dscnt 0x0
	v_add_f32_e32 v1, v2, v3
	s_wait_alu 0xfffe
	s_cbranch_vccz .LBB40_14
; %bb.12:
	s_ashr_i32 s31, s30, 31
	v_mov_b32_e32 v2, 0
	s_lshl_b64 s[2:3], s[30:31], 2
	s_wait_alu 0xfffe
	s_add_nc_u64 s[2:3], s[12:13], s[2:3]
	global_load_b64 v[2:3], v2, s[2:3]
	v_max_num_f32_e32 v4, v171, v171
	s_wait_loadcnt 0x0
	v_dual_max_num_f32 v6, v172, v172 :: v_dual_max_num_f32 v5, v2, v2
	s_delay_alu instid0(VALU_DEP_1) | instskip(NEXT) | instid1(VALU_DEP_1)
	v_dual_max_num_f32 v7, v3, v3 :: v_dual_max_num_f32 v4, v4, v5
	v_dual_max_num_f32 v5, v6, v7 :: v_dual_sub_f32 v6, v171, v4
	s_delay_alu instid0(VALU_DEP_1) | instskip(SKIP_2) | instid1(VALU_DEP_4)
	v_sub_f32_e32 v7, v172, v5
	v_dual_sub_f32 v3, v3, v5 :: v_dual_sub_f32 v2, v2, v4
	v_mov_b32_e32 v172, v5
	v_cmp_ngt_f32_e32 vcc_lo, 0xc2ce8ed0, v6
	s_delay_alu instid0(VALU_DEP_4) | instskip(NEXT) | instid1(VALU_DEP_4)
	v_mul_f32_e32 v10, 0x3fb8aa3b, v7
	v_mul_f32_e32 v11, 0x3fb8aa3b, v3
	;; [unrolled: 1-line block ×3, first 2 shown]
	v_mov_b32_e32 v171, v4
	s_delay_alu instid0(VALU_DEP_4) | instskip(SKIP_1) | instid1(VALU_DEP_4)
	v_fma_f32 v15, 0x3fb8aa3b, v7, -v10
	v_rndne_f32_e32 v16, v10
	v_rndne_f32_e32 v17, v9
	v_mul_f32_e32 v8, 0x3fb8aa3b, v6
	v_fma_f32 v14, 0x3fb8aa3b, v2, -v9
	v_fma_f32 v18, 0x3fb8aa3b, v3, -v11
	v_rndne_f32_e32 v19, v11
	v_sub_f32_e32 v9, v9, v17
	v_fma_f32 v12, 0x3fb8aa3b, v6, -v8
	v_rndne_f32_e32 v13, v8
	v_dual_fmac_f32 v15, 0x32a5705f, v7 :: v_dual_fmac_f32 v14, 0x32a5705f, v2
	v_sub_f32_e32 v10, v10, v16
	s_delay_alu instid0(VALU_DEP_4) | instskip(NEXT) | instid1(VALU_DEP_4)
	v_fmac_f32_e32 v12, 0x32a5705f, v6
	v_dual_sub_f32 v8, v8, v13 :: v_dual_sub_f32 v11, v11, v19
	s_delay_alu instid0(VALU_DEP_4) | instskip(NEXT) | instid1(VALU_DEP_4)
	v_dual_fmac_f32 v18, 0x32a5705f, v3 :: v_dual_add_f32 v9, v9, v14
	v_add_f32_e32 v10, v10, v15
	s_delay_alu instid0(VALU_DEP_3) | instskip(SKIP_1) | instid1(VALU_DEP_4)
	v_add_f32_e32 v8, v8, v12
	v_cvt_i32_f32_e32 v12, v13
	v_add_f32_e32 v11, v11, v18
	v_cvt_i32_f32_e32 v13, v16
	v_exp_f32_e32 v10, v10
	v_exp_f32_e32 v8, v8
	;; [unrolled: 1-line block ×3, first 2 shown]
	v_cvt_i32_f32_e32 v14, v17
	v_exp_f32_e32 v11, v11
	v_ldexp_f32 v10, v10, v13
	s_delay_alu instid0(TRANS32_DEP_3) | instskip(SKIP_1) | instid1(TRANS32_DEP_2)
	v_ldexp_f32 v8, v8, v12
	v_cvt_i32_f32_e32 v12, v19
	v_ldexp_f32 v9, v9, v14
	s_wait_alu 0xfffd
	s_delay_alu instid0(VALU_DEP_3)
	v_cndmask_b32_e32 v8, 0, v8, vcc_lo
	v_cmp_ngt_f32_e32 vcc_lo, 0xc2ce8ed0, v7
	s_wait_alu 0xfffd
	v_cndmask_b32_e32 v10, 0, v10, vcc_lo
	v_cmp_nlt_f32_e32 vcc_lo, 0x42b17218, v6
	s_wait_alu 0xfffd
	v_cndmask_b32_e32 v6, 0x7f800000, v8, vcc_lo
	v_cmp_nlt_f32_e32 vcc_lo, 0x42b17218, v7
	v_ldexp_f32 v8, v11, v12
	s_wait_alu 0xfffd
	v_cndmask_b32_e32 v7, 0x7f800000, v10, vcc_lo
	v_cmp_ngt_f32_e32 vcc_lo, 0xc2ce8ed0, v2
	s_wait_alu 0xfffd
	v_cndmask_b32_e32 v9, 0, v9, vcc_lo
	v_cmp_ngt_f32_e32 vcc_lo, 0xc2ce8ed0, v3
	s_wait_alu 0xfffd
	v_cndmask_b32_e32 v8, 0, v8, vcc_lo
	v_cmp_nlt_f32_e32 vcc_lo, 0x42b17218, v2
	s_wait_alu 0xfffd
	v_cndmask_b32_e32 v2, 0x7f800000, v9, vcc_lo
	v_cmp_nlt_f32_e32 vcc_lo, 0x42b17218, v3
	s_wait_alu 0xfffd
	v_cndmask_b32_e32 v3, 0x7f800000, v8, vcc_lo
	s_delay_alu instid0(VALU_DEP_1) | instskip(NEXT) | instid1(VALU_DEP_1)
	v_fmac_f32_e32 v3, v1, v7
	v_dual_mov_b32 v1, v3 :: v_dual_fmac_f32 v2, v0, v6
	v_cvt_f16_f32_e32 v10, v6
	s_delay_alu instid0(VALU_DEP_2) | instskip(SKIP_1) | instid1(VALU_DEP_3)
	v_mov_b32_e32 v0, v2
	v_cvt_f16_f32_e32 v11, v7
	v_and_b32_e32 v9, 0xffff, v10
	s_delay_alu instid0(VALU_DEP_2) | instskip(NEXT) | instid1(VALU_DEP_2)
	v_and_b32_e32 v10, 0xffff, v11
	v_mul_u32_u24_e32 v6, 0x10001, v9
	s_delay_alu instid0(VALU_DEP_2) | instskip(NEXT) | instid1(VALU_DEP_2)
	v_mul_u32_u24_e32 v4, 0x10001, v10
	v_pk_mul_f16 v38, v38, v6
	v_pk_mul_f16 v39, v39, v6
	s_delay_alu instid0(VALU_DEP_3)
	v_pk_mul_f16 v37, v37, v4
	v_pk_mul_f16 v36, v36, v4
	s_mov_b32 s2, exec_lo
	v_cmpx_gt_i32_e64 s22, v20
	s_cbranch_execnz .LBB40_15
.LBB40_13:
	s_nop 0
	s_sendmsg sendmsg(MSG_DEALLOC_VGPRS)
	s_endpgm
.LBB40_14:
	s_delay_alu instid0(VALU_DEP_1)
	v_dual_mov_b32 v3, v1 :: v_dual_mov_b32 v2, v0
	s_mov_b32 s2, exec_lo
	v_cmpx_gt_i32_e64 s22, v20
	s_cbranch_execz .LBB40_13
.LBB40_15:
	s_load_b32 s1, s[0:1], 0xd4
	v_mov_b32_e32 v6, 1.0
	s_wait_kmcnt 0x0
	s_cmp_lg_u32 s1, 1
	s_cselect_b32 s3, -1, 0
	s_cmp_eq_u32 s1, 1
	s_cselect_b32 s2, -1, 0
	s_wait_alu 0xfffe
	s_and_b32 vcc_lo, exec_lo, s3
	s_wait_alu 0xfffe
	s_cbranch_vccnz .LBB40_17
; %bb.16:
	v_div_scale_f32 v4, null, v0, v0, 1.0
	s_delay_alu instid0(VALU_DEP_1) | instskip(NEXT) | instid1(TRANS32_DEP_1)
	v_rcp_f32_e32 v5, v4
	v_fma_f32 v6, -v4, v5, 1.0
	s_delay_alu instid0(VALU_DEP_1) | instskip(SKIP_1) | instid1(VALU_DEP_1)
	v_fmac_f32_e32 v5, v6, v5
	v_div_scale_f32 v6, vcc_lo, 1.0, v0, 1.0
	v_mul_f32_e32 v7, v6, v5
	s_delay_alu instid0(VALU_DEP_1) | instskip(NEXT) | instid1(VALU_DEP_1)
	v_fma_f32 v8, -v4, v7, v6
	v_fmac_f32_e32 v7, v8, v5
	s_delay_alu instid0(VALU_DEP_1) | instskip(SKIP_1) | instid1(VALU_DEP_1)
	v_fma_f32 v4, -v4, v7, v6
	s_wait_alu 0xfffd
	v_div_fmas_f32 v4, v4, v5, v7
	s_delay_alu instid0(VALU_DEP_1)
	v_div_fixup_f32 v6, v4, v0, 1.0
.LBB40_17:
	s_wait_loadcnt 0x1
	v_mad_co_u64_u32 v[4:5], null, s28, s22, v[20:21]
	v_cvt_f32_f16_e32 v9, v38
	v_mov_b32_e32 v8, 0
	v_lshrrev_b32_e32 v0, 16, v38
	v_cvt_f32_f16_e32 v10, v39
	v_cmp_eq_u32_e32 vcc_lo, 0, v21
	v_mad_co_u64_u32 v[4:5], null, v4, s23, s[30:31]
	s_delay_alu instid0(VALU_DEP_4) | instskip(NEXT) | instid1(VALU_DEP_2)
	v_cvt_f32_f16_e32 v0, v0
	v_mad_co_u64_u32 v[4:5], null, s1, v4, s[14:15]
	v_lshrrev_b32_e32 v5, 16, v39
	s_delay_alu instid0(VALU_DEP_1) | instskip(SKIP_1) | instid1(VALU_DEP_3)
	v_cvt_f32_f16_e32 v5, v5
	s_wait_loadcnt 0x0
	v_lshl_add_u32 v7, v4, 7, v33
	s_delay_alu instid0(VALU_DEP_1)
	v_lshlrev_b64_e32 v[11:12], 2, v[7:8]
	v_mul_f32_e32 v7, v6, v9
	v_mul_f32_e32 v9, v6, v10
	;; [unrolled: 1-line block ×4, first 2 shown]
	v_add_co_u32 v5, s0, s16, v11
	s_wait_alu 0xf1ff
	v_add_co_ci_u32_e64 v6, null, s17, v12, s0
	s_and_b32 s0, vcc_lo, s3
	global_store_b128 v[5:6], v[7:10], off
	s_wait_alu 0xfffe
	s_and_saveexec_b32 s3, s0
	s_cbranch_execz .LBB40_19
; %bb.18:
	v_ashrrev_i32_e32 v5, 31, v4
	v_dual_mov_b32 v7, v171 :: v_dual_mov_b32 v8, v2
	s_delay_alu instid0(VALU_DEP_2) | instskip(NEXT) | instid1(VALU_DEP_1)
	v_lshlrev_b64_e32 v[5:6], 3, v[4:5]
	v_add_co_u32 v5, vcc_lo, s18, v5
	s_wait_alu 0xfffd
	s_delay_alu instid0(VALU_DEP_2)
	v_add_co_ci_u32_e64 v6, null, s19, v6, vcc_lo
	global_store_b64 v[5:6], v[7:8], off
.LBB40_19:
	s_wait_alu 0xfffe
	s_or_b32 exec_lo, exec_lo, s3
	v_mov_b32_e32 v2, 1.0
	s_and_not1_b32 vcc_lo, exec_lo, s2
	s_wait_alu 0xfffe
	s_cbranch_vccnz .LBB40_21
; %bb.20:
	v_div_scale_f32 v0, null, v1, v1, 1.0
	s_delay_alu instid0(VALU_DEP_1) | instskip(NEXT) | instid1(TRANS32_DEP_1)
	v_rcp_f32_e32 v2, v0
	v_fma_f32 v5, -v0, v2, 1.0
	s_delay_alu instid0(VALU_DEP_1) | instskip(SKIP_1) | instid1(VALU_DEP_1)
	v_fmac_f32_e32 v2, v5, v2
	v_div_scale_f32 v5, vcc_lo, 1.0, v1, 1.0
	v_mul_f32_e32 v6, v5, v2
	s_delay_alu instid0(VALU_DEP_1) | instskip(NEXT) | instid1(VALU_DEP_1)
	v_fma_f32 v7, -v0, v6, v5
	v_fmac_f32_e32 v6, v7, v2
	s_delay_alu instid0(VALU_DEP_1) | instskip(SKIP_1) | instid1(VALU_DEP_1)
	v_fma_f32 v0, -v0, v6, v5
	s_wait_alu 0xfffd
	v_div_fmas_f32 v0, v0, v2, v6
	s_delay_alu instid0(VALU_DEP_1)
	v_div_fixup_f32 v2, v0, v1, 1.0
.LBB40_21:
	v_dual_mov_b32 v5, 0 :: v_dual_add_nc_u32 v0, s1, v4
	v_lshrrev_b32_e32 v1, 16, v37
	v_lshrrev_b32_e32 v6, 16, v36
	v_cvt_f32_f16_e32 v7, v37
	s_delay_alu instid0(VALU_DEP_4) | instskip(SKIP_3) | instid1(VALU_DEP_4)
	v_lshl_add_u32 v4, v0, 7, v33
	v_cvt_f32_f16_e32 v10, v36
	v_cvt_f32_f16_e32 v1, v1
	;; [unrolled: 1-line block ×3, first 2 shown]
	v_lshlrev_b64_e32 v[8:9], 2, v[4:5]
	v_mul_f32_e32 v4, v2, v7
	s_delay_alu instid0(VALU_DEP_4)
	v_mul_f32_e32 v5, v2, v1
	v_mul_f32_e32 v6, v2, v10
	;; [unrolled: 1-line block ×3, first 2 shown]
	v_add_co_u32 v1, vcc_lo, s16, v8
	s_wait_alu 0xfffd
	v_add_co_ci_u32_e64 v2, null, s17, v9, vcc_lo
	global_store_b128 v[1:2], v[4:7], off
	s_and_b32 exec_lo, exec_lo, s0
	s_cbranch_execz .LBB40_13
; %bb.22:
	v_ashrrev_i32_e32 v1, 31, v0
	v_mov_b32_e32 v2, v172
	s_delay_alu instid0(VALU_DEP_2) | instskip(NEXT) | instid1(VALU_DEP_1)
	v_lshlrev_b64_e32 v[0:1], 3, v[0:1]
	v_add_co_u32 v0, vcc_lo, s18, v0
	s_wait_alu 0xfffd
	s_delay_alu instid0(VALU_DEP_2)
	v_add_co_ci_u32_e64 v1, null, s19, v1, vcc_lo
	global_store_b64 v[0:1], v[2:3], off
	s_nop 0
	s_sendmsg sendmsg(MSG_DEALLOC_VGPRS)
	s_endpgm
	.section	.rodata,"a",@progbits
	.p2align	6, 0x0
	.amdhsa_kernel _ZL15flash_attn_tileILi128ELi128ELi8ELi2ELb0EEvPKcS1_S1_S1_S1_PKiPfP15HIP_vector_typeIfLj2EEffffjfiS5_IjLj3EEiiiiiiiiiiiliiliiiiil
		.amdhsa_group_segment_fixed_size 43008
		.amdhsa_private_segment_fixed_size 156
		.amdhsa_kernarg_size 464
		.amdhsa_user_sgpr_count 2
		.amdhsa_user_sgpr_dispatch_ptr 0
		.amdhsa_user_sgpr_queue_ptr 0
		.amdhsa_user_sgpr_kernarg_segment_ptr 1
		.amdhsa_user_sgpr_dispatch_id 0
		.amdhsa_user_sgpr_private_segment_size 0
		.amdhsa_wavefront_size32 1
		.amdhsa_uses_dynamic_stack 0
		.amdhsa_enable_private_segment 1
		.amdhsa_system_sgpr_workgroup_id_x 1
		.amdhsa_system_sgpr_workgroup_id_y 1
		.amdhsa_system_sgpr_workgroup_id_z 1
		.amdhsa_system_sgpr_workgroup_info 0
		.amdhsa_system_vgpr_workitem_id 1
		.amdhsa_next_free_vgpr 256
		.amdhsa_next_free_sgpr 44
		.amdhsa_reserve_vcc 1
		.amdhsa_float_round_mode_32 0
		.amdhsa_float_round_mode_16_64 0
		.amdhsa_float_denorm_mode_32 3
		.amdhsa_float_denorm_mode_16_64 3
		.amdhsa_fp16_overflow 0
		.amdhsa_workgroup_processor_mode 1
		.amdhsa_memory_ordered 1
		.amdhsa_forward_progress 1
		.amdhsa_inst_pref_size 134
		.amdhsa_round_robin_scheduling 0
		.amdhsa_exception_fp_ieee_invalid_op 0
		.amdhsa_exception_fp_denorm_src 0
		.amdhsa_exception_fp_ieee_div_zero 0
		.amdhsa_exception_fp_ieee_overflow 0
		.amdhsa_exception_fp_ieee_underflow 0
		.amdhsa_exception_fp_ieee_inexact 0
		.amdhsa_exception_int_div_zero 0
	.end_amdhsa_kernel
	.section	.text._ZL15flash_attn_tileILi128ELi128ELi8ELi2ELb0EEvPKcS1_S1_S1_S1_PKiPfP15HIP_vector_typeIfLj2EEffffjfiS5_IjLj3EEiiiiiiiiiiiliiliiiiil,"axG",@progbits,_ZL15flash_attn_tileILi128ELi128ELi8ELi2ELb0EEvPKcS1_S1_S1_S1_PKiPfP15HIP_vector_typeIfLj2EEffffjfiS5_IjLj3EEiiiiiiiiiiiliiliiiiil,comdat
.Lfunc_end40:
	.size	_ZL15flash_attn_tileILi128ELi128ELi8ELi2ELb0EEvPKcS1_S1_S1_S1_PKiPfP15HIP_vector_typeIfLj2EEffffjfiS5_IjLj3EEiiiiiiiiiiiliiliiiiil, .Lfunc_end40-_ZL15flash_attn_tileILi128ELi128ELi8ELi2ELb0EEvPKcS1_S1_S1_S1_PKiPfP15HIP_vector_typeIfLj2EEffffjfiS5_IjLj3EEiiiiiiiiiiiliiliiiiil
                                        ; -- End function
	.set _ZL15flash_attn_tileILi128ELi128ELi8ELi2ELb0EEvPKcS1_S1_S1_S1_PKiPfP15HIP_vector_typeIfLj2EEffffjfiS5_IjLj3EEiiiiiiiiiiiliiliiiiil.num_vgpr, 256
	.set _ZL15flash_attn_tileILi128ELi128ELi8ELi2ELb0EEvPKcS1_S1_S1_S1_PKiPfP15HIP_vector_typeIfLj2EEffffjfiS5_IjLj3EEiiiiiiiiiiiliiliiiiil.num_agpr, 0
	.set _ZL15flash_attn_tileILi128ELi128ELi8ELi2ELb0EEvPKcS1_S1_S1_S1_PKiPfP15HIP_vector_typeIfLj2EEffffjfiS5_IjLj3EEiiiiiiiiiiiliiliiiiil.numbered_sgpr, 44
	.set _ZL15flash_attn_tileILi128ELi128ELi8ELi2ELb0EEvPKcS1_S1_S1_S1_PKiPfP15HIP_vector_typeIfLj2EEffffjfiS5_IjLj3EEiiiiiiiiiiiliiliiiiil.num_named_barrier, 0
	.set _ZL15flash_attn_tileILi128ELi128ELi8ELi2ELb0EEvPKcS1_S1_S1_S1_PKiPfP15HIP_vector_typeIfLj2EEffffjfiS5_IjLj3EEiiiiiiiiiiiliiliiiiil.private_seg_size, 156
	.set _ZL15flash_attn_tileILi128ELi128ELi8ELi2ELb0EEvPKcS1_S1_S1_S1_PKiPfP15HIP_vector_typeIfLj2EEffffjfiS5_IjLj3EEiiiiiiiiiiiliiliiiiil.uses_vcc, 1
	.set _ZL15flash_attn_tileILi128ELi128ELi8ELi2ELb0EEvPKcS1_S1_S1_S1_PKiPfP15HIP_vector_typeIfLj2EEffffjfiS5_IjLj3EEiiiiiiiiiiiliiliiiiil.uses_flat_scratch, 1
	.set _ZL15flash_attn_tileILi128ELi128ELi8ELi2ELb0EEvPKcS1_S1_S1_S1_PKiPfP15HIP_vector_typeIfLj2EEffffjfiS5_IjLj3EEiiiiiiiiiiiliiliiiiil.has_dyn_sized_stack, 0
	.set _ZL15flash_attn_tileILi128ELi128ELi8ELi2ELb0EEvPKcS1_S1_S1_S1_PKiPfP15HIP_vector_typeIfLj2EEffffjfiS5_IjLj3EEiiiiiiiiiiiliiliiiiil.has_recursion, 0
	.set _ZL15flash_attn_tileILi128ELi128ELi8ELi2ELb0EEvPKcS1_S1_S1_S1_PKiPfP15HIP_vector_typeIfLj2EEffffjfiS5_IjLj3EEiiiiiiiiiiiliiliiiiil.has_indirect_call, 0
	.section	.AMDGPU.csdata,"",@progbits
; Kernel info:
; codeLenInByte = 17152
; TotalNumSgprs: 46
; NumVgprs: 256
; ScratchSize: 156
; MemoryBound: 0
; FloatMode: 240
; IeeeMode: 1
; LDSByteSize: 43008 bytes/workgroup (compile time only)
; SGPRBlocks: 0
; VGPRBlocks: 31
; NumSGPRsForWavesPerEU: 46
; NumVGPRsForWavesPerEU: 256
; Occupancy: 5
; WaveLimiterHint : 1
; COMPUTE_PGM_RSRC2:SCRATCH_EN: 1
; COMPUTE_PGM_RSRC2:USER_SGPR: 2
; COMPUTE_PGM_RSRC2:TRAP_HANDLER: 0
; COMPUTE_PGM_RSRC2:TGID_X_EN: 1
; COMPUTE_PGM_RSRC2:TGID_Y_EN: 1
; COMPUTE_PGM_RSRC2:TGID_Z_EN: 1
; COMPUTE_PGM_RSRC2:TIDIG_COMP_CNT: 1
	.section	.text._ZL33flash_attn_stream_k_fixup_uniformILi128ELi8ELi2EEvPfPK15HIP_vector_typeIfLj2EEiiiiiiS1_IjLj3EES5_S5_,"axG",@progbits,_ZL33flash_attn_stream_k_fixup_uniformILi128ELi8ELi2EEvPfPK15HIP_vector_typeIfLj2EEiiiiiiS1_IjLj3EES5_S5_,comdat
	.globl	_ZL33flash_attn_stream_k_fixup_uniformILi128ELi8ELi2EEvPfPK15HIP_vector_typeIfLj2EEiiiiiiS1_IjLj3EES5_S5_ ; -- Begin function _ZL33flash_attn_stream_k_fixup_uniformILi128ELi8ELi2EEvPfPK15HIP_vector_typeIfLj2EEiiiiiiS1_IjLj3EES5_S5_
	.p2align	8
	.type	_ZL33flash_attn_stream_k_fixup_uniformILi128ELi8ELi2EEvPfPK15HIP_vector_typeIfLj2EEiiiiiiS1_IjLj3EES5_S5_,@function
_ZL33flash_attn_stream_k_fixup_uniformILi128ELi8ELi2EEvPfPK15HIP_vector_typeIfLj2EEiiiiiiS1_IjLj3EES5_S5_: ; @_ZL33flash_attn_stream_k_fixup_uniformILi128ELi8ELi2EEvPfPK15HIP_vector_typeIfLj2EEiiiiiiS1_IjLj3EES5_S5_
; %bb.0:
	s_clause 0x1
	s_load_b256 s[4:11], s[0:1], 0x1c
	s_load_b128 s[12:15], s[0:1], 0x3c
	s_wait_kmcnt 0x0
	s_mul_hi_u32 s2, s7, ttmp9
	s_delay_alu instid0(SALU_CYCLE_1) | instskip(NEXT) | instid1(SALU_CYCLE_1)
	s_add_co_i32 s2, ttmp9, s2
	s_lshr_b32 s2, s2, s8
	s_delay_alu instid0(SALU_CYCLE_1) | instskip(SKIP_2) | instid1(SALU_CYCLE_1)
	s_mul_i32 s3, s2, s9
	s_load_b64 s[8:9], s[0:1], 0x10
	s_sub_co_i32 s7, ttmp9, s3
	s_mul_hi_u32 s3, s7, s10
	s_delay_alu instid0(SALU_CYCLE_1) | instskip(NEXT) | instid1(SALU_CYCLE_1)
	s_add_co_i32 s3, s7, s3
	s_lshr_b32 s3, s3, s11
	s_delay_alu instid0(SALU_CYCLE_1) | instskip(NEXT) | instid1(SALU_CYCLE_1)
	s_mul_i32 s10, s3, s12
	s_sub_co_i32 s7, s7, s10
	s_delay_alu instid0(SALU_CYCLE_1) | instskip(NEXT) | instid1(SALU_CYCLE_1)
	s_mul_hi_u32 s10, s7, s13
	s_add_co_i32 s10, s7, s10
	s_delay_alu instid0(SALU_CYCLE_1) | instskip(NEXT) | instid1(SALU_CYCLE_1)
	s_lshr_b32 s12, s10, s14
	s_mul_i32 s10, s12, s15
	s_lshl_b32 s12, s12, 1
	s_sub_co_i32 s11, s7, s10
	s_and_b32 s7, ttmp7, 0xffff
	s_lshl_b32 s13, s11, 3
	s_lshr_b32 s10, ttmp7, 16
	s_add_co_i32 s13, s13, s7
	s_wait_kmcnt 0x0
	s_cmp_lt_i32 s13, s8
	s_cselect_b32 s13, -1, 0
	s_add_co_i32 s14, s12, s10
	s_delay_alu instid0(SALU_CYCLE_1) | instskip(SKIP_1) | instid1(SALU_CYCLE_1)
	s_cmp_lt_i32 s14, s5
	s_cselect_b32 s14, -1, 0
	s_and_b32 s13, s13, s14
	s_delay_alu instid0(SALU_CYCLE_1)
	s_and_not1_b32 vcc_lo, exec_lo, s13
	s_cbranch_vccnz .LBB41_6
; %bb.1:
	s_mul_i32 s2, s2, s8
	s_mul_i32 s5, s3, s5
	s_add_co_i32 s2, s2, s7
	s_delay_alu instid0(SALU_CYCLE_1) | instskip(NEXT) | instid1(SALU_CYCLE_1)
	s_mul_i32 s2, s2, s9
	s_add_co_i32 s8, s2, s10
	s_load_b128 s[0:3], s[0:1], 0x0
	s_add_co_i32 s5, s8, s5
	s_mul_i32 s8, s9, s11
	s_add_co_i32 s5, s5, s12
	s_lshl_b32 s8, s8, 10
	s_lshl_b32 s5, s5, 7
	s_delay_alu instid0(SALU_CYCLE_1)
	s_add_co_i32 s8, s8, s5
	s_lshl_b32 s5, s7, 1
	v_or_b32_e32 v1, s8, v0
	s_mul_i32 s8, s6, ttmp9
	s_wait_alu 0xfffe
	s_add_co_i32 s9, s8, s6
	s_wait_alu 0xfffe
	s_add_co_i32 s12, s9, -2
	v_ashrrev_i32_e32 v2, 31, v1
	s_delay_alu instid0(VALU_DEP_1) | instskip(SKIP_1) | instid1(VALU_DEP_1)
	v_lshlrev_b64_e32 v[1:2], 2, v[1:2]
	s_wait_kmcnt 0x0
	v_add_co_u32 v1, vcc_lo, s0, v1
	s_delay_alu instid0(VALU_DEP_1)
	v_add_co_ci_u32_e64 v2, null, s1, v2, vcc_lo
	s_add_co_i32 s0, s5, s10
	s_lshl_b32 s1, s9, 4
	global_load_b32 v5, v[1:2], off
	s_wait_alu 0xfffe
	s_add_co_i32 s0, s0, s1
	s_wait_alu 0xfffe
	s_add_co_i32 s0, s0, -16
	s_wait_alu 0xfffe
	s_ashr_i32 s1, s0, 31
	s_wait_alu 0xfffe
	s_lshl_b64 s[0:1], s[0:1], 3
	s_cmp_lt_i32 s12, s8
	s_wait_alu 0xfffe
	s_add_nc_u64 s[0:1], s[2:3], s[0:1]
	s_load_b32 s11, s[0:1], 0x4
	s_cbranch_scc1 .LBB41_4
; %bb.2:
	s_load_b32 s0, s[0:1], 0x0
	s_add_co_i32 s13, ttmp9, 1
	s_lshl_b32 s12, s4, 6
	s_mul_i32 s1, s6, s13
	s_lshl_b32 s6, s7, 8
	s_lshl_b32 s7, s10, 7
	s_wait_alu 0xfffe
	s_lshl_b32 s14, s1, 11
	s_add_co_i32 s6, s7, s6
	s_lshl_b32 s1, s1, 4
	s_add_co_i32 s14, s6, s14
	s_wait_alu 0xfffe
	s_add_co_i32 s1, s10, s1
	v_or_b32_e32 v0, s14, v0
	s_lshl_b32 s4, s4, 4
	s_ashr_i32 s13, s12, 31
	s_wait_alu 0xfffe
	s_add_co_i32 s1, s1, s4
	s_wait_kmcnt 0x0
	v_dual_mov_b32 v6, s11 :: v_dual_add_nc_u32 v3, 0xfffff000, v0
	s_lshl_b64 s[6:7], s[12:13], 2
	s_wait_alu 0xfffe
	s_add_co_i32 s4, s1, s5
	s_add_nc_u64 s[6:7], s[2:3], s[6:7]
	s_add_co_i32 s1, s9, -1
	s_sub_co_i32 s4, s4, 32
.LBB41_3:                               ; =>This Inner Loop Header: Depth=1
	v_ashrrev_i32_e32 v4, 31, v3
	s_ashr_i32 s5, s4, 31
	v_mov_b32_e32 v10, v6
	s_lshl_b64 s[10:11], s[4:5], 3
	s_wait_loadcnt 0x0
	v_mov_b32_e32 v9, v5
	v_lshlrev_b64_e32 v[7:8], 2, v[3:4]
	s_wait_alu 0xfffe
	s_add_nc_u64 s[10:11], s[2:3], s[10:11]
	v_max_num_f32_e64 v4, s0, s0
	s_load_b64 s[10:11], s[10:11], 0x0
	v_add_nc_u32_e32 v3, 0xfffff800, v3
	v_add_co_u32 v7, vcc_lo, s6, v7
	s_wait_alu 0xfffd
	v_add_co_ci_u32_e64 v8, null, s7, v8, vcc_lo
	v_readfirstlane_b32 s5, v4
	global_load_b32 v0, v[7:8], off
	s_wait_kmcnt 0x0
	v_max_num_f32_e64 v4, s10, s10
	s_delay_alu instid0(VALU_DEP_1) | instskip(SKIP_1) | instid1(SALU_CYCLE_3)
	v_readfirstlane_b32 s9, v4
	s_max_num_f32 s5, s5, s9
	s_sub_f32 s0, s0, s5
	s_sub_f32 s9, s10, s5
	s_wait_alu 0xfffe
	s_delay_alu instid0(SALU_CYCLE_1) | instskip(NEXT) | instid1(SALU_CYCLE_1)
	s_mul_f32 s10, s0, 0x3fb8aa3b
	s_mul_f32 s12, s9, 0x3fb8aa3b
	s_wait_alu 0xfffe
	s_delay_alu instid0(SALU_CYCLE_1)
	s_xor_b32 s13, s10, 0x80000000
	s_rndne_f32 s14, s10
	s_fmamk_f32 s13, s0, 0x3fb8aa3b, s13
	s_cmp_nlt_f32 s0, 0xc2ce8ed0
	s_rndne_f32 s15, s12
	s_wait_alu 0xfffe
	s_sub_f32 s10, s10, s14
	s_fmamk_f32 s13, s0, 0x32a5705f, s13
	s_cvt_i32_f32 s14, s14
	s_cselect_b32 vcc_lo, -1, 0
	s_cmp_ngt_f32 s0, 0x42b17218
	s_wait_alu 0xfffe
	s_add_f32 s10, s10, s13
	s_sub_f32 s13, s12, s15
	s_wait_alu 0xfffe
	s_delay_alu instid0(SALU_CYCLE_1) | instskip(SKIP_1) | instid1(TRANS32_DEP_1)
	v_s_exp_f32 s10, s10
	s_wait_alu 0xf1ff
	v_ldexp_f32 v4, s10, s14
	s_cvt_i32_f32 s10, s15
	s_delay_alu instid0(VALU_DEP_1) | instskip(SKIP_3) | instid1(VALU_DEP_1)
	v_cndmask_b32_e32 v4, 0, v4, vcc_lo
	s_cselect_b32 vcc_lo, -1, 0
	s_cmp_ge_f32 s0, 0xc1a00000
	s_wait_alu 0xfffe
	v_cndmask_b32_e32 v4, 0x7f800000, v4, vcc_lo
	s_cselect_b32 vcc_lo, -1, 0
	s_xor_b32 s0, s12, 0x80000000
	s_cmp_nlt_f32 s9, 0xc2ce8ed0
	s_wait_alu 0xfffe
	s_fmamk_f32 s0, s9, 0x3fb8aa3b, s0
	s_wait_alu 0xfffe
	s_delay_alu instid0(SALU_CYCLE_2) | instskip(SKIP_1) | instid1(SALU_CYCLE_2)
	s_fmamk_f32 s0, s9, 0x32a5705f, s0
	s_wait_alu 0xfffe
	s_add_f32 s0, s13, s0
	s_wait_alu 0xfffe
	s_delay_alu instid0(SALU_CYCLE_2) | instskip(SKIP_1) | instid1(TRANS32_DEP_1)
	v_s_exp_f32 s0, s0
	s_wait_alu 0xf1ff
	v_ldexp_f32 v7, s0, s10
	s_cselect_b32 s0, -1, 0
	s_cmp_ngt_f32 s9, 0x42b17218
	s_wait_alu 0xfffe
	s_delay_alu instid0(VALU_DEP_1) | instskip(SKIP_3) | instid1(VALU_DEP_1)
	v_cndmask_b32_e64 v7, 0, v7, s0
	s_cselect_b32 s0, -1, 0
	s_cmp_ge_f32 s9, 0xc1a00000
	s_wait_alu 0xfffe
	v_cndmask_b32_e64 v7, 0x7f800000, v7, s0
	s_cselect_b32 s0, -1, 0
	s_add_co_i32 s1, s1, -1
	s_add_co_i32 s4, s4, -16
	s_wait_alu 0xfffe
	s_cmp_le_i32 s1, s8
	v_cndmask_b32_e64 v7, 0, v7, s0
	s_mov_b32 s0, s5
	s_wait_loadcnt 0x0
	s_delay_alu instid0(VALU_DEP_1) | instskip(NEXT) | instid1(VALU_DEP_1)
	v_dual_mul_f32 v5, v0, v7 :: v_dual_cndmask_b32 v4, 0, v4
	v_dual_mul_f32 v8, s11, v7 :: v_dual_fmac_f32 v5, v9, v4
	s_delay_alu instid0(VALU_DEP_1) | instskip(NEXT) | instid1(VALU_DEP_1)
	v_mov_b32_e32 v6, v8
	v_fmac_f32_e32 v6, v10, v4
	s_cbranch_scc0 .LBB41_3
	s_branch .LBB41_5
.LBB41_4:
	s_wait_kmcnt 0x0
	v_mov_b32_e32 v6, s11
.LBB41_5:
	s_wait_loadcnt 0x0
	s_delay_alu instid0(VALU_DEP_1) | instskip(NEXT) | instid1(VALU_DEP_1)
	v_div_scale_f32 v0, null, v6, v6, v5
	v_rcp_f32_e32 v3, v0
	s_delay_alu instid0(TRANS32_DEP_1) | instskip(NEXT) | instid1(VALU_DEP_1)
	v_fma_f32 v4, -v0, v3, 1.0
	v_fmac_f32_e32 v3, v4, v3
	v_div_scale_f32 v4, vcc_lo, v5, v6, v5
	s_delay_alu instid0(VALU_DEP_1) | instskip(NEXT) | instid1(VALU_DEP_1)
	v_mul_f32_e32 v7, v4, v3
	v_fma_f32 v8, -v0, v7, v4
	s_delay_alu instid0(VALU_DEP_1) | instskip(NEXT) | instid1(VALU_DEP_1)
	v_fmac_f32_e32 v7, v8, v3
	v_fma_f32 v0, -v0, v7, v4
	s_wait_alu 0xfffd
	s_delay_alu instid0(VALU_DEP_1) | instskip(NEXT) | instid1(VALU_DEP_1)
	v_div_fmas_f32 v0, v0, v3, v7
	v_div_fixup_f32 v0, v0, v6, v5
	global_store_b32 v[1:2], v0, off
.LBB41_6:
	s_endpgm
	.section	.rodata,"a",@progbits
	.p2align	6, 0x0
	.amdhsa_kernel _ZL33flash_attn_stream_k_fixup_uniformILi128ELi8ELi2EEvPfPK15HIP_vector_typeIfLj2EEiiiiiiS1_IjLj3EES5_S5_
		.amdhsa_group_segment_fixed_size 0
		.amdhsa_private_segment_fixed_size 0
		.amdhsa_kernarg_size 76
		.amdhsa_user_sgpr_count 2
		.amdhsa_user_sgpr_dispatch_ptr 0
		.amdhsa_user_sgpr_queue_ptr 0
		.amdhsa_user_sgpr_kernarg_segment_ptr 1
		.amdhsa_user_sgpr_dispatch_id 0
		.amdhsa_user_sgpr_private_segment_size 0
		.amdhsa_wavefront_size32 1
		.amdhsa_uses_dynamic_stack 0
		.amdhsa_enable_private_segment 0
		.amdhsa_system_sgpr_workgroup_id_x 1
		.amdhsa_system_sgpr_workgroup_id_y 1
		.amdhsa_system_sgpr_workgroup_id_z 1
		.amdhsa_system_sgpr_workgroup_info 0
		.amdhsa_system_vgpr_workitem_id 0
		.amdhsa_next_free_vgpr 11
		.amdhsa_next_free_sgpr 16
		.amdhsa_reserve_vcc 1
		.amdhsa_float_round_mode_32 0
		.amdhsa_float_round_mode_16_64 0
		.amdhsa_float_denorm_mode_32 3
		.amdhsa_float_denorm_mode_16_64 3
		.amdhsa_fp16_overflow 0
		.amdhsa_workgroup_processor_mode 1
		.amdhsa_memory_ordered 1
		.amdhsa_forward_progress 1
		.amdhsa_inst_pref_size 9
		.amdhsa_round_robin_scheduling 0
		.amdhsa_exception_fp_ieee_invalid_op 0
		.amdhsa_exception_fp_denorm_src 0
		.amdhsa_exception_fp_ieee_div_zero 0
		.amdhsa_exception_fp_ieee_overflow 0
		.amdhsa_exception_fp_ieee_underflow 0
		.amdhsa_exception_fp_ieee_inexact 0
		.amdhsa_exception_int_div_zero 0
	.end_amdhsa_kernel
	.section	.text._ZL33flash_attn_stream_k_fixup_uniformILi128ELi8ELi2EEvPfPK15HIP_vector_typeIfLj2EEiiiiiiS1_IjLj3EES5_S5_,"axG",@progbits,_ZL33flash_attn_stream_k_fixup_uniformILi128ELi8ELi2EEvPfPK15HIP_vector_typeIfLj2EEiiiiiiS1_IjLj3EES5_S5_,comdat
.Lfunc_end41:
	.size	_ZL33flash_attn_stream_k_fixup_uniformILi128ELi8ELi2EEvPfPK15HIP_vector_typeIfLj2EEiiiiiiS1_IjLj3EES5_S5_, .Lfunc_end41-_ZL33flash_attn_stream_k_fixup_uniformILi128ELi8ELi2EEvPfPK15HIP_vector_typeIfLj2EEiiiiiiS1_IjLj3EES5_S5_
                                        ; -- End function
	.set _ZL33flash_attn_stream_k_fixup_uniformILi128ELi8ELi2EEvPfPK15HIP_vector_typeIfLj2EEiiiiiiS1_IjLj3EES5_S5_.num_vgpr, 11
	.set _ZL33flash_attn_stream_k_fixup_uniformILi128ELi8ELi2EEvPfPK15HIP_vector_typeIfLj2EEiiiiiiS1_IjLj3EES5_S5_.num_agpr, 0
	.set _ZL33flash_attn_stream_k_fixup_uniformILi128ELi8ELi2EEvPfPK15HIP_vector_typeIfLj2EEiiiiiiS1_IjLj3EES5_S5_.numbered_sgpr, 16
	.set _ZL33flash_attn_stream_k_fixup_uniformILi128ELi8ELi2EEvPfPK15HIP_vector_typeIfLj2EEiiiiiiS1_IjLj3EES5_S5_.num_named_barrier, 0
	.set _ZL33flash_attn_stream_k_fixup_uniformILi128ELi8ELi2EEvPfPK15HIP_vector_typeIfLj2EEiiiiiiS1_IjLj3EES5_S5_.private_seg_size, 0
	.set _ZL33flash_attn_stream_k_fixup_uniformILi128ELi8ELi2EEvPfPK15HIP_vector_typeIfLj2EEiiiiiiS1_IjLj3EES5_S5_.uses_vcc, 1
	.set _ZL33flash_attn_stream_k_fixup_uniformILi128ELi8ELi2EEvPfPK15HIP_vector_typeIfLj2EEiiiiiiS1_IjLj3EES5_S5_.uses_flat_scratch, 0
	.set _ZL33flash_attn_stream_k_fixup_uniformILi128ELi8ELi2EEvPfPK15HIP_vector_typeIfLj2EEiiiiiiS1_IjLj3EES5_S5_.has_dyn_sized_stack, 0
	.set _ZL33flash_attn_stream_k_fixup_uniformILi128ELi8ELi2EEvPfPK15HIP_vector_typeIfLj2EEiiiiiiS1_IjLj3EES5_S5_.has_recursion, 0
	.set _ZL33flash_attn_stream_k_fixup_uniformILi128ELi8ELi2EEvPfPK15HIP_vector_typeIfLj2EEiiiiiiS1_IjLj3EES5_S5_.has_indirect_call, 0
	.section	.AMDGPU.csdata,"",@progbits
; Kernel info:
; codeLenInByte = 1140
; TotalNumSgprs: 18
; NumVgprs: 11
; ScratchSize: 0
; MemoryBound: 0
; FloatMode: 240
; IeeeMode: 1
; LDSByteSize: 0 bytes/workgroup (compile time only)
; SGPRBlocks: 0
; VGPRBlocks: 1
; NumSGPRsForWavesPerEU: 18
; NumVGPRsForWavesPerEU: 11
; Occupancy: 16
; WaveLimiterHint : 0
; COMPUTE_PGM_RSRC2:SCRATCH_EN: 0
; COMPUTE_PGM_RSRC2:USER_SGPR: 2
; COMPUTE_PGM_RSRC2:TRAP_HANDLER: 0
; COMPUTE_PGM_RSRC2:TGID_X_EN: 1
; COMPUTE_PGM_RSRC2:TGID_Y_EN: 1
; COMPUTE_PGM_RSRC2:TGID_Z_EN: 1
; COMPUTE_PGM_RSRC2:TIDIG_COMP_CNT: 0
	.section	.text._ZL33flash_attn_stream_k_fixup_generalILi128ELi8ELi2EEvPfPK15HIP_vector_typeIfLj2EEiiiiS1_IjLj3EES5_S5_S5_,"axG",@progbits,_ZL33flash_attn_stream_k_fixup_generalILi128ELi8ELi2EEvPfPK15HIP_vector_typeIfLj2EEiiiiS1_IjLj3EES5_S5_S5_,comdat
	.globl	_ZL33flash_attn_stream_k_fixup_generalILi128ELi8ELi2EEvPfPK15HIP_vector_typeIfLj2EEiiiiS1_IjLj3EES5_S5_S5_ ; -- Begin function _ZL33flash_attn_stream_k_fixup_generalILi128ELi8ELi2EEvPfPK15HIP_vector_typeIfLj2EEiiiiS1_IjLj3EES5_S5_S5_
	.p2align	8
	.type	_ZL33flash_attn_stream_k_fixup_generalILi128ELi8ELi2EEvPfPK15HIP_vector_typeIfLj2EEiiiiS1_IjLj3EES5_S5_S5_,@function
_ZL33flash_attn_stream_k_fixup_generalILi128ELi8ELi2EEvPfPK15HIP_vector_typeIfLj2EEiiiiS1_IjLj3EES5_S5_S5_: ; @_ZL33flash_attn_stream_k_fixup_generalILi128ELi8ELi2EEvPfPK15HIP_vector_typeIfLj2EEiiiiS1_IjLj3EES5_S5_S5_
; %bb.0:
	s_clause 0x1
	s_load_b128 s[4:7], s[0:1], 0x10
	s_load_b32 s16, s[0:1], 0x50
	s_mov_b32 s2, ttmp9
	s_ashr_i32 s3, ttmp9, 31
	s_mov_b32 s17, 0
	s_delay_alu instid0(SALU_CYCLE_1) | instskip(SKIP_3) | instid1(SALU_CYCLE_1)
	s_mov_b32 s8, s17
	s_wait_kmcnt 0x0
	s_ashr_i32 s19, s7, 31
	s_mov_b32 s18, s7
	s_mul_u64 s[2:3], s[18:19], s[2:3]
	s_delay_alu instid0(SALU_CYCLE_1) | instskip(NEXT) | instid1(SALU_CYCLE_1)
	s_mov_b32 s9, s3
	s_cmp_lg_u64 s[8:9], 0
	s_cbranch_scc0 .LBB42_21
; %bb.1:
	s_add_nc_u64 s[8:9], s[16:17], 0
	s_mov_b32 s15, s17
	s_xor_b64 s[8:9], s[8:9], 0
	s_mov_b32 s23, s17
	s_cvt_f32_u32 s7, s8
	s_cvt_f32_u32 s10, s9
	s_sub_nc_u64 s[12:13], 0, s[8:9]
	s_delay_alu instid0(SALU_CYCLE_2) | instskip(NEXT) | instid1(SALU_CYCLE_3)
	s_fmamk_f32 s7, s10, 0x4f800000, s7
	v_s_rcp_f32 s7, s7
	s_delay_alu instid0(TRANS32_DEP_1) | instskip(SKIP_1) | instid1(SALU_CYCLE_2)
	s_mul_f32 s7, s7, 0x5f7ffffc
	s_wait_alu 0xfffe
	s_mul_f32 s10, s7, 0x2f800000
	s_delay_alu instid0(SALU_CYCLE_3) | instskip(NEXT) | instid1(SALU_CYCLE_3)
	s_trunc_f32 s10, s10
	s_fmamk_f32 s7, s10, 0xcf800000, s7
	s_cvt_u32_f32 s11, s10
	s_wait_alu 0xfffe
	s_delay_alu instid0(SALU_CYCLE_1) | instskip(NEXT) | instid1(SALU_CYCLE_3)
	s_cvt_u32_f32 s10, s7
	s_mul_u64 s[20:21], s[12:13], s[10:11]
	s_delay_alu instid0(SALU_CYCLE_1)
	s_mul_hi_u32 s25, s10, s21
	s_mul_i32 s24, s10, s21
	s_mul_hi_u32 s14, s10, s20
	s_mul_i32 s22, s11, s20
	s_add_nc_u64 s[14:15], s[14:15], s[24:25]
	s_mul_hi_u32 s7, s11, s20
	s_mul_hi_u32 s26, s11, s21
	s_add_co_u32 s14, s14, s22
	s_wait_alu 0xfffe
	s_add_co_ci_u32 s22, s15, s7
	s_mul_i32 s20, s11, s21
	s_add_co_ci_u32 s21, s26, 0
	s_delay_alu instid0(SALU_CYCLE_1)
	s_add_nc_u64 s[14:15], s[22:23], s[20:21]
	s_mov_b32 s21, s17
	s_add_co_u32 s10, s10, s14
	s_cselect_b32 s7, -1, 0
	s_wait_alu 0xfffe
	s_cmp_lg_u32 s7, 0
	s_add_co_ci_u32 s11, s11, s15
	s_mov_b32 s15, s17
	s_mul_u64 s[12:13], s[12:13], s[10:11]
	s_delay_alu instid0(SALU_CYCLE_1)
	s_mul_hi_u32 s23, s10, s13
	s_mul_i32 s22, s10, s13
	s_mul_hi_u32 s14, s10, s12
	s_mul_i32 s20, s11, s12
	s_add_nc_u64 s[14:15], s[14:15], s[22:23]
	s_mul_hi_u32 s7, s11, s12
	s_mul_hi_u32 s24, s11, s13
	s_mul_i32 s12, s11, s13
	s_add_co_u32 s13, s14, s20
	s_wait_alu 0xfffe
	s_add_co_ci_u32 s20, s15, s7
	s_add_co_ci_u32 s13, s24, 0
	s_mov_b32 s15, s17
	s_add_nc_u64 s[12:13], s[20:21], s[12:13]
	s_delay_alu instid0(SALU_CYCLE_1) | instskip(SKIP_1) | instid1(SALU_CYCLE_1)
	s_add_co_u32 s7, s10, s12
	s_cselect_b32 s10, -1, 0
	s_cmp_lg_u32 s10, 0
	s_add_co_ci_u32 s20, s11, s13
	s_ashr_i32 s10, s3, 31
	s_delay_alu instid0(SALU_CYCLE_1) | instskip(NEXT) | instid1(SALU_CYCLE_1)
	s_mov_b32 s11, s10
	s_add_nc_u64 s[12:13], s[2:3], s[10:11]
	s_delay_alu instid0(SALU_CYCLE_1) | instskip(NEXT) | instid1(SALU_CYCLE_1)
	s_xor_b64 s[12:13], s[12:13], s[10:11]
	s_mul_hi_u32 s23, s12, s20
	s_mul_i32 s22, s12, s20
	s_wait_alu 0xfffe
	s_mul_hi_u32 s14, s12, s7
	s_mul_hi_u32 s24, s13, s7
	s_mul_i32 s7, s13, s7
	s_add_nc_u64 s[14:15], s[14:15], s[22:23]
	s_mul_hi_u32 s3, s13, s20
	s_wait_alu 0xfffe
	s_add_co_u32 s7, s14, s7
	s_mul_i32 s22, s13, s20
	s_add_co_ci_u32 s20, s15, s24
	s_add_co_ci_u32 s23, s3, 0
	s_delay_alu instid0(SALU_CYCLE_1) | instskip(NEXT) | instid1(SALU_CYCLE_1)
	s_add_nc_u64 s[14:15], s[20:21], s[22:23]
	s_mul_u64 s[20:21], s[8:9], s[14:15]
	s_delay_alu instid0(SALU_CYCLE_1)
	s_sub_co_u32 s3, s12, s20
	s_cselect_b32 s7, -1, 0
	s_sub_co_i32 s12, s13, s21
	s_wait_alu 0xfffe
	s_cmp_lg_u32 s7, 0
	s_sub_co_ci_u32 s12, s12, s9
	s_sub_co_u32 s20, s3, s8
	s_cselect_b32 s22, -1, 0
	s_delay_alu instid0(SALU_CYCLE_1) | instskip(SKIP_2) | instid1(SALU_CYCLE_1)
	s_cmp_lg_u32 s22, 0
	s_add_nc_u64 s[22:23], s[14:15], 1
	s_sub_co_ci_u32 s12, s12, 0
	s_cmp_ge_u32 s12, s9
	s_cselect_b32 s24, -1, 0
	s_cmp_ge_u32 s20, s8
	s_cselect_b32 s20, -1, 0
	s_cmp_eq_u32 s12, s9
	s_cselect_b32 s12, s20, s24
	s_add_nc_u64 s[24:25], s[14:15], 2
	s_cmp_lg_u32 s12, 0
	s_cselect_b32 s12, s24, s22
	s_cselect_b32 s20, s25, s23
	s_cmp_lg_u32 s7, 0
	s_sub_co_ci_u32 s7, s13, s21
	s_wait_alu 0xfffe
	s_cmp_ge_u32 s7, s9
	s_cselect_b32 s13, -1, 0
	s_cmp_ge_u32 s3, s8
	s_cselect_b32 s3, -1, 0
	s_cmp_eq_u32 s7, s9
	s_cselect_b32 s3, s3, s13
	s_delay_alu instid0(SALU_CYCLE_1) | instskip(SKIP_4) | instid1(SALU_CYCLE_1)
	s_cmp_lg_u32 s3, 0
	s_mov_b32 s3, s17
	s_cselect_b32 s9, s20, s15
	s_cselect_b32 s8, s12, s14
	s_xor_b64 s[10:11], s[10:11], 0
	s_xor_b64 s[8:9], s[8:9], s[10:11]
	s_delay_alu instid0(SALU_CYCLE_1)
	s_sub_nc_u64 s[20:21], s[8:9], s[10:11]
	s_and_not1_b32 vcc_lo, exec_lo, s3
	s_cbranch_vccnz .LBB42_3
.LBB42_2:
	v_cvt_f32_u32_e32 v1, s16
	s_sub_co_i32 s7, 0, s16
	s_delay_alu instid0(VALU_DEP_1) | instskip(NEXT) | instid1(TRANS32_DEP_1)
	v_rcp_iflag_f32_e32 v1, v1
	v_mul_f32_e32 v1, 0x4f7ffffe, v1
	s_delay_alu instid0(VALU_DEP_1) | instskip(NEXT) | instid1(VALU_DEP_1)
	v_cvt_u32_f32_e32 v1, v1
	v_readfirstlane_b32 s3, v1
	s_wait_alu 0xfffe
	s_mul_i32 s7, s7, s3
	s_wait_alu 0xfffe
	s_mul_hi_u32 s7, s3, s7
	s_wait_alu 0xfffe
	s_add_co_i32 s3, s3, s7
	s_delay_alu instid0(SALU_CYCLE_1) | instskip(NEXT) | instid1(SALU_CYCLE_1)
	s_mul_hi_u32 s3, s2, s3
	s_mul_i32 s7, s3, s16
	s_wait_alu 0xfffe
	s_sub_co_i32 s2, s2, s7
	s_add_co_i32 s7, s3, 1
	s_sub_co_i32 s8, s2, s16
	s_cmp_ge_u32 s2, s16
	s_wait_alu 0xfffe
	s_cselect_b32 s3, s7, s3
	s_cselect_b32 s2, s8, s2
	s_add_co_i32 s7, s3, 1
	s_cmp_ge_u32 s2, s16
	s_wait_alu 0xfffe
	s_cselect_b32 s20, s7, s3
.LBB42_3:
	s_add_co_i32 s2, ttmp9, 1
	s_mov_b32 s8, 0
	s_ashr_i32 s3, s2, 31
	s_delay_alu instid0(SALU_CYCLE_1) | instskip(NEXT) | instid1(SALU_CYCLE_1)
	s_mul_u64 s[2:3], s[18:19], s[2:3]
	s_mov_b32 s9, s3
	s_delay_alu instid0(SALU_CYCLE_1)
	s_cmp_lg_u64 s[8:9], 0
	s_cbranch_scc0 .LBB42_22
; %bb.4:
	s_add_nc_u64 s[10:11], s[16:17], 0
	s_mov_b32 s23, s8
	s_xor_b64 s[10:11], s[10:11], 0
	s_mov_b32 s27, s8
	s_cvt_f32_u32 s7, s10
	s_cvt_f32_u32 s9, s11
	s_sub_nc_u64 s[14:15], 0, s[10:11]
	s_wait_alu 0xfffe
	s_delay_alu instid0(SALU_CYCLE_1) | instskip(SKIP_1) | instid1(SALU_CYCLE_2)
	s_fmamk_f32 s7, s9, 0x4f800000, s7
	s_wait_alu 0xfffe
	v_s_rcp_f32 s7, s7
	s_delay_alu instid0(TRANS32_DEP_1) | instskip(SKIP_1) | instid1(SALU_CYCLE_2)
	s_mul_f32 s7, s7, 0x5f7ffffc
	s_wait_alu 0xfffe
	s_mul_f32 s9, s7, 0x2f800000
	s_delay_alu instid0(SALU_CYCLE_3) | instskip(NEXT) | instid1(SALU_CYCLE_3)
	s_trunc_f32 s9, s9
	s_fmamk_f32 s7, s9, 0xcf800000, s7
	s_cvt_u32_f32 s13, s9
	s_wait_alu 0xfffe
	s_delay_alu instid0(SALU_CYCLE_1) | instskip(NEXT) | instid1(SALU_CYCLE_3)
	s_cvt_u32_f32 s12, s7
	s_mul_u64 s[24:25], s[14:15], s[12:13]
	s_delay_alu instid0(SALU_CYCLE_1)
	s_mul_hi_u32 s29, s12, s25
	s_mul_i32 s28, s12, s25
	s_mul_hi_u32 s22, s12, s24
	s_mul_i32 s9, s13, s24
	s_add_nc_u64 s[22:23], s[22:23], s[28:29]
	s_mul_hi_u32 s7, s13, s24
	s_mul_hi_u32 s21, s13, s25
	s_add_co_u32 s9, s22, s9
	s_wait_alu 0xfffe
	s_add_co_ci_u32 s26, s23, s7
	s_mul_i32 s24, s13, s25
	s_add_co_ci_u32 s25, s21, 0
	s_delay_alu instid0(SALU_CYCLE_1)
	s_add_nc_u64 s[22:23], s[26:27], s[24:25]
	s_mov_b32 s25, s8
	s_add_co_u32 s12, s12, s22
	s_cselect_b32 s7, -1, 0
	s_wait_alu 0xfffe
	s_cmp_lg_u32 s7, 0
	s_add_co_ci_u32 s13, s13, s23
	s_mov_b32 s23, s8
	s_mul_u64 s[14:15], s[14:15], s[12:13]
	s_delay_alu instid0(SALU_CYCLE_1)
	s_mul_hi_u32 s27, s12, s15
	s_mul_i32 s26, s12, s15
	s_mul_hi_u32 s22, s12, s14
	s_mul_i32 s9, s13, s14
	s_add_nc_u64 s[22:23], s[22:23], s[26:27]
	s_mul_hi_u32 s7, s13, s14
	s_mul_hi_u32 s21, s13, s15
	s_add_co_u32 s9, s22, s9
	s_wait_alu 0xfffe
	s_add_co_ci_u32 s24, s23, s7
	s_mul_i32 s14, s13, s15
	s_add_co_ci_u32 s15, s21, 0
	s_mov_b32 s23, s8
	s_add_nc_u64 s[14:15], s[24:25], s[14:15]
	s_delay_alu instid0(SALU_CYCLE_1) | instskip(SKIP_1) | instid1(SALU_CYCLE_1)
	s_add_co_u32 s7, s12, s14
	s_cselect_b32 s9, -1, 0
	s_cmp_lg_u32 s9, 0
	s_add_co_ci_u32 s9, s13, s15
	s_ashr_i32 s12, s3, 31
	s_delay_alu instid0(SALU_CYCLE_1) | instskip(NEXT) | instid1(SALU_CYCLE_1)
	s_mov_b32 s13, s12
	s_add_nc_u64 s[14:15], s[2:3], s[12:13]
	s_delay_alu instid0(SALU_CYCLE_1) | instskip(NEXT) | instid1(SALU_CYCLE_1)
	s_xor_b64 s[14:15], s[14:15], s[12:13]
	s_mul_hi_u32 s27, s14, s9
	s_mul_i32 s26, s14, s9
	s_wait_alu 0xfffe
	s_mul_hi_u32 s22, s14, s7
	s_mul_hi_u32 s21, s15, s7
	s_mul_i32 s7, s15, s7
	s_add_nc_u64 s[22:23], s[22:23], s[26:27]
	s_mul_hi_u32 s3, s15, s9
	s_wait_alu 0xfffe
	s_add_co_u32 s7, s22, s7
	s_add_co_ci_u32 s24, s23, s21
	s_mul_i32 s26, s15, s9
	s_add_co_ci_u32 s27, s3, 0
	s_delay_alu instid0(SALU_CYCLE_1) | instskip(NEXT) | instid1(SALU_CYCLE_1)
	s_add_nc_u64 s[22:23], s[24:25], s[26:27]
	s_mul_u64 s[24:25], s[10:11], s[22:23]
	s_add_nc_u64 s[26:27], s[22:23], 1
	s_sub_co_u32 s3, s14, s24
	s_cselect_b32 s7, -1, 0
	s_sub_co_i32 s9, s15, s25
	s_wait_alu 0xfffe
	s_cmp_lg_u32 s7, 0
	s_add_nc_u64 s[28:29], s[22:23], 2
	s_sub_co_ci_u32 s9, s9, s11
	s_sub_co_u32 s14, s3, s10
	s_cselect_b32 s21, -1, 0
	s_delay_alu instid0(SALU_CYCLE_1) | instskip(SKIP_1) | instid1(SALU_CYCLE_1)
	s_cmp_lg_u32 s21, 0
	s_sub_co_ci_u32 s9, s9, 0
	s_cmp_ge_u32 s9, s11
	s_cselect_b32 s21, -1, 0
	s_cmp_ge_u32 s14, s10
	s_cselect_b32 s14, -1, 0
	s_cmp_eq_u32 s9, s11
	s_cselect_b32 s9, s14, s21
	s_delay_alu instid0(SALU_CYCLE_1)
	s_cmp_lg_u32 s9, 0
	s_cselect_b32 s9, s28, s26
	s_cselect_b32 s14, s29, s27
	s_cmp_lg_u32 s7, 0
	s_sub_co_ci_u32 s7, s15, s25
	s_wait_alu 0xfffe
	s_cmp_ge_u32 s7, s11
	s_cselect_b32 s15, -1, 0
	s_cmp_ge_u32 s3, s10
	s_cselect_b32 s3, -1, 0
	s_cmp_eq_u32 s7, s11
	s_cselect_b32 s3, s3, s15
	s_delay_alu instid0(SALU_CYCLE_1) | instskip(SKIP_3) | instid1(SALU_CYCLE_1)
	s_cmp_lg_u32 s3, 0
	s_cselect_b32 s11, s14, s23
	s_cselect_b32 s10, s9, s22
	s_xor_b64 s[12:13], s[12:13], 0
	s_xor_b64 s[10:11], s[10:11], s[12:13]
	s_delay_alu instid0(SALU_CYCLE_1)
	s_sub_nc_u64 s[10:11], s[10:11], s[12:13]
	s_load_b96 s[12:14], s[0:1], 0x44
	s_and_not1_b32 vcc_lo, exec_lo, s8
	s_cbranch_vccnz .LBB42_6
.LBB42_5:
	v_cvt_f32_u32_e32 v1, s16
	s_sub_co_i32 s7, 0, s16
	s_delay_alu instid0(VALU_DEP_1) | instskip(NEXT) | instid1(TRANS32_DEP_1)
	v_rcp_iflag_f32_e32 v1, v1
	v_mul_f32_e32 v1, 0x4f7ffffe, v1
	s_delay_alu instid0(VALU_DEP_1) | instskip(NEXT) | instid1(VALU_DEP_1)
	v_cvt_u32_f32_e32 v1, v1
	v_readfirstlane_b32 s3, v1
	s_wait_alu 0xfffe
	s_mul_i32 s7, s7, s3
	s_wait_alu 0xfffe
	s_mul_hi_u32 s7, s3, s7
	s_wait_alu 0xfffe
	s_add_co_i32 s3, s3, s7
	s_delay_alu instid0(SALU_CYCLE_1) | instskip(NEXT) | instid1(SALU_CYCLE_1)
	s_mul_hi_u32 s3, s2, s3
	s_mul_i32 s7, s3, s16
	s_wait_alu 0xfffe
	s_sub_co_i32 s2, s2, s7
	s_add_co_i32 s7, s3, 1
	s_sub_co_i32 s8, s2, s16
	s_cmp_ge_u32 s2, s16
	s_wait_alu 0xfffe
	s_cselect_b32 s3, s7, s3
	s_cselect_b32 s2, s8, s2
	s_add_co_i32 s7, s3, 1
	s_cmp_ge_u32 s2, s16
	s_wait_alu 0xfffe
	s_cselect_b32 s10, s7, s3
.LBB42_6:
	s_mov_b32 s21, 0
	s_wait_kmcnt 0x0
	s_mov_b32 s22, s12
	s_mov_b32 s23, s21
	s_cmp_eq_u32 s20, s10
	s_mul_u64 s[2:3], s[20:21], s[22:23]
	s_cselect_b32 s7, -1, 0
	s_add_co_i32 s2, s3, s20
	s_mov_b32 s11, s21
	s_lshr_b32 s12, s2, s13
	s_mul_u64 s[2:3], s[10:11], s[22:23]
	s_mul_i32 s2, s12, s14
	s_delay_alu instid0(SALU_CYCLE_1) | instskip(SKIP_2) | instid1(SALU_CYCLE_1)
	s_cmp_eq_u32 s2, s20
	s_cselect_b32 s2, -1, 0
	s_add_co_i32 s3, s3, s10
	s_lshr_b32 s3, s3, s13
	s_delay_alu instid0(SALU_CYCLE_1)
	s_cmp_eq_u32 s12, s3
	s_mul_i32 s3, s3, s14
	s_cselect_b32 s8, -1, 0
	s_cmp_lg_u32 s3, s10
	s_cselect_b32 s3, -1, 0
	s_wait_alu 0xfffe
	s_or_b32 s2, s7, s2
	s_and_b32 s3, s8, s3
	s_delay_alu instid0(SALU_CYCLE_1) | instskip(NEXT) | instid1(SALU_CYCLE_1)
	s_or_b32 s2, s2, s3
	s_and_b32 vcc_lo, exec_lo, s2
	s_cbranch_vccnz .LBB42_24
; %bb.7:
	s_load_b256 s[24:31], s[0:1], 0x20
	s_mov_b32 s3, s21
	s_wait_kmcnt 0x0
	s_mov_b32 s2, s24
	s_delay_alu instid0(SALU_CYCLE_1) | instskip(NEXT) | instid1(SALU_CYCLE_1)
	s_mul_u64 s[2:3], s[20:21], s[2:3]
	s_add_co_i32 s2, s3, s20
	s_delay_alu instid0(SALU_CYCLE_1) | instskip(SKIP_2) | instid1(SALU_CYCLE_1)
	s_lshr_b32 s7, s2, s25
	s_load_b32 s2, s[0:1], 0x40
	s_mul_i32 s3, s7, s26
	s_sub_co_i32 s3, s20, s3
	s_delay_alu instid0(SALU_CYCLE_1) | instskip(NEXT) | instid1(SALU_CYCLE_1)
	s_mul_hi_u32 s8, s3, s27
	s_add_co_i32 s8, s3, s8
	s_delay_alu instid0(SALU_CYCLE_1) | instskip(NEXT) | instid1(SALU_CYCLE_1)
	s_lshr_b32 s8, s8, s28
	s_mul_i32 s9, s8, s29
	s_delay_alu instid0(SALU_CYCLE_1) | instskip(NEXT) | instid1(SALU_CYCLE_1)
	s_sub_co_i32 s9, s3, s9
	s_mul_hi_u32 s3, s9, s30
	s_delay_alu instid0(SALU_CYCLE_1) | instskip(NEXT) | instid1(SALU_CYCLE_1)
	s_add_co_i32 s3, s9, s3
	s_lshr_b32 s24, s3, s31
	s_mov_b32 s3, s21
	s_wait_kmcnt 0x0
	s_mul_i32 s2, s24, s2
	s_lshl_b32 s21, s24, 1
	s_sub_co_i32 s2, s9, s2
	s_delay_alu instid0(SALU_CYCLE_1) | instskip(SKIP_2) | instid1(SALU_CYCLE_1)
	s_mul_u64 s[10:11], s[2:3], s[22:23]
	s_lshr_b32 s3, ttmp7, 16
	s_add_co_i32 s2, s2, s11
	s_lshr_b32 s15, s2, s13
	s_and_b32 s2, ttmp7, 0xffff
	s_lshl_b32 s9, s15, 3
	s_delay_alu instid0(SALU_CYCLE_1) | instskip(NEXT) | instid1(SALU_CYCLE_1)
	s_add_co_i32 s9, s9, s2
	s_cmp_lt_i32 s9, s4
	s_cselect_b32 s9, -1, 0
	s_add_co_i32 s10, s21, s3
	s_delay_alu instid0(SALU_CYCLE_1) | instskip(SKIP_1) | instid1(SALU_CYCLE_1)
	s_cmp_lt_i32 s10, s6
	s_cselect_b32 s10, -1, 0
	s_and_b32 s9, s9, s10
	s_delay_alu instid0(SALU_CYCLE_1)
	s_and_not1_b32 vcc_lo, exec_lo, s9
	s_cbranch_vccnz .LBB42_24
; %bb.8:
	s_mul_i32 s4, s7, s4
	s_mul_i32 s6, s8, s6
	s_add_co_i32 s4, s4, s2
	s_load_b128 s[8:11], s[0:1], 0x0
	s_mul_i32 s4, s4, s5
	s_mul_i32 s1, s5, s15
	s_add_co_i32 s4, s4, s3
	s_lshl_b32 s1, s1, 10
	s_add_co_i32 s0, s4, s6
	s_lshl_b32 s15, s2, 1
	s_add_co_i32 s0, s0, s21
	s_add_co_i32 s15, s15, s3
	s_lshl_b32 s0, s0, 7
	v_cvt_f32_u32_e32 v4, s16
	s_add_co_i32 s1, s1, s0
	s_add_co_i32 s34, ttmp9, -1
	v_or_b32_e32 v1, s1, v0
	s_add_nc_u64 s[0:1], s[16:17], 0
	v_rcp_iflag_f32_e32 v4, v4
	s_wait_alu 0xfffe
	s_xor_b64 s[6:7], s[0:1], 0
	s_lshl_b32 s0, ttmp9, 4
	v_ashrrev_i32_e32 v2, 31, v1
	s_wait_alu 0xfffe
	s_cvt_f32_u32 s1, s6
	s_cvt_f32_u32 s2, s7
	s_add_co_i32 s0, s15, s0
	v_lshl_or_b32 v0, s15, 7, v0
	v_lshlrev_b64_e32 v[1:2], 2, v[1:2]
	s_wait_alu 0xfffe
	s_fmamk_f32 s2, s2, 0x4f800000, s1
	s_ashr_i32 s1, s0, 31
	s_sub_nc_u64 s[30:31], 0, s[6:7]
	s_wait_alu 0xfffe
	s_lshl_b64 s[0:1], s[0:1], 3
	v_s_rcp_f32 s2, s2
	s_wait_kmcnt 0x0
	v_add_co_u32 v1, vcc_lo, s8, v1
	s_delay_alu instid0(VALU_DEP_1)
	v_add_co_ci_u32_e64 v2, null, s9, v2, vcc_lo
	s_wait_alu 0xfffe
	s_add_nc_u64 s[0:1], s[10:11], s[0:1]
	s_mov_b32 s8, 0
	s_load_b64 s[26:27], s[0:1], 0x0
	global_load_b32 v3, v[1:2], off
	s_mul_f32 s2, s2, 0x5f7ffffc
	v_mul_f32_e32 v4, 0x4f7ffffe, v4
	s_lshl_b32 s0, s16, 6
	s_wait_alu 0xfffe
	s_mul_f32 s1, s2, 0x2f800000
	s_wait_alu 0xfffe
	s_delay_alu instid0(SALU_CYCLE_2)
	s_trunc_f32 s3, s1
	s_mov_b32 s1, s8
	s_wait_alu 0xfffe
	s_lshl_b64 s[0:1], s[0:1], 2
	s_fmamk_f32 s2, s3, 0xcf800000, s2
	s_cvt_u32_f32 s29, s3
	s_wait_alu 0xfffe
	s_add_nc_u64 s[24:25], s[10:11], s[0:1]
	s_cvt_u32_f32 s28, s2
	s_wait_kmcnt 0x0
	v_mov_b32_e32 v5, s27
	v_cvt_u32_f32_e32 v4, v4
.LBB42_9:                               ; =>This Inner Loop Header: Depth=1
	s_wait_alu 0xfffe
	s_ashr_i32 s35, s34, 31
	s_mov_b32 s2, -1
	s_wait_alu 0xfffe
	s_mul_u64 s[0:1], s[34:35], s[18:19]
                                        ; implicit-def: $sgpr38_sgpr39
	s_wait_alu 0xfffe
	s_mov_b32 s9, s1
	s_wait_alu 0xfffe
	s_cmp_lg_u64 s[8:9], 0
	s_cbranch_scc0 .LBB42_11
; %bb.10:                               ;   in Loop: Header=BB42_9 Depth=1
	s_mul_u64 s[2:3], s[30:31], s[28:29]
	s_mov_b32 s37, s8
	s_wait_alu 0xfffe
	s_mul_hi_u32 s5, s28, s3
	s_mul_i32 s4, s28, s3
	s_mul_hi_u32 s36, s28, s2
	s_mul_hi_u32 s9, s29, s2
	s_wait_alu 0xfffe
	s_add_nc_u64 s[4:5], s[36:37], s[4:5]
	s_mul_i32 s2, s29, s2
	s_mul_hi_u32 s17, s29, s3
	s_wait_alu 0xfffe
	s_add_co_u32 s2, s4, s2
	s_add_co_ci_u32 s2, s5, s9
	s_add_co_ci_u32 s5, s17, 0
	s_mul_i32 s4, s29, s3
	s_mov_b32 s3, s8
	s_mov_b32 s39, s8
	s_wait_alu 0xfffe
	s_add_nc_u64 s[2:3], s[2:3], s[4:5]
	s_wait_alu 0xfffe
	s_add_co_u32 s2, s28, s2
	s_cselect_b32 s4, -1, 0
	s_wait_alu 0xfffe
	s_cmp_lg_u32 s4, 0
	s_add_co_ci_u32 s3, s29, s3
	s_wait_alu 0xfffe
	s_mul_u64 s[4:5], s[30:31], s[2:3]
	s_wait_alu 0xfffe
	s_mul_hi_u32 s37, s2, s5
	s_mul_i32 s36, s2, s5
	s_mul_hi_u32 s38, s2, s4
	s_mul_hi_u32 s9, s3, s4
	s_mul_i32 s4, s3, s4
	s_wait_alu 0xfffe
	s_add_nc_u64 s[36:37], s[38:39], s[36:37]
	s_mul_hi_u32 s17, s3, s5
	s_wait_alu 0xfffe
	s_add_co_u32 s4, s36, s4
	s_add_co_ci_u32 s4, s37, s9
	s_add_co_ci_u32 s37, s17, 0
	s_mul_i32 s36, s3, s5
	s_mov_b32 s5, s8
	s_wait_alu 0xfffe
	s_add_nc_u64 s[4:5], s[4:5], s[36:37]
	s_mov_b32 s37, s8
	s_wait_alu 0xfffe
	s_add_co_u32 s9, s2, s4
	s_cselect_b32 s2, -1, 0
	s_wait_alu 0xfffe
	s_cmp_lg_u32 s2, 0
	s_add_co_ci_u32 s17, s3, s5
	s_ashr_i32 s2, s1, 31
	s_wait_alu 0xfffe
	s_mov_b32 s3, s2
	s_wait_alu 0xfffe
	s_add_nc_u64 s[4:5], s[0:1], s[2:3]
	s_wait_alu 0xfffe
	s_xor_b64 s[4:5], s[4:5], s[2:3]
	s_wait_alu 0xfffe
	s_mul_hi_u32 s39, s4, s17
	s_mul_i32 s38, s4, s17
	s_mul_hi_u32 s36, s4, s9
	s_mul_i32 s21, s5, s9
	s_wait_alu 0xfffe
	s_add_nc_u64 s[36:37], s[36:37], s[38:39]
	s_mul_hi_u32 s9, s5, s9
	s_mul_hi_u32 s1, s5, s17
	s_wait_alu 0xfffe
	s_add_co_u32 s21, s36, s21
	s_add_co_ci_u32 s36, s37, s9
	s_add_co_ci_u32 s39, s1, 0
	s_mul_i32 s38, s5, s17
	s_mov_b32 s37, s8
	s_wait_alu 0xfffe
	s_add_nc_u64 s[36:37], s[36:37], s[38:39]
	s_wait_alu 0xfffe
	s_mul_u64 s[38:39], s[6:7], s[36:37]
	s_add_nc_u64 s[40:41], s[36:37], 1
	s_sub_co_u32 s1, s4, s38
	s_cselect_b32 s4, -1, 0
	s_sub_co_i32 s9, s5, s39
	s_wait_alu 0xfffe
	s_cmp_lg_u32 s4, 0
	s_add_nc_u64 s[42:43], s[36:37], 2
	s_sub_co_ci_u32 s9, s9, s7
	s_sub_co_u32 s17, s1, s6
	s_cselect_b32 s21, -1, 0
	s_delay_alu instid0(SALU_CYCLE_1)
	s_cmp_lg_u32 s21, 0
	s_wait_alu 0xfffe
	s_sub_co_ci_u32 s9, s9, 0
	s_wait_alu 0xfffe
	s_cmp_ge_u32 s9, s7
	s_cselect_b32 s21, -1, 0
	s_cmp_ge_u32 s17, s6
	s_cselect_b32 s17, -1, 0
	s_cmp_eq_u32 s9, s7
	s_wait_alu 0xfffe
	s_cselect_b32 s9, s17, s21
	s_wait_alu 0xfffe
	s_cmp_lg_u32 s9, 0
	s_cselect_b32 s9, s42, s40
	s_cselect_b32 s17, s43, s41
	s_cmp_lg_u32 s4, 0
	s_sub_co_ci_u32 s4, s5, s39
	s_wait_alu 0xfffe
	s_cmp_ge_u32 s4, s7
	s_cselect_b32 s5, -1, 0
	s_cmp_ge_u32 s1, s6
	s_cselect_b32 s1, -1, 0
	s_cmp_eq_u32 s4, s7
	s_wait_alu 0xfffe
	s_cselect_b32 s1, s1, s5
	s_wait_alu 0xfffe
	s_cmp_lg_u32 s1, 0
	s_cselect_b32 s5, s17, s37
	s_cselect_b32 s4, s9, s36
	s_xor_b64 s[2:3], s[2:3], 0
	s_wait_alu 0xfffe
	s_xor_b64 s[4:5], s[4:5], s[2:3]
	s_wait_alu 0xfffe
	s_sub_nc_u64 s[38:39], s[4:5], s[2:3]
	s_mov_b32 s2, 0
.LBB42_11:                              ;   in Loop: Header=BB42_9 Depth=1
	s_wait_alu 0xfffe
	s_and_not1_b32 vcc_lo, exec_lo, s2
	s_wait_alu 0xfffe
	s_cbranch_vccnz .LBB42_13
; %bb.12:                               ;   in Loop: Header=BB42_9 Depth=1
	v_readfirstlane_b32 s1, v4
	s_sub_co_i32 s2, 0, s16
	s_wait_alu 0xfffe
	s_mul_i32 s2, s2, s1
	s_wait_alu 0xfffe
	s_mul_hi_u32 s2, s1, s2
	s_wait_alu 0xfffe
	s_add_co_i32 s1, s1, s2
	s_wait_alu 0xfffe
	s_mul_hi_u32 s1, s0, s1
	s_wait_alu 0xfffe
	s_mul_i32 s2, s1, s16
	s_wait_alu 0xfffe
	s_sub_co_i32 s0, s0, s2
	s_add_co_i32 s2, s1, 1
	s_wait_alu 0xfffe
	s_sub_co_i32 s3, s0, s16
	s_cmp_ge_u32 s0, s16
	s_cselect_b32 s1, s2, s1
	s_wait_alu 0xfffe
	s_cselect_b32 s0, s3, s0
	s_add_co_i32 s2, s1, 1
	s_wait_alu 0xfffe
	s_cmp_ge_u32 s0, s16
	s_cselect_b32 s38, s2, s1
.LBB42_13:                              ;   in Loop: Header=BB42_9 Depth=1
	v_readfirstlane_b32 s9, v0
	s_cmp_lg_u32 s20, s38
	s_mov_b32 s0, -1
                                        ; implicit-def: $sgpr21
                                        ; implicit-def: $vgpr6
                                        ; implicit-def: $vgpr7
                                        ; implicit-def: $sgpr17
                                        ; implicit-def: $sgpr27
	s_cbranch_scc1 .LBB42_16
; %bb.14:                               ;   in Loop: Header=BB42_9 Depth=1
	s_wait_alu 0xfffe
	s_and_not1_b32 vcc_lo, exec_lo, s0
	s_wait_alu 0xfffe
	s_cbranch_vccz .LBB42_19
.LBB42_15:                              ;   in Loop: Header=BB42_9 Depth=1
	s_and_not1_b32 vcc_lo, exec_lo, s21
	s_wait_alu 0xfffe
	s_cbranch_vccnz .LBB42_20
	s_branch .LBB42_23
.LBB42_16:                              ;   in Loop: Header=BB42_9 Depth=1
	s_add_co_i32 s0, s34, s16
	s_mov_b32 s1, s8
	s_wait_alu 0xfffe
	s_lshl_b32 s0, s0, 4
	v_max_num_f32_e64 v6, s26, s26
	s_wait_alu 0xfffe
	s_add_co_i32 s0, s0, s15
	s_mov_b32 s39, s8
	s_wait_alu 0xfffe
	s_lshl_b64 s[0:1], s[0:1], 3
	s_mul_u64 s[40:41], s[38:39], s[22:23]
	s_wait_alu 0xfffe
	s_add_nc_u64 s[0:1], s[10:11], s[0:1]
	s_mov_b32 s27, s20
	s_load_b64 s[36:37], s[0:1], 0x0
	v_readfirstlane_b32 s0, v6
	s_wait_kmcnt 0x0
	v_max_num_f32_e64 v7, s36, s36
	s_delay_alu instid0(VALU_DEP_1) | instskip(SKIP_2) | instid1(SALU_CYCLE_2)
	v_readfirstlane_b32 s1, v7
	s_max_num_f32 s9, s0, s1
	s_wait_alu 0xfffe
	s_sub_f32 s33, s26, s9
	s_sub_f32 s35, s36, s9
	s_wait_alu 0xfffe
	s_delay_alu instid0(SALU_CYCLE_1)
	s_cmp_nlt_f32 s33, 0xc2ce8ed0
	s_cselect_b32 s0, -1, 0
	s_cmp_ngt_f32 s33, 0x42b17218
	s_cselect_b32 s1, -1, 0
	s_cmp_ge_f32 s33, 0xc1a00000
	s_cselect_b32 s2, -1, 0
	s_cmp_nlt_f32 s35, 0xc2ce8ed0
	s_cselect_b32 s3, -1, 0
	s_cmp_ngt_f32 s35, 0x42b17218
	s_cselect_b32 s4, -1, 0
	s_cmp_ge_f32 s35, 0xc1a00000
	s_cselect_b32 s5, -1, 0
	s_add_co_i32 s17, s41, s38
	s_wait_alu 0xfffe
	s_lshr_b32 s17, s17, s13
	s_wait_alu 0xfffe
	s_mul_i32 s21, s17, s14
	s_delay_alu instid0(SALU_CYCLE_1)
	s_cmp_eq_u32 s21, s38
	s_cselect_b32 s21, -1, 0
	s_cmp_lt_u32 s17, s12
	s_cselect_b32 s17, -1, 0
	s_wait_alu 0xfffe
	s_or_b32 s17, s17, s21
	s_mov_b32 s21, -1
	s_wait_alu 0xfffe
	s_and_b32 vcc_lo, exec_lo, s17
	s_mov_b32 s17, s34
	s_wait_alu 0xfffe
	s_cbranch_vccnz .LBB42_18
; %bb.17:                               ;   in Loop: Header=BB42_9 Depth=1
	s_add_co_i32 s17, s34, -1
	s_mov_b32 s21, 0
	s_mov_b32 s27, s38
.LBB42_18:                              ;   in Loop: Header=BB42_9 Depth=1
	v_lshl_add_u32 v6, s34, 11, v0
	s_mul_f32 s36, s35, 0x3fb8aa3b
	s_mul_f32 s38, s33, 0x3fb8aa3b
	s_wait_alu 0xfffe
	s_delay_alu instid0(SALU_CYCLE_1)
	s_xor_b32 s39, s36, 0x80000000
	v_ashrrev_i32_e32 v7, 31, v6
	s_rndne_f32 s40, s36
	s_fmamk_f32 s39, s35, 0x3fb8aa3b, s39
	s_xor_b32 s41, s38, 0x80000000
	s_rndne_f32 s42, s38
	v_lshlrev_b64_e32 v[6:7], 2, v[6:7]
	s_sub_f32 s36, s36, s40
	s_fmamk_f32 s35, s35, 0x32a5705f, s39
	s_fmamk_f32 s39, s33, 0x3fb8aa3b, s41
	s_sub_f32 s38, s38, s42
	s_delay_alu instid0(VALU_DEP_1)
	v_add_co_u32 v6, vcc_lo, s24, v6
	s_wait_alu 0xfffd
	v_add_co_ci_u32_e64 v7, null, s25, v7, vcc_lo
	s_wait_alu 0xfffe
	s_add_f32 s35, s36, s35
	s_fmamk_f32 s33, s33, 0x32a5705f, s39
	s_cvt_i32_f32 s36, s40
	global_load_b32 v6, v[6:7], off
	s_wait_alu 0xfffe
	v_s_exp_f32 s35, s35
	s_add_f32 s33, s38, s33
	s_wait_alu 0xfffe
	s_delay_alu instid0(SALU_CYCLE_2) | instskip(NEXT) | instid1(TRANS32_DEP_2)
	v_s_exp_f32 s33, s33
	v_ldexp_f32 v7, s35, s36
	s_cvt_i32_f32 s35, s42
	s_wait_alu 0xf1fe
	s_delay_alu instid0(TRANS32_DEP_1) | instid1(SALU_CYCLE_2)
	v_ldexp_f32 v8, s33, s35
	s_delay_alu instid0(VALU_DEP_2) | instskip(NEXT) | instid1(VALU_DEP_2)
	v_cndmask_b32_e64 v7, 0, v7, s3
	v_cndmask_b32_e64 v8, 0, v8, s0
	s_delay_alu instid0(VALU_DEP_2) | instskip(NEXT) | instid1(VALU_DEP_2)
	v_cndmask_b32_e64 v7, 0x7f800000, v7, s4
	v_cndmask_b32_e64 v8, 0x7f800000, v8, s1
	;; [unrolled: 3-line block ×3, first 2 shown]
	s_wait_loadcnt 0x0
	s_delay_alu instid0(VALU_DEP_2) | instskip(SKIP_1) | instid1(VALU_DEP_1)
	v_mul_f32_e32 v6, v6, v7
	v_mul_f32_e32 v7, s37, v7
	v_fmac_f32_e32 v7, v5, v8
	s_delay_alu instid0(VALU_DEP_3)
	v_fmac_f32_e32 v6, v3, v8
	s_cbranch_execnz .LBB42_15
.LBB42_19:                              ;   in Loop: Header=BB42_9 Depth=1
	s_wait_loadcnt 0x0
	v_dual_mov_b32 v7, v5 :: v_dual_mov_b32 v6, v3
	s_add_co_i32 s17, s34, -1
	s_mov_b32 s27, s20
	s_mov_b32 s9, s26
	s_cbranch_execz .LBB42_23
.LBB42_20:                              ;   in Loop: Header=BB42_9 Depth=1
	v_mov_b32_e32 v5, v7
	s_wait_loadcnt 0x0
	v_mov_b32_e32 v3, v6
	s_wait_alu 0xfffe
	s_mov_b32 s20, s27
	s_mov_b32 s34, s17
	;; [unrolled: 1-line block ×3, first 2 shown]
	s_branch .LBB42_9
.LBB42_21:
                                        ; implicit-def: $sgpr20_sgpr21
	s_branch .LBB42_2
.LBB42_22:
                                        ; implicit-def: $sgpr10_sgpr11
	s_load_b96 s[12:14], s[0:1], 0x44
	s_branch .LBB42_5
.LBB42_23:
	v_div_scale_f32 v0, null, v7, v7, v6
	s_wait_loadcnt 0x0
	s_delay_alu instid0(VALU_DEP_1) | instskip(NEXT) | instid1(TRANS32_DEP_1)
	v_rcp_f32_e32 v3, v0
	v_fma_f32 v4, -v0, v3, 1.0
	s_delay_alu instid0(VALU_DEP_1) | instskip(SKIP_1) | instid1(VALU_DEP_1)
	v_fmac_f32_e32 v3, v4, v3
	v_div_scale_f32 v4, vcc_lo, v6, v7, v6
	v_mul_f32_e32 v5, v4, v3
	s_delay_alu instid0(VALU_DEP_1) | instskip(NEXT) | instid1(VALU_DEP_1)
	v_fma_f32 v8, -v0, v5, v4
	v_fmac_f32_e32 v5, v8, v3
	s_delay_alu instid0(VALU_DEP_1) | instskip(SKIP_1) | instid1(VALU_DEP_1)
	v_fma_f32 v0, -v0, v5, v4
	s_wait_alu 0xfffd
	v_div_fmas_f32 v0, v0, v3, v5
	s_delay_alu instid0(VALU_DEP_1)
	v_div_fixup_f32 v0, v0, v7, v6
	global_store_b32 v[1:2], v0, off
.LBB42_24:
	s_endpgm
	.section	.rodata,"a",@progbits
	.p2align	6, 0x0
	.amdhsa_kernel _ZL33flash_attn_stream_k_fixup_generalILi128ELi8ELi2EEvPfPK15HIP_vector_typeIfLj2EEiiiiS1_IjLj3EES5_S5_S5_
		.amdhsa_group_segment_fixed_size 0
		.amdhsa_private_segment_fixed_size 0
		.amdhsa_kernarg_size 336
		.amdhsa_user_sgpr_count 2
		.amdhsa_user_sgpr_dispatch_ptr 0
		.amdhsa_user_sgpr_queue_ptr 0
		.amdhsa_user_sgpr_kernarg_segment_ptr 1
		.amdhsa_user_sgpr_dispatch_id 0
		.amdhsa_user_sgpr_private_segment_size 0
		.amdhsa_wavefront_size32 1
		.amdhsa_uses_dynamic_stack 0
		.amdhsa_enable_private_segment 0
		.amdhsa_system_sgpr_workgroup_id_x 1
		.amdhsa_system_sgpr_workgroup_id_y 1
		.amdhsa_system_sgpr_workgroup_id_z 1
		.amdhsa_system_sgpr_workgroup_info 0
		.amdhsa_system_vgpr_workitem_id 0
		.amdhsa_next_free_vgpr 9
		.amdhsa_next_free_sgpr 44
		.amdhsa_reserve_vcc 1
		.amdhsa_float_round_mode_32 0
		.amdhsa_float_round_mode_16_64 0
		.amdhsa_float_denorm_mode_32 3
		.amdhsa_float_denorm_mode_16_64 3
		.amdhsa_fp16_overflow 0
		.amdhsa_workgroup_processor_mode 1
		.amdhsa_memory_ordered 1
		.amdhsa_forward_progress 1
		.amdhsa_inst_pref_size 28
		.amdhsa_round_robin_scheduling 0
		.amdhsa_exception_fp_ieee_invalid_op 0
		.amdhsa_exception_fp_denorm_src 0
		.amdhsa_exception_fp_ieee_div_zero 0
		.amdhsa_exception_fp_ieee_overflow 0
		.amdhsa_exception_fp_ieee_underflow 0
		.amdhsa_exception_fp_ieee_inexact 0
		.amdhsa_exception_int_div_zero 0
	.end_amdhsa_kernel
	.section	.text._ZL33flash_attn_stream_k_fixup_generalILi128ELi8ELi2EEvPfPK15HIP_vector_typeIfLj2EEiiiiS1_IjLj3EES5_S5_S5_,"axG",@progbits,_ZL33flash_attn_stream_k_fixup_generalILi128ELi8ELi2EEvPfPK15HIP_vector_typeIfLj2EEiiiiS1_IjLj3EES5_S5_S5_,comdat
.Lfunc_end42:
	.size	_ZL33flash_attn_stream_k_fixup_generalILi128ELi8ELi2EEvPfPK15HIP_vector_typeIfLj2EEiiiiS1_IjLj3EES5_S5_S5_, .Lfunc_end42-_ZL33flash_attn_stream_k_fixup_generalILi128ELi8ELi2EEvPfPK15HIP_vector_typeIfLj2EEiiiiS1_IjLj3EES5_S5_S5_
                                        ; -- End function
	.set _ZL33flash_attn_stream_k_fixup_generalILi128ELi8ELi2EEvPfPK15HIP_vector_typeIfLj2EEiiiiS1_IjLj3EES5_S5_S5_.num_vgpr, 9
	.set _ZL33flash_attn_stream_k_fixup_generalILi128ELi8ELi2EEvPfPK15HIP_vector_typeIfLj2EEiiiiS1_IjLj3EES5_S5_S5_.num_agpr, 0
	.set _ZL33flash_attn_stream_k_fixup_generalILi128ELi8ELi2EEvPfPK15HIP_vector_typeIfLj2EEiiiiS1_IjLj3EES5_S5_S5_.numbered_sgpr, 44
	.set _ZL33flash_attn_stream_k_fixup_generalILi128ELi8ELi2EEvPfPK15HIP_vector_typeIfLj2EEiiiiS1_IjLj3EES5_S5_S5_.num_named_barrier, 0
	.set _ZL33flash_attn_stream_k_fixup_generalILi128ELi8ELi2EEvPfPK15HIP_vector_typeIfLj2EEiiiiS1_IjLj3EES5_S5_S5_.private_seg_size, 0
	.set _ZL33flash_attn_stream_k_fixup_generalILi128ELi8ELi2EEvPfPK15HIP_vector_typeIfLj2EEiiiiS1_IjLj3EES5_S5_S5_.uses_vcc, 1
	.set _ZL33flash_attn_stream_k_fixup_generalILi128ELi8ELi2EEvPfPK15HIP_vector_typeIfLj2EEiiiiS1_IjLj3EES5_S5_S5_.uses_flat_scratch, 0
	.set _ZL33flash_attn_stream_k_fixup_generalILi128ELi8ELi2EEvPfPK15HIP_vector_typeIfLj2EEiiiiS1_IjLj3EES5_S5_S5_.has_dyn_sized_stack, 0
	.set _ZL33flash_attn_stream_k_fixup_generalILi128ELi8ELi2EEvPfPK15HIP_vector_typeIfLj2EEiiiiS1_IjLj3EES5_S5_S5_.has_recursion, 0
	.set _ZL33flash_attn_stream_k_fixup_generalILi128ELi8ELi2EEvPfPK15HIP_vector_typeIfLj2EEiiiiS1_IjLj3EES5_S5_S5_.has_indirect_call, 0
	.section	.AMDGPU.csdata,"",@progbits
; Kernel info:
; codeLenInByte = 3548
; TotalNumSgprs: 46
; NumVgprs: 9
; ScratchSize: 0
; MemoryBound: 0
; FloatMode: 240
; IeeeMode: 1
; LDSByteSize: 0 bytes/workgroup (compile time only)
; SGPRBlocks: 0
; VGPRBlocks: 1
; NumSGPRsForWavesPerEU: 46
; NumVGPRsForWavesPerEU: 9
; Occupancy: 16
; WaveLimiterHint : 0
; COMPUTE_PGM_RSRC2:SCRATCH_EN: 0
; COMPUTE_PGM_RSRC2:USER_SGPR: 2
; COMPUTE_PGM_RSRC2:TRAP_HANDLER: 0
; COMPUTE_PGM_RSRC2:TGID_X_EN: 1
; COMPUTE_PGM_RSRC2:TGID_Y_EN: 1
; COMPUTE_PGM_RSRC2:TGID_Z_EN: 1
; COMPUTE_PGM_RSRC2:TIDIG_COMP_CNT: 0
	.section	.text._ZL15flash_attn_tileILi128ELi128ELi4ELi2ELb0EEvPKcS1_S1_S1_S1_PKiPfP15HIP_vector_typeIfLj2EEffffjfiS5_IjLj3EEiiiiiiiiiiiliiliiiiil,"axG",@progbits,_ZL15flash_attn_tileILi128ELi128ELi4ELi2ELb0EEvPKcS1_S1_S1_S1_PKiPfP15HIP_vector_typeIfLj2EEffffjfiS5_IjLj3EEiiiiiiiiiiiliiliiiiil,comdat
	.globl	_ZL15flash_attn_tileILi128ELi128ELi4ELi2ELb0EEvPKcS1_S1_S1_S1_PKiPfP15HIP_vector_typeIfLj2EEffffjfiS5_IjLj3EEiiiiiiiiiiiliiliiiiil ; -- Begin function _ZL15flash_attn_tileILi128ELi128ELi4ELi2ELb0EEvPKcS1_S1_S1_S1_PKiPfP15HIP_vector_typeIfLj2EEffffjfiS5_IjLj3EEiiiiiiiiiiiliiliiiiil
	.p2align	8
	.type	_ZL15flash_attn_tileILi128ELi128ELi4ELi2ELb0EEvPKcS1_S1_S1_S1_PKiPfP15HIP_vector_typeIfLj2EEffffjfiS5_IjLj3EEiiiiiiiiiiiliiliiiiil,@function
_ZL15flash_attn_tileILi128ELi128ELi4ELi2ELb0EEvPKcS1_S1_S1_S1_PKiPfP15HIP_vector_typeIfLj2EEffffjfiS5_IjLj3EEiiiiiiiiiiiliiliiiiil: ; @_ZL15flash_attn_tileILi128ELi128ELi4ELi2ELb0EEvPKcS1_S1_S1_S1_PKiPfP15HIP_vector_typeIfLj2EEffffjfiS5_IjLj3EEiiiiiiiiiiiliiliiiiil
; %bb.0:
	s_clause 0x1
	s_load_b128 s[20:23], s[0:1], 0x5c
	s_load_b64 s[34:35], s[0:1], 0x80
	s_lshr_b32 s5, ttmp7, 16
	s_load_b64 s[38:39], s[0:1], 0xb8
	s_mov_b64 s[36:37], 0
	s_wait_kmcnt 0x0
	s_lshr_b32 s2, s23, 31
	s_delay_alu instid0(SALU_CYCLE_1) | instskip(NEXT) | instid1(SALU_CYCLE_1)
	s_add_co_i32 s2, s23, s2
	s_ashr_i32 s2, s2, 1
	s_delay_alu instid0(SALU_CYCLE_1) | instskip(SKIP_1) | instid1(SALU_CYCLE_2)
	s_cvt_f32_u32 s3, s2
	s_sub_co_i32 s4, 0, s2
	v_rcp_iflag_f32_e32 v1, s3
	s_delay_alu instid0(TRANS32_DEP_1) | instskip(SKIP_2) | instid1(SALU_CYCLE_2)
	v_readfirstlane_b32 s3, v1
	s_mul_f32 s3, s3, 0x4f7ffffe
	s_wait_alu 0xfffe
	s_cvt_u32_f32 s3, s3
	s_wait_alu 0xfffe
	s_delay_alu instid0(SALU_CYCLE_2) | instskip(NEXT) | instid1(SALU_CYCLE_1)
	s_mul_i32 s4, s4, s3
	s_mul_hi_u32 s4, s3, s4
	s_delay_alu instid0(SALU_CYCLE_1)
	s_add_co_i32 s3, s3, s4
	s_wait_alu 0xfffe
	s_mul_hi_u32 s3, s5, s3
	s_wait_alu 0xfffe
	s_mul_i32 s4, s3, s2
	s_add_co_i32 s6, s3, 1
	s_sub_co_i32 s4, s5, s4
	s_delay_alu instid0(SALU_CYCLE_1)
	s_sub_co_i32 s7, s4, s2
	s_cmp_ge_u32 s4, s2
	s_cselect_b32 s3, s6, s3
	s_cselect_b32 s4, s7, s4
	s_wait_alu 0xfffe
	s_add_co_i32 s6, s3, 1
	s_cmp_ge_u32 s4, s2
	s_cselect_b32 s28, s6, s3
	s_abs_i32 s2, s35
	s_abs_i32 s7, s23
	s_wait_alu 0xfffe
	s_cvt_f32_u32 s3, s2
	s_sub_co_i32 s4, 0, s2
	s_lshl_b32 s5, s5, 1
	s_mul_i32 s6, s28, s23
	s_wait_alu 0xfffe
	v_rcp_iflag_f32_e32 v1, s3
	s_sub_co_i32 s30, s5, s6
	s_delay_alu instid0(TRANS32_DEP_1) | instskip(SKIP_2) | instid1(SALU_CYCLE_2)
	v_readfirstlane_b32 s3, v1
	s_mul_f32 s3, s3, 0x4f7ffffe
	s_wait_alu 0xfffe
	s_cvt_u32_f32 s3, s3
	s_wait_alu 0xfffe
	s_delay_alu instid0(SALU_CYCLE_2) | instskip(NEXT) | instid1(SALU_CYCLE_1)
	s_mul_i32 s4, s4, s3
	s_mul_hi_u32 s4, s3, s4
	s_delay_alu instid0(SALU_CYCLE_1)
	s_add_co_i32 s3, s3, s4
	s_xor_b32 s4, s23, s35
	s_wait_alu 0xfffe
	s_mul_hi_u32 s3, s7, s3
	s_ashr_i32 s24, s4, 31
	s_wait_alu 0xfffe
	s_mul_i32 s5, s3, s2
	s_delay_alu instid0(SALU_CYCLE_1)
	s_sub_co_i32 s4, s7, s5
	s_add_co_i32 s5, s3, 1
	s_sub_co_i32 s6, s4, s2
	s_cmp_ge_u32 s4, s2
	s_cselect_b32 s3, s5, s3
	s_cselect_b32 s4, s6, s4
	s_wait_alu 0xfffe
	s_add_co_i32 s5, s3, 1
	s_cmp_ge_u32 s4, s2
	s_cselect_b32 s2, s5, s3
	s_load_b512 s[4:19], s[0:1], 0x0
	s_xor_b32 s2, s2, s24
	s_mov_b32 s3, 0
	s_wait_alu 0xfffe
	s_sub_co_i32 s33, s2, s24
	s_delay_alu instid0(SALU_CYCLE_1) | instskip(NEXT) | instid1(SALU_CYCLE_1)
	s_abs_i32 s31, s33
	s_cvt_f32_u32 s2, s31
	s_wait_alu 0xfffe
	s_delay_alu instid0(SALU_CYCLE_2) | instskip(SKIP_2) | instid1(TRANS32_DEP_1)
	v_rcp_iflag_f32_e32 v1, s2
	s_wait_kmcnt 0x0
	s_cmp_eq_u64 s[10:11], 0
	v_readfirstlane_b32 s2, v1
	s_cbranch_scc1 .LBB43_2
; %bb.1:
	s_abs_i32 s26, s38
	s_delay_alu instid0(SALU_CYCLE_1) | instskip(NEXT) | instid1(SALU_CYCLE_3)
	s_cvt_f32_u32 s24, s26
	v_rcp_iflag_f32_e32 v1, s24
	s_delay_alu instid0(TRANS32_DEP_1) | instskip(SKIP_2) | instid1(SALU_CYCLE_2)
	v_readfirstlane_b32 s24, v1
	s_mul_f32 s24, s24, 0x4f7ffffe
	s_wait_alu 0xfffe
	s_cvt_u32_f32 s27, s24
	s_sub_co_i32 s24, 0, s26
	s_wait_alu 0xfffe
	s_delay_alu instid0(SALU_CYCLE_1) | instskip(SKIP_4) | instid1(SALU_CYCLE_1)
	s_mul_i32 s24, s24, s27
	s_wait_alu 0xfffe
	s_mul_hi_u32 s29, s27, s24
	s_load_b64 s[24:25], s[0:1], 0xc8
	s_add_co_i32 s27, s27, s29
	s_mul_hi_u32 s27, s28, s27
	s_delay_alu instid0(SALU_CYCLE_1) | instskip(NEXT) | instid1(SALU_CYCLE_1)
	s_mul_i32 s27, s27, s26
	s_sub_co_i32 s27, s28, s27
	s_delay_alu instid0(SALU_CYCLE_1) | instskip(SKIP_2) | instid1(SALU_CYCLE_1)
	s_sub_co_i32 s29, s27, s26
	s_cmp_ge_u32 s27, s26
	s_cselect_b32 s27, s29, s27
	s_sub_co_i32 s29, s27, s26
	s_cmp_ge_u32 s27, s26
	s_cselect_b32 s26, s29, s27
	s_delay_alu instid0(SALU_CYCLE_1)
	s_ashr_i32 s27, s26, 31
	s_wait_kmcnt 0x0
	s_mul_u64 s[24:25], s[24:25], s[26:27]
	s_wait_alu 0xfffe
	s_add_nc_u64 s[36:37], s[10:11], s[24:25]
.LBB43_2:
	v_bfe_u32 v4, v0, 10, 10
	s_load_b96 s[24:26], s[0:1], 0x70
	v_and_b32_e32 v0, 0x3ff, v0
	s_delay_alu instid0(VALU_DEP_2) | instskip(SKIP_1) | instid1(VALU_DEP_3)
	v_lshl_add_u32 v1, ttmp9, 2, v4
	v_lshl_add_u32 v30, v4, 9, 0x2400
	v_lshlrev_b32_e32 v31, 3, v0
	s_delay_alu instid0(VALU_DEP_3) | instskip(NEXT) | instid1(VALU_DEP_1)
	v_mul_hi_u32 v2, s20, v1
	v_add_nc_u32_e32 v2, v1, v2
	s_wait_kmcnt 0x0
	s_ashr_i32 s11, s24, 31
	s_mov_b32 s10, s24
	s_delay_alu instid0(VALU_DEP_1) | instskip(SKIP_2) | instid1(VALU_DEP_1)
	v_lshrrev_b32_e32 v2, s21, v2
	s_lshr_b64 s[20:21], s[10:11], 2
	s_lshr_b32 s10, s11, 2
	v_mul_lo_u32 v2, v2, s22
	s_delay_alu instid0(VALU_DEP_1) | instskip(SKIP_1) | instid1(VALU_DEP_1)
	v_sub_nc_u32_e32 v2, v1, v2
	s_wait_alu 0xfffe
	v_mad_co_u64_u32 v[5:6], null, s20, v2, 0
	s_mul_i32 s20, s30, s25
	s_wait_alu 0xfffe
	s_ashr_i32 s21, s20, 31
	v_mov_b32_e32 v3, v6
	s_delay_alu instid0(VALU_DEP_1)
	v_mad_co_u64_u32 v[6:7], null, s10, v2, v[3:4]
	s_mul_i32 s10, s28, s26
	v_lshlrev_b32_e32 v3, 4, v0
	s_wait_alu 0xfffe
	s_ashr_i32 s11, s10, 31
	s_wait_alu 0xfffe
	s_add_nc_u64 s[4:5], s[4:5], s[10:11]
	s_delay_alu instid0(SALU_CYCLE_1) | instskip(SKIP_1) | instid1(VALU_DEP_1)
	s_add_nc_u64 s[4:5], s[4:5], s[20:21]
	v_lshlrev_b64_e32 v[5:6], 2, v[5:6]
	v_add_co_u32 v5, vcc_lo, s4, v5
	s_delay_alu instid0(VALU_DEP_1)
	v_add_co_ci_u32_e64 v6, null, s5, v6, vcc_lo
	s_and_b32 s5, s25, -4
	v_add_co_u32 v9, vcc_lo, v5, v3
	s_wait_alu 0xfffd
	v_add_co_ci_u32_e64 v10, null, 0, v6, vcc_lo
	s_ashr_i32 s4, s25, 31
	s_cmp_eq_u64 s[14:15], 0
	global_load_b128 v[5:8], v[9:10], off
	s_wait_alu 0xfffe
	v_add_co_u32 v9, vcc_lo, v9, s5
	s_wait_alu 0xfffd
	v_add_co_ci_u32_e64 v10, null, s4, v10, vcc_lo
	s_load_b32 s4, s[0:1], 0x40
	global_load_b128 v[9:12], v[9:10], off
	s_wait_loadcnt 0x1
	s_wait_kmcnt 0x0
	v_fma_mixlo_f16 v3, s4, v6, 0
	v_fma_mixlo_f16 v5, s4, v5, 0
	;; [unrolled: 1-line block ×4, first 2 shown]
	s_delay_alu instid0(VALU_DEP_4) | instskip(NEXT) | instid1(VALU_DEP_4)
	v_lshlrev_b32_e32 v3, 16, v3
	v_and_b32_e32 v5, 0xffff, v5
	s_delay_alu instid0(VALU_DEP_4)
	v_and_b32_e32 v6, 0xffff, v6
	s_wait_loadcnt 0x0
	v_fma_mixlo_f16 v8, s4, v10, 0
	v_fma_mixlo_f16 v9, s4, v9, 0
	;; [unrolled: 1-line block ×4, first 2 shown]
	v_lshlrev_b32_e32 v7, 16, v7
	v_lshlrev_b32_e32 v8, 16, v8
	v_and_b32_e32 v9, 0xffff, v9
	v_or_b32_e32 v3, v3, v5
	v_lshlrev_b32_e32 v11, 16, v11
	v_and_b32_e32 v10, 0xffff, v10
	v_add_nc_u32_e32 v12, v30, v31
	v_or_b32_e32 v9, v8, v9
	v_or3_b32 v6, v7, v6, 0
	v_or3_b32 v5, 0, 0, v3
	;; [unrolled: 1-line block ×3, first 2 shown]
	s_delay_alu instid0(VALU_DEP_4)
	v_or3_b32 v7, 0, 0, v9
	ds_store_2addr_b64 v12, v[5:6], v[7:8] offset1:32
	s_wait_dscnt 0x0
	s_barrier_signal -1
	s_barrier_wait -1
	global_inv scope:SCOPE_SE
	s_cbranch_scc1 .LBB43_4
; %bb.3:
	s_load_b32 s4, s[0:1], 0xd0
	s_mov_b32 s5, 0
	s_wait_kmcnt 0x0
	s_mul_i32 s4, s4, s28
	s_wait_alu 0xfffe
	s_add_co_i32 s4, s4, ttmp9
	s_wait_alu 0xfffe
	s_lshl_b64 s[4:5], s[4:5], 2
	s_wait_alu 0xfffe
	s_add_nc_u64 s[4:5], s[14:15], s[4:5]
	s_load_b32 s34, s[4:5], 0x0
.LBB43_4:
	s_and_b32 s10, ttmp7, 0xffff
	v_mbcnt_lo_u32_b32 v32, -1, 0
	s_wait_alu 0xfffe
	s_lshl_b32 s14, s10, 6
	s_wait_kmcnt 0x0
	s_cmp_lt_i32 s14, s34
	s_cbranch_scc1 .LBB43_7
; %bb.5:
	v_mbcnt_lo_u32_b32 v5, -1, 0
	v_mov_b32_e32 v3, 32
	s_delay_alu instid0(VALU_DEP_2)
	v_xor_b32_e32 v37, 16, v5
	v_xor_b32_e32 v36, 8, v5
	;; [unrolled: 1-line block ×5, first 2 shown]
	v_lshlrev_b32_e32 v29, 2, v0
	s_mov_b32 s29, 0
	s_cbranch_execz .LBB43_8
; %bb.6:
	v_dual_mov_b32 v57, 0 :: v_dual_mov_b32 v38, 0
	v_dual_mov_b32 v20, 0xfeffffff :: v_dual_mov_b32 v19, 0xfeffffff
	v_dual_mov_b32 v60, 0 :: v_dual_mov_b32 v55, 0
	v_mov_b32_e32 v58, 0
	v_mov_b32_e32 v56, 0
	s_branch .LBB43_11
.LBB43_7:
                                        ; implicit-def: $vgpr5
                                        ; implicit-def: $vgpr3
                                        ; implicit-def: $vgpr37
                                        ; implicit-def: $vgpr36
                                        ; implicit-def: $vgpr35
                                        ; implicit-def: $vgpr34
                                        ; implicit-def: $vgpr33
	v_lshlrev_b32_e32 v29, 2, v0
	s_mov_b32 s29, 0
.LBB43_8:
	s_mul_f32 s2, s2, 0x4f7ffffe
	s_clause 0x1
	s_load_b128 s[24:27], s[0:1], 0x98
	s_load_b64 s[4:5], s[0:1], 0x8c
	s_sub_co_i32 s15, 0, s31
	s_mov_b32 s21, s3
	s_cvt_u32_f32 s11, s2
	s_abs_i32 s2, s30
	s_load_b64 s[40:41], s[0:1], 0xa8
	s_ashr_i32 s35, s30, 31
	s_mul_i32 s15, s15, s11
	s_ashr_i32 s33, s33, 31
	s_mul_hi_u32 s15, s11, s15
	v_lshrrev_b32_e32 v3, 3, v0
	s_add_co_i32 s20, s11, s15
	s_ashr_i32 s11, s39, 1
	s_wait_alu 0xfffe
	s_mul_u64 s[20:21], s[2:3], s[20:21]
	s_xor_b32 s15, s35, s33
	s_wait_alu 0xfffe
	s_mul_i32 s3, s21, s31
	s_add_co_i32 s33, s21, 1
	s_wait_alu 0xfffe
	s_sub_co_i32 s2, s2, s3
	v_lshl_add_u32 v3, v4, 2, v3
	s_wait_kmcnt 0x0
	s_ashr_i32 s20, s26, 2
	s_ashr_i32 s26, s4, 2
	s_wait_alu 0xfffe
	s_sub_co_i32 s3, s2, s31
	s_cmp_ge_u32 s2, s31
	v_dual_mov_b32 v55, 0 :: v_dual_and_b32 v22, 28, v29
	s_cselect_b32 s4, s33, s21
	s_wait_alu 0xfffe
	s_cselect_b32 s2, s3, s2
	s_add_co_i32 s21, s4, 1
	s_wait_alu 0xfffe
	s_cmp_ge_u32 s2, s31
	v_mul_lo_u32 v5, s26, v3
	s_cselect_b32 s4, s21, s4
	s_mul_u64 s[2:3], s[24:25], s[28:29]
	s_wait_alu 0xfffe
	s_xor_b32 s4, s4, s15
	v_dual_mov_b32 v19, 0xfeffffff :: v_dual_lshlrev_b32 v6, 2, v22
	s_wait_alu 0xfffe
	s_sub_co_i32 s15, s4, s15
	v_lshrrev_b32_e32 v8, 4, v0
	s_mul_i32 s4, s15, s5
	s_mul_u64 s[24:25], s[40:41], s[28:29]
	s_add_nc_u64 s[2:3], s[6:7], s[2:3]
	s_wait_alu 0xfffe
	s_ashr_i32 s5, s4, 31
	s_add_nc_u64 s[6:7], s[8:9], s[24:25]
	s_wait_alu 0xfffe
	s_add_nc_u64 s[8:9], s[2:3], s[4:5]
	s_lshl_b32 s2, s26, 4
	v_mad_u32_u24 v39, 0x90, v3, v6
	v_lshl_add_u32 v3, v4, 1, v8
	s_wait_alu 0xfffe
	v_dual_mov_b32 v56, 0 :: v_dual_add_nc_u32 v7, s2, v5
	v_dual_mov_b32 v58, 0 :: v_dual_and_b32 v23, 60, v29
	s_delay_alu instid0(VALU_DEP_3) | instskip(NEXT) | instid1(VALU_DEP_3)
	v_mul_lo_u32 v11, s20, v3
	v_add_nc_u32_e32 v9, s2, v7
	v_ashrrev_i32_e32 v6, 31, v5
	v_ashrrev_i32_e32 v8, 31, v7
	v_lshlrev_b32_e32 v12, 2, v23
	s_delay_alu instid0(VALU_DEP_4)
	v_dual_mov_b32 v38, 0 :: v_dual_add_nc_u32 v13, s2, v9
	s_lshl_b32 s2, s20, 3
	v_ashrrev_i32_e32 v10, 31, v9
	s_wait_alu 0xfffe
	v_add_nc_u32_e32 v15, s2, v11
	v_lshl_or_b32 v44, v3, 8, v12
	v_ashrrev_i32_e32 v14, 31, v13
	v_ashrrev_i32_e32 v12, 31, v11
	v_lshl_add_u32 v45, v4, 8, 0x2c00
	v_add_nc_u32_e32 v17, s2, v15
	v_ashrrev_i32_e32 v16, 31, v15
	v_mad_co_u64_u32 v[2:3], null, v2, s11, v[0:1]
	s_mul_i32 s24, s15, s27
	v_add_nc_u32_e32 v20, s2, v17
	v_ashrrev_i32_e32 v18, 31, v17
	v_lshlrev_b64_e32 v[3:4], 2, v[5:6]
	v_lshlrev_b64_e32 v[5:6], 2, v[7:8]
	;; [unrolled: 1-line block ×3, first 2 shown]
	v_ashrrev_i32_e32 v21, 31, v20
	v_lshlrev_b64_e32 v[9:10], 2, v[13:14]
	v_lshlrev_b64_e32 v[11:12], 2, v[11:12]
	;; [unrolled: 1-line block ×5, first 2 shown]
	v_dual_mov_b32 v57, 0 :: v_dual_add_nc_u32 v40, 0x900, v39
	v_dual_mov_b32 v60, 0 :: v_dual_add_nc_u32 v41, 0x1200, v39
	v_add_nc_u32_e32 v42, 0x1b00, v39
	v_mul_u32_u24_e32 v43, 0x90, v0
	v_add_nc_u32_e32 v46, 0x800, v44
	v_add_nc_u32_e32 v47, 0x1000, v44
	;; [unrolled: 1-line block ×3, first 2 shown]
	v_lshlrev_b32_e32 v49, 2, v22
	v_xor_b32_e32 v37, 16, v32
	v_xor_b32_e32 v36, 8, v32
	;; [unrolled: 1-line block ×5, first 2 shown]
	v_add_nc_u32_e32 v50, v45, v29
	v_add_nc_u32_e32 v52, 0x800, v31
	;; [unrolled: 1-line block ×4, first 2 shown]
	v_dual_mov_b32 v20, 0xfeffffff :: v_dual_lshlrev_b32 v51, 2, v23
	s_wait_alu 0xfffe
	s_ashr_i32 s25, s24, 31
	s_ashr_i32 s27, s26, 31
	s_wait_alu 0xfffe
	s_add_nc_u64 s[24:25], s[6:7], s[24:25]
	s_ashr_i32 s21, s20, 31
	s_add_nc_u64 s[38:39], s[0:1], 0xd0
.LBB43_9:                               ; =>This Inner Loop Header: Depth=1
	v_cmp_gt_i32_e32 vcc_lo, 32, v37
	v_dual_mov_b32 v59, v60 :: v_dual_mov_b32 v60, v20
	v_mov_b32_e32 v65, 0
	v_dual_mov_b32 v61, v19 :: v_dual_mov_b32 v62, 0
	s_wait_alu 0xfffd
	v_cndmask_b32_e32 v20, v32, v37, vcc_lo
	v_cmp_gt_i32_e32 vcc_lo, 32, v36
	s_ashr_i32 s15, s14, 31
	s_or_b32 s2, s14, 32
	s_wait_alu 0xfffe
	s_mul_u64 s[4:5], s[14:15], s[26:27]
	s_mul_u64 s[6:7], s[14:15], s[20:21]
	s_wait_alu 0xfffd
	v_cndmask_b32_e32 v21, v32, v36, vcc_lo
	v_cmp_gt_i32_e32 vcc_lo, 32, v35
	v_add_nc_u32_e32 v19, s14, v2
	s_wait_alu 0xfffe
	s_lshl_b64 s[4:5], s[4:5], 2
	s_lshl_b64 s[6:7], s[6:7], 2
	s_wait_alu 0xfffe
	s_add_nc_u64 s[4:5], s[8:9], s[4:5]
	s_wait_alu 0xfffd
	v_cndmask_b32_e32 v22, v32, v35, vcc_lo
	v_cmp_gt_i32_e32 vcc_lo, 32, v34
	v_lshlrev_b32_e32 v70, 2, v20
	s_add_nc_u64 s[6:7], s[24:25], s[6:7]
	s_ashr_i32 s3, s2, 31
	v_lshlrev_b32_e32 v68, 2, v22
	s_wait_alu 0xfffd
	v_cndmask_b32_e32 v23, v32, v34, vcc_lo
	v_cmp_gt_i32_e32 vcc_lo, 32, v33
	v_lshlrev_b32_e32 v69, 2, v21
	s_wait_alu 0xfffe
	s_mul_u64 s[2:3], s[2:3], s[20:21]
	v_ashrrev_i32_e32 v20, 31, v19
	s_wait_alu 0xfffd
	v_dual_cndmask_b32 v24, v32, v33 :: v_dual_lshlrev_b32 v67, 2, v23
	v_add_co_u32 v21, vcc_lo, s4, v3
	s_wait_alu 0xfffd
	v_add_co_ci_u32_e64 v22, null, s5, v4, vcc_lo
	v_add_co_u32 v23, vcc_lo, s4, v5
	v_lshlrev_b32_e32 v66, 2, v24
	s_wait_alu 0xfffd
	v_add_co_ci_u32_e64 v24, null, s5, v6, vcc_lo
	v_add_co_u32 v25, vcc_lo, s4, v7
	s_wait_alu 0xfffd
	v_add_co_ci_u32_e64 v26, null, s5, v8, vcc_lo
	v_add_co_u32 v27, vcc_lo, s4, v9
	;; [unrolled: 3-line block ×4, first 2 shown]
	s_wait_alu 0xfffe
	s_lshl_b64 s[2:3], s[2:3], 2
	s_wait_alu 0xfffd
	v_add_co_ci_u32_e64 v74, null, s7, v14, vcc_lo
	v_add_co_u32 v75, vcc_lo, s6, v15
	s_wait_alu 0xfffd
	v_add_co_ci_u32_e64 v76, null, s7, v16, vcc_lo
	v_add_co_u32 v77, vcc_lo, s6, v17
	s_wait_alu 0xfffe
	s_add_nc_u64 s[2:3], s[24:25], s[2:3]
	s_wait_alu 0xfffd
	v_add_co_ci_u32_e64 v78, null, s7, v18, vcc_lo
	s_wait_alu 0xfffe
	v_add_co_u32 v79, vcc_lo, s2, v11
	s_wait_alu 0xfffd
	v_add_co_ci_u32_e64 v80, null, s3, v12, vcc_lo
	v_add_co_u32 v81, vcc_lo, s2, v13
	s_wait_alu 0xfffd
	v_add_co_ci_u32_e64 v82, null, s3, v14, vcc_lo
	;; [unrolled: 3-line block ×4, first 2 shown]
	v_add_co_u32 v87, vcc_lo, v21, v49
	v_lshlrev_b64_e32 v[19:20], 1, v[19:20]
	s_wait_alu 0xfffd
	v_add_co_ci_u32_e64 v88, null, 0, v22, vcc_lo
	v_add_co_u32 v89, vcc_lo, v23, v49
	s_wait_alu 0xfffd
	v_add_co_ci_u32_e64 v90, null, 0, v24, vcc_lo
	v_add_co_u32 v91, vcc_lo, v25, v49
	;; [unrolled: 3-line block ×12, first 2 shown]
	s_wait_alu 0xfffd
	v_add_co_ci_u32_e64 v22, null, 0, v86, vcc_lo
	s_clause 0x3
	global_load_b128 v[71:74], v[87:88], off
	global_load_b128 v[75:78], v[89:90], off
	;; [unrolled: 1-line block ×4, first 2 shown]
	v_dual_mov_b32 v63, 0 :: v_dual_mov_b32 v64, 0
	s_wait_loadcnt 0x3
	ds_store_b128 v39, v[71:74]
	s_wait_loadcnt 0x2
	ds_store_b128 v40, v[75:78]
	;; [unrolled: 2-line block ×4, first 2 shown]
	s_wait_dscnt 0x0
	s_barrier_signal -1
	s_barrier_wait -1
	global_inv scope:SCOPE_SE
	ds_load_b128 v[71:74], v43
	ds_load_b128 v[75:78], v30
	ds_load_b128 v[79:82], v30 offset:256
	ds_load_b128 v[83:86], v43 offset:4608
	s_wait_dscnt 0x2
	;;#ASMSTART
	v_dot2_f32_f16 v62, v71, v75, v62
	;;#ASMEND
	;;#ASMSTART
	v_dot2_f32_f16 v62, v72, v76, v62
	;;#ASMEND
	;;#ASMSTART
	v_dot2_f32_f16 v62, v73, v77, v62
	;;#ASMEND
	;;#ASMSTART
	v_dot2_f32_f16 v62, v74, v78, v62
	;;#ASMEND
	s_wait_dscnt 0x1
	;;#ASMSTART
	v_dot2_f32_f16 v63, v71, v79, v63
	;;#ASMEND
	;;#ASMSTART
	v_dot2_f32_f16 v63, v72, v80, v63
	;;#ASMEND
	;;#ASMSTART
	v_dot2_f32_f16 v63, v73, v81, v63
	;;#ASMEND
	;;#ASMSTART
	v_dot2_f32_f16 v63, v74, v82, v63
	;;#ASMEND
	s_wait_dscnt 0x0
	;;#ASMSTART
	v_dot2_f32_f16 v64, v83, v75, v64
	;;#ASMEND
	;;#ASMSTART
	v_dot2_f32_f16 v64, v84, v76, v64
	;;#ASMEND
	;;#ASMSTART
	v_dot2_f32_f16 v64, v85, v77, v64
	;;#ASMEND
	;;#ASMSTART
	v_dot2_f32_f16 v64, v86, v78, v64
	;;#ASMEND
	;;#ASMSTART
	v_dot2_f32_f16 v65, v83, v79, v65
	;;#ASMEND
	;;#ASMSTART
	v_dot2_f32_f16 v65, v84, v80, v65
	;;#ASMEND
	;;#ASMSTART
	v_dot2_f32_f16 v65, v85, v81, v65
	;;#ASMEND
	;;#ASMSTART
	v_dot2_f32_f16 v65, v86, v82, v65
	;;#ASMEND
	ds_load_b128 v[71:74], v43 offset:16
	ds_load_b128 v[75:78], v30 offset:16
	ds_load_b128 v[79:82], v30 offset:272
	ds_load_b128 v[83:86], v43 offset:4624
	s_wait_dscnt 0x2
	;;#ASMSTART
	v_dot2_f32_f16 v62, v71, v75, v62
	;;#ASMEND
	;;#ASMSTART
	v_dot2_f32_f16 v62, v72, v76, v62
	;;#ASMEND
	;;#ASMSTART
	v_dot2_f32_f16 v62, v73, v77, v62
	;;#ASMEND
	;;#ASMSTART
	v_dot2_f32_f16 v62, v74, v78, v62
	;;#ASMEND
	s_wait_dscnt 0x1
	;;#ASMSTART
	v_dot2_f32_f16 v63, v71, v79, v63
	;;#ASMEND
	;;#ASMSTART
	v_dot2_f32_f16 v63, v72, v80, v63
	;;#ASMEND
	;;#ASMSTART
	v_dot2_f32_f16 v63, v73, v81, v63
	;;#ASMEND
	;;#ASMSTART
	v_dot2_f32_f16 v63, v74, v82, v63
	;;#ASMEND
	s_wait_dscnt 0x0
	;;#ASMSTART
	v_dot2_f32_f16 v64, v83, v75, v64
	;;#ASMEND
	;;#ASMSTART
	v_dot2_f32_f16 v64, v84, v76, v64
	;;#ASMEND
	;;#ASMSTART
	v_dot2_f32_f16 v64, v85, v77, v64
	;;#ASMEND
	;;#ASMSTART
	v_dot2_f32_f16 v64, v86, v78, v64
	;;#ASMEND
	;;#ASMSTART
	v_dot2_f32_f16 v65, v83, v79, v65
	;;#ASMEND
	;;#ASMSTART
	v_dot2_f32_f16 v65, v84, v80, v65
	;;#ASMEND
	;;#ASMSTART
	v_dot2_f32_f16 v65, v85, v81, v65
	;;#ASMEND
	;;#ASMSTART
	v_dot2_f32_f16 v65, v86, v82, v65
	;;#ASMEND
	ds_load_b128 v[71:74], v43 offset:32
	ds_load_b128 v[75:78], v30 offset:32
	;; [unrolled: 55-line block ×7, first 2 shown]
	ds_load_b128 v[79:82], v30 offset:368
	ds_load_b128 v[83:86], v43 offset:4720
	s_wait_dscnt 0x2
	;;#ASMSTART
	v_dot2_f32_f16 v62, v71, v75, v62
	;;#ASMEND
	;;#ASMSTART
	v_dot2_f32_f16 v62, v72, v76, v62
	;;#ASMEND
	;;#ASMSTART
	v_dot2_f32_f16 v62, v73, v77, v62
	;;#ASMEND
	;;#ASMSTART
	v_dot2_f32_f16 v62, v74, v78, v62
	;;#ASMEND
	s_wait_dscnt 0x1
	;;#ASMSTART
	v_dot2_f32_f16 v63, v71, v79, v63
	;;#ASMEND
	;;#ASMSTART
	v_dot2_f32_f16 v63, v72, v80, v63
	;;#ASMEND
	;;#ASMSTART
	v_dot2_f32_f16 v63, v73, v81, v63
	;;#ASMEND
	;;#ASMSTART
	v_dot2_f32_f16 v63, v74, v82, v63
	;;#ASMEND
	;; [unrolled: 13-line block ×3, first 2 shown]
	;;#ASMSTART
	v_dot2_f32_f16 v65, v83, v79, v65
	;;#ASMEND
	;;#ASMSTART
	v_dot2_f32_f16 v65, v84, v80, v65
	;;#ASMEND
	;; [unrolled: 3-line block ×4, first 2 shown]
	s_wait_loadcnt 0x0
	s_barrier_signal -1
	s_barrier_wait -1
	global_inv scope:SCOPE_SE
	s_clause 0x3
	global_load_b128 v[71:74], v[87:88], off offset:128
	global_load_b128 v[75:78], v[89:90], off offset:128
	;; [unrolled: 1-line block ×4, first 2 shown]
	s_wait_loadcnt 0x3
	ds_store_b128 v39, v[71:74]
	s_wait_loadcnt 0x2
	ds_store_b128 v40, v[75:78]
	;; [unrolled: 2-line block ×4, first 2 shown]
	s_wait_dscnt 0x0
	s_barrier_signal -1
	s_barrier_wait -1
	global_inv scope:SCOPE_SE
	ds_load_b128 v[71:74], v43
	ds_load_b128 v[75:78], v30 offset:128
	ds_load_b128 v[79:82], v30 offset:384
	ds_load_b128 v[83:86], v43 offset:4608
	s_wait_dscnt 0x2
	;;#ASMSTART
	v_dot2_f32_f16 v62, v71, v75, v62
	;;#ASMEND
	;;#ASMSTART
	v_dot2_f32_f16 v62, v72, v76, v62
	;;#ASMEND
	;;#ASMSTART
	v_dot2_f32_f16 v62, v73, v77, v62
	;;#ASMEND
	;;#ASMSTART
	v_dot2_f32_f16 v62, v74, v78, v62
	;;#ASMEND
	s_wait_dscnt 0x1
	;;#ASMSTART
	v_dot2_f32_f16 v63, v71, v79, v63
	;;#ASMEND
	;;#ASMSTART
	v_dot2_f32_f16 v63, v72, v80, v63
	;;#ASMEND
	;;#ASMSTART
	v_dot2_f32_f16 v63, v73, v81, v63
	;;#ASMEND
	;;#ASMSTART
	v_dot2_f32_f16 v63, v74, v82, v63
	;;#ASMEND
	s_wait_dscnt 0x0
	;;#ASMSTART
	v_dot2_f32_f16 v64, v83, v75, v64
	;;#ASMEND
	;;#ASMSTART
	v_dot2_f32_f16 v64, v84, v76, v64
	;;#ASMEND
	;;#ASMSTART
	v_dot2_f32_f16 v64, v85, v77, v64
	;;#ASMEND
	;;#ASMSTART
	v_dot2_f32_f16 v64, v86, v78, v64
	;;#ASMEND
	;;#ASMSTART
	v_dot2_f32_f16 v65, v83, v79, v65
	;;#ASMEND
	;;#ASMSTART
	v_dot2_f32_f16 v65, v84, v80, v65
	;;#ASMEND
	;;#ASMSTART
	v_dot2_f32_f16 v65, v85, v81, v65
	;;#ASMEND
	;;#ASMSTART
	v_dot2_f32_f16 v65, v86, v82, v65
	;;#ASMEND
	ds_load_b128 v[71:74], v43 offset:16
	ds_load_b128 v[75:78], v30 offset:144
	ds_load_b128 v[79:82], v30 offset:400
	ds_load_b128 v[83:86], v43 offset:4624
	s_wait_dscnt 0x2
	;;#ASMSTART
	v_dot2_f32_f16 v62, v71, v75, v62
	;;#ASMEND
	;;#ASMSTART
	v_dot2_f32_f16 v62, v72, v76, v62
	;;#ASMEND
	;;#ASMSTART
	v_dot2_f32_f16 v62, v73, v77, v62
	;;#ASMEND
	;;#ASMSTART
	v_dot2_f32_f16 v62, v74, v78, v62
	;;#ASMEND
	s_wait_dscnt 0x1
	;;#ASMSTART
	v_dot2_f32_f16 v63, v71, v79, v63
	;;#ASMEND
	;;#ASMSTART
	v_dot2_f32_f16 v63, v72, v80, v63
	;;#ASMEND
	;;#ASMSTART
	v_dot2_f32_f16 v63, v73, v81, v63
	;;#ASMEND
	;;#ASMSTART
	v_dot2_f32_f16 v63, v74, v82, v63
	;;#ASMEND
	s_wait_dscnt 0x0
	;;#ASMSTART
	v_dot2_f32_f16 v64, v83, v75, v64
	;;#ASMEND
	;;#ASMSTART
	v_dot2_f32_f16 v64, v84, v76, v64
	;;#ASMEND
	;;#ASMSTART
	v_dot2_f32_f16 v64, v85, v77, v64
	;;#ASMEND
	;;#ASMSTART
	v_dot2_f32_f16 v64, v86, v78, v64
	;;#ASMEND
	;;#ASMSTART
	v_dot2_f32_f16 v65, v83, v79, v65
	;;#ASMEND
	;;#ASMSTART
	v_dot2_f32_f16 v65, v84, v80, v65
	;;#ASMEND
	;;#ASMSTART
	v_dot2_f32_f16 v65, v85, v81, v65
	;;#ASMEND
	;;#ASMSTART
	v_dot2_f32_f16 v65, v86, v82, v65
	;;#ASMEND
	ds_load_b128 v[71:74], v43 offset:32
	;; [unrolled: 55-line block ×7, first 2 shown]
	ds_load_b128 v[75:78], v30 offset:240
	ds_load_b128 v[79:82], v30 offset:496
	;; [unrolled: 1-line block ×3, first 2 shown]
	s_wait_dscnt 0x2
	;;#ASMSTART
	v_dot2_f32_f16 v62, v71, v75, v62
	;;#ASMEND
	;;#ASMSTART
	v_dot2_f32_f16 v62, v72, v76, v62
	;;#ASMEND
	;;#ASMSTART
	v_dot2_f32_f16 v62, v73, v77, v62
	;;#ASMEND
	;;#ASMSTART
	v_dot2_f32_f16 v62, v74, v78, v62
	;;#ASMEND
	s_wait_dscnt 0x1
	;;#ASMSTART
	v_dot2_f32_f16 v63, v71, v79, v63
	;;#ASMEND
	;;#ASMSTART
	v_dot2_f32_f16 v63, v72, v80, v63
	;;#ASMEND
	;;#ASMSTART
	v_dot2_f32_f16 v63, v73, v81, v63
	;;#ASMEND
	;;#ASMSTART
	v_dot2_f32_f16 v63, v74, v82, v63
	;;#ASMEND
	;; [unrolled: 13-line block ×3, first 2 shown]
	;;#ASMSTART
	v_dot2_f32_f16 v65, v83, v79, v65
	;;#ASMEND
	;;#ASMSTART
	v_dot2_f32_f16 v65, v84, v80, v65
	;;#ASMEND
	;; [unrolled: 3-line block ×4, first 2 shown]
	s_clause 0x1
	global_load_u16 v87, v[19:20], off
	global_load_u16 v19, v[19:20], off offset:64
	s_wait_loadcnt 0x0
	s_barrier_signal -1
	s_barrier_wait -1
	global_inv scope:SCOPE_SE
	s_clause 0x3
	global_load_b128 v[71:74], v[95:96], off
	global_load_b128 v[75:78], v[97:98], off
	;; [unrolled: 1-line block ×4, first 2 shown]
	v_cvt_f32_f16_e32 v20, v87
	v_cvt_f32_f16_e32 v19, v19
	s_delay_alu instid0(VALU_DEP_2) | instskip(NEXT) | instid1(VALU_DEP_2)
	v_add_f32_e32 v62, v62, v20
	v_dual_add_f32 v64, v64, v19 :: v_dual_add_f32 v63, v63, v20
	v_add_f32_e32 v65, v65, v19
	s_delay_alu instid0(VALU_DEP_2) | instskip(NEXT) | instid1(VALU_DEP_2)
	v_dual_add_f32 v19, 0x40051340, v62 :: v_dual_add_f32 v20, 0x40051340, v64
	v_dual_add_f32 v87, 0x40051340, v63 :: v_dual_add_f32 v88, 0x40051340, v65
	s_delay_alu instid0(VALU_DEP_2) | instskip(NEXT) | instid1(VALU_DEP_2)
	v_max3_num_f32 v19, v61, v19, v20
	v_max3_num_f32 v20, v60, v87, v88
	ds_bpermute_b32 v87, v70, v19
	ds_bpermute_b32 v70, v70, v20
	s_wait_dscnt 0x0
	v_dual_max_num_f32 v87, v87, v87 :: v_dual_max_num_f32 v70, v70, v70
	s_delay_alu instid0(VALU_DEP_1) | instskip(SKIP_4) | instid1(VALU_DEP_1)
	v_dual_max_num_f32 v19, v19, v87 :: v_dual_max_num_f32 v20, v20, v70
	ds_bpermute_b32 v70, v69, v19
	ds_bpermute_b32 v69, v69, v20
	s_wait_dscnt 0x0
	v_dual_max_num_f32 v70, v70, v70 :: v_dual_max_num_f32 v69, v69, v69
	v_dual_max_num_f32 v19, v19, v70 :: v_dual_max_num_f32 v20, v20, v69
	ds_bpermute_b32 v69, v68, v19
	ds_bpermute_b32 v68, v68, v20
	s_wait_dscnt 0x0
	v_dual_max_num_f32 v69, v69, v69 :: v_dual_max_num_f32 v68, v68, v68
	s_delay_alu instid0(VALU_DEP_1) | instskip(SKIP_4) | instid1(VALU_DEP_1)
	v_dual_max_num_f32 v19, v19, v69 :: v_dual_max_num_f32 v20, v20, v68
	ds_bpermute_b32 v68, v67, v19
	ds_bpermute_b32 v67, v67, v20
	s_wait_dscnt 0x0
	v_dual_max_num_f32 v68, v68, v68 :: v_dual_max_num_f32 v67, v67, v67
	v_dual_max_num_f32 v19, v19, v68 :: v_dual_max_num_f32 v20, v20, v67
	ds_bpermute_b32 v67, v66, v19
	ds_bpermute_b32 v66, v66, v20
	s_wait_dscnt 0x0
	v_dual_max_num_f32 v67, v67, v67 :: v_dual_max_num_f32 v66, v66, v66
	s_delay_alu instid0(VALU_DEP_1) | instskip(NEXT) | instid1(VALU_DEP_1)
	v_dual_max_num_f32 v19, v19, v67 :: v_dual_max_num_f32 v20, v20, v66
	v_sub_f32_e32 v61, v61, v19
	s_delay_alu instid0(VALU_DEP_2) | instskip(SKIP_2) | instid1(VALU_DEP_3)
	v_dual_sub_f32 v62, v62, v19 :: v_dual_sub_f32 v63, v63, v20
	v_dual_sub_f32 v64, v64, v19 :: v_dual_sub_f32 v65, v65, v20
	v_sub_f32_e32 v60, v60, v20
	v_mul_f32_e32 v66, 0x3fb8aa3b, v62
	s_delay_alu instid0(VALU_DEP_4) | instskip(NEXT) | instid1(VALU_DEP_4)
	v_dual_mul_f32 v68, 0x3fb8aa3b, v61 :: v_dual_mul_f32 v69, 0x3fb8aa3b, v63
	v_dual_mul_f32 v67, 0x3fb8aa3b, v64 :: v_dual_mul_f32 v70, 0x3fb8aa3b, v65
	s_delay_alu instid0(VALU_DEP_4) | instskip(NEXT) | instid1(VALU_DEP_4)
	v_mul_f32_e32 v87, 0x3fb8aa3b, v60
	v_fma_f32 v88, 0x3fb8aa3b, v62, -v66
	v_rndne_f32_e32 v89, v66
	s_delay_alu instid0(VALU_DEP_4)
	v_fma_f32 v90, 0x3fb8aa3b, v64, -v67
	v_rndne_f32_e32 v91, v67
	v_fma_f32 v98, 0x3fb8aa3b, v60, -v87
	v_rndne_f32_e32 v99, v87
	;; [unrolled: 2-line block ×4, first 2 shown]
	v_dual_fmac_f32 v90, 0x32a5705f, v64 :: v_dual_sub_f32 v87, v87, v99
	v_fmac_f32_e32 v98, 0x32a5705f, v60
	v_dual_fmac_f32 v88, 0x32a5705f, v62 :: v_dual_sub_f32 v67, v67, v91
	s_delay_alu instid0(VALU_DEP_4) | instskip(SKIP_1) | instid1(VALU_DEP_4)
	v_dual_sub_f32 v66, v66, v89 :: v_dual_sub_f32 v69, v69, v95
	v_fmac_f32_e32 v92, 0x32a5705f, v61
	v_dual_fmac_f32 v94, 0x32a5705f, v63 :: v_dual_add_f32 v87, v87, v98
	s_delay_alu instid0(VALU_DEP_4) | instskip(SKIP_1) | instid1(VALU_DEP_3)
	v_dual_sub_f32 v68, v68, v93 :: v_dual_add_f32 v67, v67, v90
	v_cvt_i32_f32_e32 v91, v91
	v_add_f32_e32 v69, v69, v94
	v_cvt_i32_f32_e32 v93, v93
	s_delay_alu instid0(VALU_DEP_4)
	v_add_f32_e32 v68, v68, v92
	v_exp_f32_e32 v67, v67
	v_fma_f32 v96, 0x3fb8aa3b, v65, -v70
	v_cmp_ngt_f32_e32 vcc_lo, 0xc2ce8ed0, v64
	v_cmp_ngt_f32_e64 s2, 0xc2ce8ed0, v61
	v_exp_f32_e32 v68, v68
	v_rndne_f32_e32 v97, v70
	v_add_f32_e32 v66, v66, v88
	v_exp_f32_e32 v69, v69
	v_cvt_i32_f32_e32 v89, v89
	v_cvt_i32_f32_e32 v95, v95
	v_ldexp_f32 v67, v67, v91
	v_fmac_f32_e32 v96, 0x32a5705f, v65
	v_exp_f32_e32 v66, v66
	v_exp_f32_e32 v87, v87
	v_ldexp_f32 v68, v68, v93
	s_wait_alu 0xfffd
	v_cndmask_b32_e32 v67, 0, v67, vcc_lo
	v_cmp_nlt_f32_e32 vcc_lo, 0x42b17218, v64
	v_cvt_i32_f32_e32 v99, v99
	v_ldexp_f32 v69, v69, v95
	s_wait_alu 0xf1ff
	v_cndmask_b32_e64 v64, 0, v68, s2
	v_cmp_nlt_f32_e64 s2, 0x42b17218, v61
	v_cmp_ngt_f32_e64 s3, 0xc2ce8ed0, v63
	v_ldexp_f32 v66, v66, v89
	v_cmp_ngt_f32_e64 s4, 0xc2ce8ed0, v65
	v_cmp_ngt_f32_e64 s6, 0xc2ce8ed0, v62
	s_wait_alu 0xf1ff
	v_cndmask_b32_e64 v64, 0x7f800000, v64, s2
	v_ldexp_f32 v87, v87, v99
	v_cmp_ngt_f32_e64 s5, 0xc2ce8ed0, v60
	v_cndmask_b32_e64 v61, 0, v69, s3
	v_cndmask_b32_e64 v66, 0, v66, s6
	v_cvt_f16_f32_e32 v68, v64
	v_sub_f32_e32 v70, v70, v97
	v_cvt_i32_f32_e32 v97, v97
	v_cmp_nlt_f32_e64 s3, 0x42b17218, v63
	v_cmp_nlt_f32_e64 s6, 0x42b17218, v62
	s_wait_alu 0xfffd
	v_cndmask_b32_e32 v62, 0x7f800000, v67, vcc_lo
	v_add_f32_e32 v70, v70, v96
	s_wait_alu 0xf1ff
	v_cndmask_b32_e64 v61, 0x7f800000, v61, s3
	s_delay_alu instid0(VALU_DEP_2) | instskip(NEXT) | instid1(TRANS32_DEP_1)
	v_exp_f32_e32 v70, v70
	v_ldexp_f32 v70, v70, v97
	s_delay_alu instid0(VALU_DEP_1)
	v_cndmask_b32_e64 v63, 0, v70, s4
	v_cmp_nlt_f32_e64 s4, 0x42b17218, v65
	v_cndmask_b32_e64 v65, 0, v87, s5
	v_cmp_nlt_f32_e64 s5, 0x42b17218, v60
	v_cndmask_b32_e64 v60, 0x7f800000, v66, s6
	v_cvt_f16_f32_e32 v66, v61
	s_wait_alu 0xf1ff
	v_cndmask_b32_e64 v63, 0x7f800000, v63, s4
	v_cndmask_b32_e64 v129, 0x7f800000, v65, s5
	v_cvt_f16_f32_e32 v65, v60
	v_add_f32_e32 v60, v60, v62
	v_cvt_f16_f32_e32 v62, v62
	v_cvt_f16_f32_e32 v67, v63
	v_add_f32_e32 v130, v61, v63
	v_cvt_f16_f32_e64 v61, v129
	v_pack_b32_f16 v63, v65, v66
	v_fmac_f32_e32 v60, v59, v64
	v_pack_b32_f16 v62, v62, v67
	ds_store_2addr_b32 v50, v63, v62 offset1:32
	s_wait_loadcnt 0x3
	ds_store_b128 v44, v[71:74]
	s_wait_loadcnt 0x2
	ds_store_b128 v46, v[75:78]
	;; [unrolled: 2-line block ×4, first 2 shown]
	v_and_b32_e32 v65, 0xffff, v61
	s_wait_dscnt 0x0
	s_barrier_signal -1
	s_barrier_wait -1
	global_inv scope:SCOPE_SE
	ds_load_b128 v[61:64], v45
	v_and_b32_e32 v59, 0xffff, v68
	v_mul_u32_u24_e32 v131, 0x10001, v65
	ds_load_2addr_b64 v[65:68], v31 offset1:32
	ds_load_b128 v[69:72], v45 offset:16
	ds_load_b128 v[73:76], v45 offset:32
	ds_load_b128 v[77:80], v45 offset:48
	ds_load_2addr_b64 v[81:84], v31 offset0:64 offset1:96
	ds_load_2addr_b64 v[85:88], v31 offset0:128 offset1:160
	;; [unrolled: 1-line block ×3, first 2 shown]
	ds_load_2addr_b64 v[93:96], v52 offset1:32
	ds_load_2addr_b64 v[97:100], v52 offset0:64 offset1:96
	ds_load_2addr_b64 v[101:104], v52 offset0:128 offset1:160
	;; [unrolled: 1-line block ×3, first 2 shown]
	ds_load_2addr_b64 v[109:112], v53 offset1:32
	ds_load_2addr_b64 v[113:116], v53 offset0:64 offset1:96
	ds_load_2addr_b64 v[117:120], v53 offset0:128 offset1:160
	ds_load_b128 v[121:124], v45 offset:64
	ds_load_b128 v[125:128], v45 offset:80
	v_mul_u32_u24_e32 v59, 0x10001, v59
	v_pk_mul_f16 v141, v55, v131
	s_wait_dscnt 0xe
	v_and_b32_e32 v142, 0xffff, v71
	v_lshrrev_b32_e32 v143, 16, v72
	v_pk_mul_f16 v140, v58, v59
	v_and_b32_e32 v144, 0xffff, v72
	v_lshrrev_b32_e32 v132, 16, v61
	v_and_b32_e32 v133, 0xffff, v61
	v_and_b32_e32 v135, 0xffff, v62
	v_lshrrev_b32_e32 v134, 16, v62
	v_and_b32_e32 v137, 0xffff, v63
	v_mul_u32_u24_e32 v132, 0x10001, v132
	v_mul_u32_u24_e32 v133, 0x10001, v133
	v_lshrrev_b32_e32 v136, 16, v63
	v_and_b32_e32 v139, 0xffff, v64
	v_lshrrev_b32_e32 v138, 16, v64
	v_pk_mul_f16 v58, v65, v132
	v_pk_mul_f16 v55, v65, v133
	ds_load_2addr_b64 v[61:64], v53 offset0:192 offset1:224
	v_pk_fma_f16 v65, v56, v131, v58
	v_pk_fma_f16 v59, v57, v59, v55
	;; [unrolled: 1-line block ×3, first 2 shown]
	v_lshrrev_b32_e32 v133, 16, v69
	v_pk_fma_f16 v66, v66, v132, v141
	v_and_b32_e32 v132, 0xffff, v69
	v_mul_u32_u24_e32 v69, 0x10001, v135
	v_lshrrev_b32_e32 v135, 16, v70
	v_and_b32_e32 v140, 0xffff, v70
	v_mul_u32_u24_e32 v70, 0x10001, v137
	v_lshrrev_b32_e32 v141, 16, v71
	v_pk_fma_f16 v131, v68, v69, v131
	v_pk_fma_f16 v59, v67, v69, v59
	v_mul_u32_u24_e32 v69, 0x10001, v134
	s_wait_dscnt 0xe
	v_and_b32_e32 v137, 0xffff, v75
	ds_load_2addr_b64 v[55:58], v54 offset1:32
	s_wait_dscnt 0xd
	v_pk_fma_f16 v71, v82, v70, v131
	v_pk_fma_f16 v59, v81, v70, v59
	v_pk_fma_f16 v134, v68, v69, v66
	v_pk_fma_f16 v69, v67, v69, v65
	v_mul_u32_u24_e32 v70, 0x10001, v136
	v_lshrrev_b32_e32 v131, 16, v73
	v_lshrrev_b32_e32 v136, 16, v75
	ds_load_b128 v[65:68], v45 offset:96
	v_pk_fma_f16 v72, v82, v70, v134
	v_pk_fma_f16 v69, v81, v70, v69
	v_mul_u32_u24_e32 v70, 0x10001, v139
	v_and_b32_e32 v81, 0xffff, v73
	v_lshrrev_b32_e32 v82, 16, v74
	v_and_b32_e32 v134, 0xffff, v74
	v_mul_u32_u24_e32 v74, 0x10001, v132
	v_pk_fma_f16 v73, v84, v70, v71
	v_pk_fma_f16 v59, v83, v70, v59
	v_mul_u32_u24_e32 v70, 0x10001, v138
	v_lshrrev_b32_e32 v138, 16, v76
	v_and_b32_e32 v139, 0xffff, v76
	s_wait_dscnt 0xd
	v_pk_fma_f16 v73, v86, v74, v73
	v_pk_fma_f16 v59, v85, v74, v59
	;; [unrolled: 1-line block ×4, first 2 shown]
	v_mul_u32_u24_e32 v74, 0x10001, v133
	v_mul_u32_u24_e32 v76, 0x10001, v140
	v_lshrrev_b32_e32 v132, 16, v77
	v_and_b32_e32 v140, 0xffff, v80
	v_and_b32_e32 v133, 0xffff, v79
	v_pk_fma_f16 v75, v86, v74, v84
	v_pk_fma_f16 v74, v85, v74, v83
	v_and_b32_e32 v85, 0xffff, v77
	v_pk_fma_f16 v77, v88, v76, v73
	v_mul_u32_u24_e32 v73, 0x10001, v135
	v_pk_fma_f16 v59, v87, v76, v59
	v_lshrrev_b32_e32 v86, 16, v78
	v_lshrrev_b32_e32 v135, 16, v80
	v_mul_u32_u24_e32 v80, 0x10001, v144
	v_pk_fma_f16 v84, v87, v73, v74
	v_and_b32_e32 v87, 0xffff, v78
	v_mul_u32_u24_e32 v78, 0x10001, v142
	v_pk_fma_f16 v83, v88, v73, v75
	v_lshrrev_b32_e32 v88, 16, v79
	v_mul_u32_u24_e32 v81, 0x10001, v81
	v_mul_u32_u24_e32 v82, 0x10001, v82
	s_wait_dscnt 0xc
	v_pk_fma_f16 v77, v90, v78, v77
	v_pk_fma_f16 v59, v89, v78, v59
	v_mul_u32_u24_e32 v78, 0x10001, v141
	v_mul_u32_u24_e32 v136, 0x10001, v136
	v_mul_u32_u24_e32 v85, 0x10001, v85
	v_mul_u32_u24_e32 v132, 0x10001, v132
	v_pk_fma_f16 v59, v91, v80, v59
	v_pk_fma_f16 v79, v90, v78, v83
	;; [unrolled: 1-line block ×4, first 2 shown]
	v_mul_u32_u24_e32 v77, 0x10001, v143
	s_wait_dscnt 0xb
	v_pk_fma_f16 v59, v93, v81, v59
	ds_load_2addr_b64 v[69:72], v54 offset0:64 offset1:96
	ds_load_2addr_b64 v[73:76], v54 offset0:128 offset1:160
	v_pk_fma_f16 v83, v94, v81, v83
	v_pk_fma_f16 v84, v92, v77, v79
	;; [unrolled: 1-line block ×3, first 2 shown]
	v_mul_u32_u24_e32 v81, 0x10001, v131
	ds_load_b128 v[77:80], v45 offset:112
	v_mul_u32_u24_e32 v88, 0x10001, v88
	s_wait_dscnt 0x7
	v_lshrrev_b32_e32 v142, 16, v121
	v_and_b32_e32 v89, 0xffff, v121
	v_pk_fma_f16 v84, v94, v81, v84
	v_pk_fma_f16 v81, v93, v81, v91
	v_mul_u32_u24_e32 v93, 0x10001, v134
	v_mul_u32_u24_e32 v134, 0x10001, v137
	s_wait_dscnt 0x3
	v_lshrrev_b32_e32 v137, 16, v68
	v_lshrrev_b32_e32 v90, 16, v122
	v_and_b32_e32 v92, 0xffff, v122
	v_pk_fma_f16 v94, v96, v93, v83
	v_pk_fma_f16 v59, v95, v93, v59
	;; [unrolled: 1-line block ×4, first 2 shown]
	ds_load_2addr_b64 v[81:84], v54 offset0:192 offset1:224
	v_pk_fma_f16 v94, v98, v134, v94
	v_pk_fma_f16 v59, v97, v134, v59
	v_lshrrev_b32_e32 v134, 16, v65
	v_pk_fma_f16 v95, v97, v136, v95
	v_and_b32_e32 v97, 0xffff, v65
	v_mul_u32_u24_e32 v65, 0x10001, v139
	v_pk_fma_f16 v96, v98, v136, v96
	v_dual_mov_b32 v139, v38 :: v_dual_mov_b32 v38, v130
	s_wait_loadcnt_dscnt 0x0
	s_delay_alu instid0(VALU_DEP_3)
	v_pk_fma_f16 v94, v100, v65, v94
	v_pk_fma_f16 v59, v99, v65, v59
	v_mul_u32_u24_e32 v65, 0x10001, v138
	v_fmac_f32_e32 v38, v139, v129
	s_barrier_signal -1
	v_pk_fma_f16 v94, v102, v85, v94
	v_pk_fma_f16 v59, v101, v85, v59
	;; [unrolled: 1-line block ×4, first 2 shown]
	v_lshrrev_b32_e32 v85, 16, v77
	s_barrier_wait -1
	global_inv scope:SCOPE_SE
	v_pk_fma_f16 v95, v101, v132, v95
	v_and_b32_e32 v101, 0xffff, v77
	v_mul_u32_u24_e32 v77, 0x10001, v87
	v_pk_fma_f16 v96, v102, v132, v96
	v_lshrrev_b32_e32 v98, 16, v66
	v_and_b32_e32 v99, 0xffff, v66
	v_lshrrev_b32_e32 v100, 16, v67
	v_pk_fma_f16 v87, v104, v77, v94
	v_pk_fma_f16 v59, v103, v77, v59
	v_mul_u32_u24_e32 v77, 0x10001, v86
	v_and_b32_e32 v136, 0xffff, v67
	v_and_b32_e32 v138, 0xffff, v68
	s_clause 0x1
	global_load_b128 v[65:68], v[25:26], off
	global_load_b128 v[25:28], v[27:28], off
	v_lshrrev_b32_e32 v94, 16, v78
	v_pk_fma_f16 v86, v104, v77, v96
	v_pk_fma_f16 v95, v103, v77, v95
	v_and_b32_e32 v96, 0xffff, v78
	v_lshrrev_b32_e32 v102, 16, v79
	v_and_b32_e32 v103, 0xffff, v79
	v_lshrrev_b32_e32 v104, 16, v80
	v_and_b32_e32 v132, 0xffff, v80
	s_clause 0x1
	global_load_b128 v[77:80], v[23:24], off
	global_load_b128 v[21:24], v[21:22], off
	v_mul_u32_u24_e32 v129, 0x10001, v133
	v_mul_u32_u24_e32 v130, 0x10001, v140
	;; [unrolled: 1-line block ×3, first 2 shown]
	v_pk_fma_f16 v86, v106, v88, v86
	v_pk_fma_f16 v88, v105, v88, v95
	;; [unrolled: 1-line block ×4, first 2 shown]
	v_mul_u32_u24_e32 v89, 0x10001, v89
	v_mul_u32_u24_e32 v135, 0x10001, v142
	v_pk_fma_f16 v86, v108, v133, v86
	v_pk_fma_f16 v87, v108, v130, v87
	v_pk_fma_f16 v59, v107, v130, v59
	v_pk_fma_f16 v88, v107, v133, v88
	v_lshrrev_b32_e32 v121, 16, v123
	v_and_b32_e32 v122, 0xffff, v123
	v_mul_u32_u24_e32 v92, 0x10001, v92
	v_mul_u32_u24_e32 v90, 0x10001, v90
	v_pk_fma_f16 v87, v110, v89, v87
	v_pk_fma_f16 v86, v110, v135, v86
	v_pk_fma_f16 v59, v109, v89, v59
	v_pk_fma_f16 v88, v109, v135, v88
	v_lshrrev_b32_e32 v123, 16, v124
	v_and_b32_e32 v124, 0xffff, v124
	;; [unrolled: 8-line block ×6, first 2 shown]
	v_mul_u32_u24_e32 v127, 0x10001, v127
	v_mul_u32_u24_e32 v126, 0x10001, v126
	v_pk_fma_f16 v87, v120, v125, v87
	v_pk_fma_f16 v86, v120, v93, v86
	v_pk_fma_f16 v59, v119, v125, v59
	v_pk_fma_f16 v88, v119, v93, v88
	v_mul_u32_u24_e32 v128, 0x10001, v128
	v_mul_u32_u24_e32 v131, 0x10001, v131
	v_pk_fma_f16 v87, v62, v127, v87
	v_pk_fma_f16 v62, v62, v126, v86
	v_pk_fma_f16 v59, v61, v127, v59
	v_pk_fma_f16 v61, v61, v126, v88
	;; [unrolled: 6-line block ×10, first 2 shown]
	s_wait_loadcnt 0x3
	ds_store_b128 v44, v[65:68]
	s_wait_loadcnt 0x2
	ds_store_b128 v46, v[25:28]
	;; [unrolled: 2-line block ×4, first 2 shown]
	v_pk_fma_f16 v59, v84, v132, v57
	v_pk_fma_f16 v101, v84, v104, v56
	;; [unrolled: 1-line block ×4, first 2 shown]
	s_wait_dscnt 0x0
	s_barrier_signal -1
	s_barrier_wait -1
	global_inv scope:SCOPE_SE
	ds_load_b128 v[21:24], v45 offset:128
	ds_load_b128 v[25:28], v45 offset:144
	ds_load_2addr_b64 v[55:58], v31 offset1:32
	ds_load_b128 v[61:64], v45 offset:160
	ds_load_b128 v[65:68], v45 offset:176
	ds_load_2addr_b64 v[69:72], v31 offset0:64 offset1:96
	ds_load_2addr_b64 v[73:76], v31 offset0:128 offset1:160
	;; [unrolled: 1-line block ×3, first 2 shown]
	ds_load_2addr_b64 v[81:84], v52 offset1:32
	ds_load_b128 v[85:88], v45 offset:192
	ds_load_b128 v[89:92], v45 offset:208
	ds_load_b128 v[93:96], v45 offset:224
	ds_load_b128 v[97:100], v45 offset:240
	s_wait_dscnt 0xc
	v_lshrrev_b32_e32 v104, 16, v21
	v_and_b32_e32 v105, 0xffff, v21
	v_lshrrev_b32_e32 v106, 16, v22
	v_and_b32_e32 v107, 0xffff, v22
	s_wait_dscnt 0xb
	v_lshrrev_b32_e32 v112, 16, v25
	v_and_b32_e32 v113, 0xffff, v25
	v_lshrrev_b32_e32 v114, 16, v26
	v_and_b32_e32 v115, 0xffff, v26
	v_mul_u32_u24_e32 v25, 0x10001, v105
	v_mul_u32_u24_e32 v26, 0x10001, v104
	v_lshrrev_b32_e32 v108, 16, v23
	v_and_b32_e32 v109, 0xffff, v23
	s_wait_dscnt 0x9
	v_lshrrev_b32_e32 v120, 16, v61
	v_and_b32_e32 v121, 0xffff, v61
	v_lshrrev_b32_e32 v122, 16, v62
	v_and_b32_e32 v123, 0xffff, v62
	;; [unrolled: 2-line block ×3, first 2 shown]
	v_pk_fma_f16 v61, v55, v25, v102
	v_pk_fma_f16 v55, v55, v26, v103
	;; [unrolled: 1-line block ×4, first 2 shown]
	v_mul_u32_u24_e32 v62, 0x10001, v107
	v_mul_u32_u24_e32 v63, 0x10001, v106
	v_lshrrev_b32_e32 v110, 16, v24
	v_and_b32_e32 v111, 0xffff, v24
	v_lshrrev_b32_e32 v126, 16, v64
	v_and_b32_e32 v127, 0xffff, v64
	s_wait_dscnt 0x8
	v_lshrrev_b32_e32 v128, 16, v65
	v_and_b32_e32 v129, 0xffff, v65
	v_pk_fma_f16 v61, v57, v62, v61
	v_pk_fma_f16 v64, v57, v63, v55
	;; [unrolled: 1-line block ×4, first 2 shown]
	v_mul_u32_u24_e32 v63, 0x10001, v109
	v_mul_u32_u24_e32 v65, 0x10001, v108
	v_lshrrev_b32_e32 v130, 16, v66
	v_and_b32_e32 v131, 0xffff, v66
	v_lshrrev_b32_e32 v132, 16, v67
	v_and_b32_e32 v133, 0xffff, v67
	;; [unrolled: 2-line block ×3, first 2 shown]
	s_wait_dscnt 0x7
	v_pk_fma_f16 v66, v69, v63, v61
	v_pk_fma_f16 v67, v69, v65, v64
	v_pk_fma_f16 v59, v70, v63, v59
	v_pk_fma_f16 v65, v70, v65, v62
	v_mul_u32_u24_e32 v68, 0x10001, v111
	v_mul_u32_u24_e32 v69, 0x10001, v110
	s_wait_dscnt 0x3
	v_lshrrev_b32_e32 v136, 16, v85
	v_and_b32_e32 v137, 0xffff, v85
	v_mul_u32_u24_e32 v85, 0x10001, v112
	v_pk_fma_f16 v70, v71, v68, v66
	v_pk_fma_f16 v71, v71, v69, v67
	;; [unrolled: 1-line block ×4, first 2 shown]
	v_mul_u32_u24_e32 v72, 0x10001, v113
	v_lshrrev_b32_e32 v116, 16, v27
	v_and_b32_e32 v117, 0xffff, v27
	v_lshrrev_b32_e32 v138, 16, v86
	v_and_b32_e32 v139, 0xffff, v86
	;; [unrolled: 2-line block ×3, first 2 shown]
	v_pk_fma_f16 v86, v73, v72, v70
	v_pk_fma_f16 v73, v73, v85, v71
	;; [unrolled: 1-line block ×4, first 2 shown]
	v_mul_u32_u24_e32 v85, 0x10001, v115
	v_mul_u32_u24_e32 v87, 0x10001, v114
	v_lshrrev_b32_e32 v118, 16, v28
	v_and_b32_e32 v119, 0xffff, v28
	v_lshrrev_b32_e32 v142, 16, v88
	v_and_b32_e32 v143, 0xffff, v88
	s_wait_dscnt 0x2
	v_lshrrev_b32_e32 v144, 16, v89
	v_and_b32_e32 v145, 0xffff, v89
	v_pk_fma_f16 v86, v75, v85, v86
	v_pk_fma_f16 v88, v75, v87, v73
	;; [unrolled: 1-line block ×4, first 2 shown]
	v_mul_u32_u24_e32 v87, 0x10001, v117
	v_mul_u32_u24_e32 v89, 0x10001, v116
	v_lshrrev_b32_e32 v146, 16, v90
	v_and_b32_e32 v147, 0xffff, v90
	v_lshrrev_b32_e32 v148, 16, v91
	v_and_b32_e32 v149, 0xffff, v91
	ds_load_2addr_b64 v[21:24], v52 offset0:64 offset1:96
	v_pk_fma_f16 v90, v77, v87, v86
	v_pk_fma_f16 v77, v77, v89, v88
	;; [unrolled: 1-line block ×4, first 2 shown]
	v_mul_u32_u24_e32 v89, 0x10001, v119
	v_mul_u32_u24_e32 v91, 0x10001, v118
	v_lshrrev_b32_e32 v150, 16, v92
	v_and_b32_e32 v151, 0xffff, v92
	v_mul_u32_u24_e32 v101, 0x10001, v120
	v_pk_fma_f16 v90, v79, v89, v90
	v_pk_fma_f16 v92, v79, v91, v77
	;; [unrolled: 1-line block ×4, first 2 shown]
	v_mul_u32_u24_e32 v91, 0x10001, v121
	ds_load_2addr_b64 v[25:28], v52 offset0:128 offset1:160
	v_mul_u32_u24_e32 v103, 0x10001, v122
	v_mul_u32_u24_e32 v105, 0x10001, v124
	ds_load_2addr_b64 v[55:58], v52 offset0:192 offset1:224
	v_pk_fma_f16 v102, v81, v91, v90
	v_pk_fma_f16 v81, v81, v101, v92
	;; [unrolled: 1-line block ×4, first 2 shown]
	v_mul_u32_u24_e32 v101, 0x10001, v123
	v_mul_u32_u24_e32 v106, 0x10001, v127
	v_pk_fma_f16 v104, v83, v103, v81
	v_mul_u32_u24_e32 v107, 0x10001, v126
	v_mul_u32_u24_e32 v108, 0x10001, v129
	v_pk_fma_f16 v102, v83, v101, v102
	v_pk_fma_f16 v59, v84, v101, v59
	;; [unrolled: 1-line block ×3, first 2 shown]
	v_mul_u32_u24_e32 v103, 0x10001, v125
	v_mul_u32_u24_e32 v109, 0x10001, v128
	ds_load_2addr_b64 v[61:64], v53 offset1:32
	v_mul_u32_u24_e32 v110, 0x10001, v131
	v_mul_u32_u24_e32 v111, 0x10001, v130
	s_wait_dscnt 0x3
	v_pk_fma_f16 v102, v21, v103, v102
	v_pk_fma_f16 v21, v21, v105, v104
	;; [unrolled: 1-line block ×4, first 2 shown]
	v_mul_u32_u24_e32 v112, 0x10001, v133
	v_pk_fma_f16 v102, v23, v106, v102
	v_pk_fma_f16 v21, v23, v107, v21
	;; [unrolled: 1-line block ×4, first 2 shown]
	v_mul_u32_u24_e32 v113, 0x10001, v132
	s_wait_dscnt 0x2
	v_pk_fma_f16 v59, v25, v108, v102
	v_pk_fma_f16 v21, v25, v109, v21
	;; [unrolled: 1-line block ×4, first 2 shown]
	ds_load_2addr_b64 v[65:68], v53 offset0:64 offset1:96
	v_pk_fma_f16 v26, v27, v110, v59
	v_pk_fma_f16 v21, v27, v111, v21
	;; [unrolled: 1-line block ×4, first 2 shown]
	v_mul_u32_u24_e32 v114, 0x10001, v135
	v_mul_u32_u24_e32 v115, 0x10001, v134
	s_wait_dscnt 0x2
	v_pk_fma_f16 v26, v55, v112, v26
	v_pk_fma_f16 v21, v55, v113, v21
	;; [unrolled: 1-line block ×4, first 2 shown]
	v_mul_u32_u24_e32 v116, 0x10001, v137
	v_mul_u32_u24_e32 v117, 0x10001, v136
	v_pk_fma_f16 v26, v57, v114, v26
	v_pk_fma_f16 v21, v57, v115, v21
	v_pk_fma_f16 v23, v58, v114, v23
	v_pk_fma_f16 v22, v58, v115, v22
	ds_load_2addr_b64 v[69:72], v53 offset0:128 offset1:160
	v_mul_u32_u24_e32 v118, 0x10001, v139
	v_mul_u32_u24_e32 v119, 0x10001, v138
	s_wait_dscnt 0x2
	v_pk_fma_f16 v26, v61, v116, v26
	v_pk_fma_f16 v21, v61, v117, v21
	v_pk_fma_f16 v23, v62, v116, v23
	v_pk_fma_f16 v22, v62, v117, v22
	v_mul_u32_u24_e32 v120, 0x10001, v141
	v_mul_u32_u24_e32 v121, 0x10001, v140
	v_pk_fma_f16 v26, v63, v118, v26
	v_pk_fma_f16 v21, v63, v119, v21
	;; [unrolled: 1-line block ×4, first 2 shown]
	ds_load_2addr_b64 v[73:76], v53 offset0:192 offset1:224
	v_mul_u32_u24_e32 v122, 0x10001, v143
	v_mul_u32_u24_e32 v123, 0x10001, v142
	s_wait_dscnt 0x2
	v_pk_fma_f16 v26, v65, v120, v26
	v_pk_fma_f16 v21, v65, v121, v21
	;; [unrolled: 1-line block ×4, first 2 shown]
	v_mul_u32_u24_e32 v124, 0x10001, v145
	v_mul_u32_u24_e32 v125, 0x10001, v144
	v_pk_fma_f16 v26, v67, v122, v26
	v_pk_fma_f16 v21, v67, v123, v21
	v_pk_fma_f16 v23, v68, v122, v23
	v_pk_fma_f16 v22, v68, v123, v22
	ds_load_2addr_b64 v[85:88], v54 offset1:32
	v_mul_u32_u24_e32 v126, 0x10001, v147
	v_mul_u32_u24_e32 v127, 0x10001, v146
	s_wait_dscnt 0x2
	v_pk_fma_f16 v26, v69, v124, v26
	v_pk_fma_f16 v21, v69, v125, v21
	;; [unrolled: 1-line block ×4, first 2 shown]
	v_mul_u32_u24_e32 v101, 0x10001, v149
	v_mul_u32_u24_e32 v24, 0x10001, v148
	v_pk_fma_f16 v26, v71, v126, v26
	v_pk_fma_f16 v21, v71, v127, v21
	v_pk_fma_f16 v23, v72, v126, v23
	v_pk_fma_f16 v22, v72, v127, v22
	v_lshrrev_b32_e32 v152, 16, v93
	v_and_b32_e32 v93, 0xffff, v93
	ds_load_2addr_b64 v[77:80], v54 offset0:64 offset1:96
	v_mul_u32_u24_e32 v25, 0x10001, v151
	v_mul_u32_u24_e32 v27, 0x10001, v150
	s_wait_dscnt 0x2
	v_pk_fma_f16 v26, v73, v101, v26
	v_pk_fma_f16 v21, v73, v24, v21
	;; [unrolled: 1-line block ×4, first 2 shown]
	v_lshrrev_b32_e32 v153, 16, v94
	v_and_b32_e32 v94, 0xffff, v94
	v_mul_u32_u24_e32 v28, 0x10001, v93
	v_mul_u32_u24_e32 v55, 0x10001, v152
	v_pk_fma_f16 v26, v75, v25, v26
	v_pk_fma_f16 v21, v75, v27, v21
	;; [unrolled: 1-line block ×4, first 2 shown]
	v_lshrrev_b32_e32 v154, 16, v95
	v_and_b32_e32 v95, 0xffff, v95
	ds_load_2addr_b64 v[89:92], v54 offset0:128 offset1:160
	v_mul_u32_u24_e32 v56, 0x10001, v94
	v_mul_u32_u24_e32 v57, 0x10001, v153
	s_wait_dscnt 0x2
	v_pk_fma_f16 v26, v85, v28, v26
	v_pk_fma_f16 v21, v85, v55, v21
	;; [unrolled: 1-line block ×4, first 2 shown]
	v_lshrrev_b32_e32 v155, 16, v96
	v_and_b32_e32 v96, 0xffff, v96
	v_mul_u32_u24_e32 v58, 0x10001, v95
	v_mul_u32_u24_e32 v59, 0x10001, v154
	v_pk_fma_f16 v26, v87, v56, v26
	v_pk_fma_f16 v21, v87, v57, v21
	;; [unrolled: 1-line block ×4, first 2 shown]
	v_lshrrev_b32_e32 v156, 16, v97
	v_and_b32_e32 v97, 0xffff, v97
	ds_load_2addr_b64 v[81:84], v54 offset0:192 offset1:224
	v_mul_u32_u24_e32 v61, 0x10001, v96
	v_mul_u32_u24_e32 v62, 0x10001, v155
	s_wait_dscnt 0x2
	v_pk_fma_f16 v26, v77, v58, v26
	v_pk_fma_f16 v21, v77, v59, v21
	;; [unrolled: 1-line block ×4, first 2 shown]
	s_wait_loadcnt_dscnt 0x0
	s_barrier_signal -1
	s_barrier_wait -1
	global_inv scope:SCOPE_SE
	s_load_b32 s2, s[38:39], 0x4
	v_lshrrev_b32_e32 v157, 16, v98
	v_and_b32_e32 v98, 0xffff, v98
	v_mul_u32_u24_e32 v24, 0x10001, v97
	v_mul_u32_u24_e32 v25, 0x10001, v156
	v_pk_fma_f16 v26, v79, v61, v26
	v_pk_fma_f16 v21, v79, v62, v21
	v_pk_fma_f16 v23, v80, v61, v23
	v_pk_fma_f16 v22, v80, v62, v22
	v_lshrrev_b32_e32 v158, 16, v99
	v_and_b32_e32 v99, 0xffff, v99
	v_mul_u32_u24_e32 v27, 0x10001, v98
	v_mul_u32_u24_e32 v28, 0x10001, v157
	v_pk_fma_f16 v26, v89, v24, v26
	v_pk_fma_f16 v21, v89, v25, v21
	v_pk_fma_f16 v23, v90, v24, v23
	v_pk_fma_f16 v22, v90, v25, v22
	;; [unrolled: 8-line block ×3, first 2 shown]
	v_mul_u32_u24_e32 v24, 0x10001, v100
	v_mul_u32_u24_e32 v26, 0x10001, v159
	v_pk_fma_f16 v25, v81, v55, v25
	v_pk_fma_f16 v21, v81, v56, v21
	;; [unrolled: 1-line block ×4, first 2 shown]
	s_wait_kmcnt 0x0
	s_lshl_b32 s2, s2, 6
	v_pk_fma_f16 v57, v83, v24, v25
	v_pk_fma_f16 v56, v83, v26, v21
	;; [unrolled: 1-line block ×4, first 2 shown]
	s_wait_alu 0xfffe
	s_add_co_i32 s14, s2, s14
	s_wait_alu 0xfffe
	s_cmp_ge_i32 s14, s34
	s_cbranch_scc0 .LBB43_9
; %bb.10:
	v_mov_b32_e32 v3, 32
	v_mov_b32_e32 v5, v32
.LBB43_11:
	s_delay_alu instid0(VALU_DEP_2)
	v_cmp_lt_i32_e32 vcc_lo, v37, v3
	s_cmp_lg_u64 s[12:13], 0
	s_cselect_b32 s2, -1, 0
	s_cmp_eq_u32 s10, 0
	s_wait_alu 0xfffd
	v_cndmask_b32_e32 v2, v5, v37, vcc_lo
	v_cmp_lt_i32_e32 vcc_lo, v36, v3
	s_cselect_b32 s3, -1, 0
	s_wait_alu 0xfffe
	s_and_b32 s2, s3, s2
	v_lshlrev_b32_e32 v2, 2, v2
	s_wait_alu 0xfffd
	v_cndmask_b32_e32 v6, v5, v36, vcc_lo
	v_cmp_lt_i32_e32 vcc_lo, v35, v3
	ds_bpermute_b32 v4, v2, v60
	ds_bpermute_b32 v2, v2, v38
	v_lshlrev_b32_e32 v6, 2, v6
	s_wait_alu 0xfffd
	v_cndmask_b32_e32 v8, v5, v35, vcc_lo
	v_cmp_lt_i32_e32 vcc_lo, v34, v3
	s_delay_alu instid0(VALU_DEP_2)
	v_lshlrev_b32_e32 v8, 2, v8
	s_wait_dscnt 0x1
	v_add_f32_e32 v4, v60, v4
	s_wait_dscnt 0x0
	v_add_f32_e32 v2, v38, v2
	ds_bpermute_b32 v7, v6, v4
	ds_bpermute_b32 v6, v6, v2
	s_wait_dscnt 0x1
	v_add_f32_e32 v4, v4, v7
	s_wait_dscnt 0x0
	v_add_f32_e32 v2, v2, v6
	ds_bpermute_b32 v6, v8, v4
	ds_bpermute_b32 v7, v8, v2
	s_wait_alu 0xfffd
	v_cndmask_b32_e32 v8, v5, v34, vcc_lo
	v_cmp_lt_i32_e32 vcc_lo, v33, v3
	s_wait_alu 0xfffd
	s_delay_alu instid0(VALU_DEP_2) | instskip(SKIP_3) | instid1(VALU_DEP_1)
	v_dual_cndmask_b32 v3, v5, v33 :: v_dual_lshlrev_b32 v8, 2, v8
	s_wait_alu 0xfffe
	s_and_b32 vcc_lo, exec_lo, s2
	s_wait_dscnt 0x1
	v_dual_add_f32 v4, v4, v6 :: v_dual_lshlrev_b32 v3, 2, v3
	s_wait_dscnt 0x0
	v_add_f32_e32 v2, v2, v7
	ds_bpermute_b32 v6, v8, v4
	ds_bpermute_b32 v7, v8, v2
	s_wait_dscnt 0x0
	v_dual_add_f32 v4, v4, v6 :: v_dual_add_f32 v5, v2, v7
	ds_bpermute_b32 v2, v3, v4
	ds_bpermute_b32 v3, v3, v5
	s_wait_dscnt 0x0
	v_dual_add_f32 v2, v4, v2 :: v_dual_add_f32 v3, v5, v3
	s_wait_alu 0xfffe
	s_cbranch_vccz .LBB43_14
; %bb.12:
	s_ashr_i32 s31, s30, 31
	v_mov_b32_e32 v4, 0
	s_lshl_b64 s[2:3], s[30:31], 2
	s_wait_alu 0xfffe
	s_add_nc_u64 s[2:3], s[12:13], s[2:3]
	global_load_b64 v[4:5], v4, s[2:3]
	v_max_num_f32_e32 v6, v19, v19
	v_max_num_f32_e32 v8, v20, v20
	s_wait_loadcnt 0x0
	v_max_num_f32_e32 v7, v4, v4
	s_delay_alu instid0(VALU_DEP_1) | instskip(NEXT) | instid1(VALU_DEP_1)
	v_dual_max_num_f32 v9, v5, v5 :: v_dual_max_num_f32 v6, v6, v7
	v_dual_max_num_f32 v7, v8, v9 :: v_dual_sub_f32 v8, v19, v6
	s_delay_alu instid0(VALU_DEP_1) | instskip(SKIP_1) | instid1(VALU_DEP_3)
	v_sub_f32_e32 v9, v20, v7
	v_dual_sub_f32 v5, v5, v7 :: v_dual_sub_f32 v4, v4, v6
	v_cmp_ngt_f32_e32 vcc_lo, 0xc2ce8ed0, v8
	s_delay_alu instid0(VALU_DEP_3) | instskip(NEXT) | instid1(VALU_DEP_3)
	v_mul_f32_e32 v12, 0x3fb8aa3b, v9
	v_mul_f32_e32 v13, 0x3fb8aa3b, v5
	s_delay_alu instid0(VALU_DEP_4) | instskip(NEXT) | instid1(VALU_DEP_3)
	v_mul_f32_e32 v11, 0x3fb8aa3b, v4
	v_fma_f32 v17, 0x3fb8aa3b, v9, -v12
	v_rndne_f32_e32 v18, v12
	s_delay_alu instid0(VALU_DEP_3)
	v_rndne_f32_e32 v19, v11
	v_mul_f32_e32 v10, 0x3fb8aa3b, v8
	v_fma_f32 v16, 0x3fb8aa3b, v4, -v11
	v_fma_f32 v20, 0x3fb8aa3b, v5, -v13
	v_rndne_f32_e32 v21, v13
	v_sub_f32_e32 v11, v11, v19
	v_fma_f32 v14, 0x3fb8aa3b, v8, -v10
	v_rndne_f32_e32 v15, v10
	v_dual_fmac_f32 v17, 0x32a5705f, v9 :: v_dual_fmac_f32 v16, 0x32a5705f, v4
	v_sub_f32_e32 v12, v12, v18
	s_delay_alu instid0(VALU_DEP_4) | instskip(NEXT) | instid1(VALU_DEP_4)
	v_fmac_f32_e32 v14, 0x32a5705f, v8
	v_dual_sub_f32 v10, v10, v15 :: v_dual_sub_f32 v13, v13, v21
	s_delay_alu instid0(VALU_DEP_4) | instskip(NEXT) | instid1(VALU_DEP_4)
	v_dual_fmac_f32 v20, 0x32a5705f, v5 :: v_dual_add_f32 v11, v11, v16
	v_add_f32_e32 v12, v12, v17
	s_delay_alu instid0(VALU_DEP_3) | instskip(SKIP_1) | instid1(VALU_DEP_4)
	v_add_f32_e32 v10, v10, v14
	v_cvt_i32_f32_e32 v14, v15
	v_add_f32_e32 v13, v13, v20
	v_cvt_i32_f32_e32 v15, v18
	v_exp_f32_e32 v12, v12
	v_exp_f32_e32 v10, v10
	;; [unrolled: 1-line block ×3, first 2 shown]
	v_cvt_i32_f32_e32 v16, v19
	v_exp_f32_e32 v13, v13
	v_dual_mov_b32 v20, v7 :: v_dual_mov_b32 v19, v6
	v_ldexp_f32 v12, v12, v15
	s_delay_alu instid0(TRANS32_DEP_3) | instskip(SKIP_1) | instid1(TRANS32_DEP_2)
	v_ldexp_f32 v10, v10, v14
	v_cvt_i32_f32_e32 v14, v21
	v_ldexp_f32 v11, v11, v16
	s_wait_alu 0xfffd
	s_delay_alu instid0(VALU_DEP_3)
	v_cndmask_b32_e32 v10, 0, v10, vcc_lo
	v_cmp_ngt_f32_e32 vcc_lo, 0xc2ce8ed0, v9
	s_wait_alu 0xfffd
	v_cndmask_b32_e32 v12, 0, v12, vcc_lo
	v_cmp_nlt_f32_e32 vcc_lo, 0x42b17218, v8
	s_wait_alu 0xfffd
	v_cndmask_b32_e32 v8, 0x7f800000, v10, vcc_lo
	v_cmp_nlt_f32_e32 vcc_lo, 0x42b17218, v9
	v_ldexp_f32 v10, v13, v14
	s_wait_alu 0xfffd
	v_cndmask_b32_e32 v9, 0x7f800000, v12, vcc_lo
	v_cmp_ngt_f32_e32 vcc_lo, 0xc2ce8ed0, v4
	s_delay_alu instid0(VALU_DEP_2)
	v_cvt_f16_f32_e32 v13, v9
	s_wait_alu 0xfffd
	v_cndmask_b32_e32 v11, 0, v11, vcc_lo
	v_cmp_ngt_f32_e32 vcc_lo, 0xc2ce8ed0, v5
	s_wait_alu 0xfffd
	v_cndmask_b32_e32 v10, 0, v10, vcc_lo
	v_cmp_nlt_f32_e32 vcc_lo, 0x42b17218, v4
	s_wait_alu 0xfffd
	v_cndmask_b32_e32 v4, 0x7f800000, v11, vcc_lo
	v_cmp_nlt_f32_e32 vcc_lo, 0x42b17218, v5
	s_wait_alu 0xfffd
	v_cndmask_b32_e32 v5, 0x7f800000, v10, vcc_lo
	s_delay_alu instid0(VALU_DEP_1) | instskip(NEXT) | instid1(VALU_DEP_1)
	v_fmac_f32_e32 v5, v3, v9
	v_mov_b32_e32 v3, v5
	v_cvt_f16_f32_e32 v12, v8
	v_fmac_f32_e32 v4, v2, v8
	s_delay_alu instid0(VALU_DEP_2) | instskip(SKIP_1) | instid1(VALU_DEP_3)
	v_and_b32_e32 v11, 0xffff, v12
	v_and_b32_e32 v12, 0xffff, v13
	v_mov_b32_e32 v2, v4
	s_delay_alu instid0(VALU_DEP_3) | instskip(NEXT) | instid1(VALU_DEP_3)
	v_mul_u32_u24_e32 v8, 0x10001, v11
	v_mul_u32_u24_e32 v6, 0x10001, v12
	s_delay_alu instid0(VALU_DEP_2) | instskip(SKIP_1) | instid1(VALU_DEP_3)
	v_pk_mul_f16 v57, v57, v8
	v_pk_mul_f16 v58, v58, v8
	;; [unrolled: 1-line block ×4, first 2 shown]
	s_mov_b32 s2, exec_lo
	v_cmpx_gt_i32_e64 s22, v1
	s_cbranch_execnz .LBB43_15
.LBB43_13:
	s_nop 0
	s_sendmsg sendmsg(MSG_DEALLOC_VGPRS)
	s_endpgm
.LBB43_14:
	s_delay_alu instid0(VALU_DEP_1)
	v_dual_mov_b32 v5, v3 :: v_dual_mov_b32 v4, v2
	s_mov_b32 s2, exec_lo
	v_cmpx_gt_i32_e64 s22, v1
	s_cbranch_execz .LBB43_13
.LBB43_15:
	s_load_b32 s1, s[0:1], 0xd4
	v_mov_b32_e32 v6, 1.0
	s_wait_kmcnt 0x0
	s_cmp_lg_u32 s1, 1
	s_cselect_b32 s3, -1, 0
	s_cmp_eq_u32 s1, 1
	s_cselect_b32 s2, -1, 0
	s_wait_alu 0xfffe
	s_and_b32 vcc_lo, exec_lo, s3
	s_wait_alu 0xfffe
	s_cbranch_vccnz .LBB43_17
; %bb.16:
	v_div_scale_f32 v6, null, v2, v2, 1.0
	s_delay_alu instid0(VALU_DEP_1) | instskip(NEXT) | instid1(TRANS32_DEP_1)
	v_rcp_f32_e32 v7, v6
	v_fma_f32 v8, -v6, v7, 1.0
	s_delay_alu instid0(VALU_DEP_1) | instskip(SKIP_1) | instid1(VALU_DEP_1)
	v_fmac_f32_e32 v7, v8, v7
	v_div_scale_f32 v8, vcc_lo, 1.0, v2, 1.0
	v_mul_f32_e32 v9, v8, v7
	s_delay_alu instid0(VALU_DEP_1) | instskip(NEXT) | instid1(VALU_DEP_1)
	v_fma_f32 v10, -v6, v9, v8
	v_fmac_f32_e32 v9, v10, v7
	s_delay_alu instid0(VALU_DEP_1) | instskip(SKIP_1) | instid1(VALU_DEP_1)
	v_fma_f32 v6, -v6, v9, v8
	s_wait_alu 0xfffd
	v_div_fmas_f32 v6, v6, v7, v9
	s_delay_alu instid0(VALU_DEP_1)
	v_div_fixup_f32 v6, v6, v2, 1.0
.LBB43_17:
	v_mad_co_u64_u32 v[1:2], null, s28, s22, v[1:2]
	v_cvt_f32_f16_e32 v9, v57
	v_mov_b32_e32 v8, 0
	v_cmp_eq_u32_e32 vcc_lo, 0, v0
	v_lshrrev_b32_e32 v0, 16, v57
	v_cvt_f32_f16_e32 v10, v58
	v_mad_co_u64_u32 v[1:2], null, v1, s23, s[30:31]
	s_delay_alu instid0(VALU_DEP_3) | instskip(NEXT) | instid1(VALU_DEP_2)
	v_cvt_f32_f16_e32 v0, v0
	v_mad_co_u64_u32 v[1:2], null, s1, v1, s[10:11]
	v_lshrrev_b32_e32 v2, 16, v58
	s_delay_alu instid0(VALU_DEP_1) | instskip(NEXT) | instid1(VALU_DEP_3)
	v_cvt_f32_f16_e32 v2, v2
	v_lshl_add_u32 v7, v1, 7, v29
	s_delay_alu instid0(VALU_DEP_1)
	v_lshlrev_b64_e32 v[11:12], 2, v[7:8]
	v_mul_f32_e32 v7, v6, v9
	v_mul_f32_e32 v9, v6, v10
	;; [unrolled: 1-line block ×4, first 2 shown]
	v_add_co_u32 v11, s0, s16, v11
	s_wait_alu 0xf1ff
	v_add_co_ci_u32_e64 v12, null, s17, v12, s0
	s_and_b32 s0, vcc_lo, s3
	global_store_b128 v[11:12], v[7:10], off
	s_wait_alu 0xfffe
	s_and_saveexec_b32 s3, s0
	s_cbranch_execz .LBB43_19
; %bb.18:
	v_ashrrev_i32_e32 v2, 31, v1
	v_dual_mov_b32 v8, v19 :: v_dual_mov_b32 v9, v4
	s_delay_alu instid0(VALU_DEP_2) | instskip(NEXT) | instid1(VALU_DEP_1)
	v_lshlrev_b64_e32 v[6:7], 3, v[1:2]
	v_add_co_u32 v6, vcc_lo, s18, v6
	s_wait_alu 0xfffd
	s_delay_alu instid0(VALU_DEP_2)
	v_add_co_ci_u32_e64 v7, null, s19, v7, vcc_lo
	global_store_b64 v[6:7], v[8:9], off
.LBB43_19:
	s_wait_alu 0xfffe
	s_or_b32 exec_lo, exec_lo, s3
	v_mov_b32_e32 v2, 1.0
	s_and_not1_b32 vcc_lo, exec_lo, s2
	s_wait_alu 0xfffe
	s_cbranch_vccnz .LBB43_21
; %bb.20:
	v_div_scale_f32 v0, null, v3, v3, 1.0
	s_delay_alu instid0(VALU_DEP_1) | instskip(NEXT) | instid1(TRANS32_DEP_1)
	v_rcp_f32_e32 v2, v0
	v_fma_f32 v4, -v0, v2, 1.0
	s_delay_alu instid0(VALU_DEP_1) | instskip(SKIP_1) | instid1(VALU_DEP_1)
	v_fmac_f32_e32 v2, v4, v2
	v_div_scale_f32 v4, vcc_lo, 1.0, v3, 1.0
	v_mul_f32_e32 v6, v4, v2
	s_delay_alu instid0(VALU_DEP_1) | instskip(NEXT) | instid1(VALU_DEP_1)
	v_fma_f32 v7, -v0, v6, v4
	v_fmac_f32_e32 v6, v7, v2
	s_delay_alu instid0(VALU_DEP_1) | instskip(SKIP_1) | instid1(VALU_DEP_1)
	v_fma_f32 v0, -v0, v6, v4
	s_wait_alu 0xfffd
	v_div_fmas_f32 v0, v0, v2, v6
	s_delay_alu instid0(VALU_DEP_1)
	v_div_fixup_f32 v2, v0, v3, 1.0
.LBB43_21:
	v_add_nc_u32_e32 v0, s1, v1
	v_lshrrev_b32_e32 v1, 16, v56
	v_lshrrev_b32_e32 v6, 16, v55
	v_cvt_f32_f16_e32 v7, v56
	v_cvt_f32_f16_e32 v8, v55
	v_lshl_add_u32 v3, v0, 7, v29
	v_cvt_f32_f16_e32 v1, v1
	v_mov_b32_e32 v4, 0
	v_cvt_f32_f16_e32 v9, v6
	v_mul_f32_e32 v6, v2, v7
	v_mul_f32_e32 v8, v2, v8
	;; [unrolled: 1-line block ×3, first 2 shown]
	v_lshlrev_b64_e32 v[3:4], 2, v[3:4]
	v_mul_f32_e32 v9, v2, v9
	s_delay_alu instid0(VALU_DEP_2) | instskip(SKIP_1) | instid1(VALU_DEP_3)
	v_add_co_u32 v1, vcc_lo, s16, v3
	s_wait_alu 0xfffd
	v_add_co_ci_u32_e64 v2, null, s17, v4, vcc_lo
	global_store_b128 v[1:2], v[6:9], off
	s_and_b32 exec_lo, exec_lo, s0
	s_cbranch_execz .LBB43_13
; %bb.22:
	v_ashrrev_i32_e32 v1, 31, v0
	v_mov_b32_e32 v4, v20
	s_delay_alu instid0(VALU_DEP_2) | instskip(NEXT) | instid1(VALU_DEP_1)
	v_lshlrev_b64_e32 v[0:1], 3, v[0:1]
	v_add_co_u32 v0, vcc_lo, s18, v0
	s_wait_alu 0xfffd
	s_delay_alu instid0(VALU_DEP_2)
	v_add_co_ci_u32_e64 v1, null, s19, v1, vcc_lo
	global_store_b64 v[0:1], v[4:5], off
	s_nop 0
	s_sendmsg sendmsg(MSG_DEALLOC_VGPRS)
	s_endpgm
	.section	.rodata,"a",@progbits
	.p2align	6, 0x0
	.amdhsa_kernel _ZL15flash_attn_tileILi128ELi128ELi4ELi2ELb0EEvPKcS1_S1_S1_S1_PKiPfP15HIP_vector_typeIfLj2EEffffjfiS5_IjLj3EEiiiiiiiiiiiliiliiiiil
		.amdhsa_group_segment_fixed_size 12288
		.amdhsa_private_segment_fixed_size 0
		.amdhsa_kernarg_size 464
		.amdhsa_user_sgpr_count 2
		.amdhsa_user_sgpr_dispatch_ptr 0
		.amdhsa_user_sgpr_queue_ptr 0
		.amdhsa_user_sgpr_kernarg_segment_ptr 1
		.amdhsa_user_sgpr_dispatch_id 0
		.amdhsa_user_sgpr_private_segment_size 0
		.amdhsa_wavefront_size32 1
		.amdhsa_uses_dynamic_stack 0
		.amdhsa_enable_private_segment 0
		.amdhsa_system_sgpr_workgroup_id_x 1
		.amdhsa_system_sgpr_workgroup_id_y 1
		.amdhsa_system_sgpr_workgroup_id_z 1
		.amdhsa_system_sgpr_workgroup_info 0
		.amdhsa_system_vgpr_workitem_id 1
		.amdhsa_next_free_vgpr 160
		.amdhsa_next_free_sgpr 42
		.amdhsa_reserve_vcc 1
		.amdhsa_float_round_mode_32 0
		.amdhsa_float_round_mode_16_64 0
		.amdhsa_float_denorm_mode_32 3
		.amdhsa_float_denorm_mode_16_64 3
		.amdhsa_fp16_overflow 0
		.amdhsa_workgroup_processor_mode 1
		.amdhsa_memory_ordered 1
		.amdhsa_forward_progress 1
		.amdhsa_inst_pref_size 85
		.amdhsa_round_robin_scheduling 0
		.amdhsa_exception_fp_ieee_invalid_op 0
		.amdhsa_exception_fp_denorm_src 0
		.amdhsa_exception_fp_ieee_div_zero 0
		.amdhsa_exception_fp_ieee_overflow 0
		.amdhsa_exception_fp_ieee_underflow 0
		.amdhsa_exception_fp_ieee_inexact 0
		.amdhsa_exception_int_div_zero 0
	.end_amdhsa_kernel
	.section	.text._ZL15flash_attn_tileILi128ELi128ELi4ELi2ELb0EEvPKcS1_S1_S1_S1_PKiPfP15HIP_vector_typeIfLj2EEffffjfiS5_IjLj3EEiiiiiiiiiiiliiliiiiil,"axG",@progbits,_ZL15flash_attn_tileILi128ELi128ELi4ELi2ELb0EEvPKcS1_S1_S1_S1_PKiPfP15HIP_vector_typeIfLj2EEffffjfiS5_IjLj3EEiiiiiiiiiiiliiliiiiil,comdat
.Lfunc_end43:
	.size	_ZL15flash_attn_tileILi128ELi128ELi4ELi2ELb0EEvPKcS1_S1_S1_S1_PKiPfP15HIP_vector_typeIfLj2EEffffjfiS5_IjLj3EEiiiiiiiiiiiliiliiiiil, .Lfunc_end43-_ZL15flash_attn_tileILi128ELi128ELi4ELi2ELb0EEvPKcS1_S1_S1_S1_PKiPfP15HIP_vector_typeIfLj2EEffffjfiS5_IjLj3EEiiiiiiiiiiiliiliiiiil
                                        ; -- End function
	.set _ZL15flash_attn_tileILi128ELi128ELi4ELi2ELb0EEvPKcS1_S1_S1_S1_PKiPfP15HIP_vector_typeIfLj2EEffffjfiS5_IjLj3EEiiiiiiiiiiiliiliiiiil.num_vgpr, 160
	.set _ZL15flash_attn_tileILi128ELi128ELi4ELi2ELb0EEvPKcS1_S1_S1_S1_PKiPfP15HIP_vector_typeIfLj2EEffffjfiS5_IjLj3EEiiiiiiiiiiiliiliiiiil.num_agpr, 0
	.set _ZL15flash_attn_tileILi128ELi128ELi4ELi2ELb0EEvPKcS1_S1_S1_S1_PKiPfP15HIP_vector_typeIfLj2EEffffjfiS5_IjLj3EEiiiiiiiiiiiliiliiiiil.numbered_sgpr, 42
	.set _ZL15flash_attn_tileILi128ELi128ELi4ELi2ELb0EEvPKcS1_S1_S1_S1_PKiPfP15HIP_vector_typeIfLj2EEffffjfiS5_IjLj3EEiiiiiiiiiiiliiliiiiil.num_named_barrier, 0
	.set _ZL15flash_attn_tileILi128ELi128ELi4ELi2ELb0EEvPKcS1_S1_S1_S1_PKiPfP15HIP_vector_typeIfLj2EEffffjfiS5_IjLj3EEiiiiiiiiiiiliiliiiiil.private_seg_size, 0
	.set _ZL15flash_attn_tileILi128ELi128ELi4ELi2ELb0EEvPKcS1_S1_S1_S1_PKiPfP15HIP_vector_typeIfLj2EEffffjfiS5_IjLj3EEiiiiiiiiiiiliiliiiiil.uses_vcc, 1
	.set _ZL15flash_attn_tileILi128ELi128ELi4ELi2ELb0EEvPKcS1_S1_S1_S1_PKiPfP15HIP_vector_typeIfLj2EEffffjfiS5_IjLj3EEiiiiiiiiiiiliiliiiiil.uses_flat_scratch, 0
	.set _ZL15flash_attn_tileILi128ELi128ELi4ELi2ELb0EEvPKcS1_S1_S1_S1_PKiPfP15HIP_vector_typeIfLj2EEffffjfiS5_IjLj3EEiiiiiiiiiiiliiliiiiil.has_dyn_sized_stack, 0
	.set _ZL15flash_attn_tileILi128ELi128ELi4ELi2ELb0EEvPKcS1_S1_S1_S1_PKiPfP15HIP_vector_typeIfLj2EEffffjfiS5_IjLj3EEiiiiiiiiiiiliiliiiiil.has_recursion, 0
	.set _ZL15flash_attn_tileILi128ELi128ELi4ELi2ELb0EEvPKcS1_S1_S1_S1_PKiPfP15HIP_vector_typeIfLj2EEffffjfiS5_IjLj3EEiiiiiiiiiiiliiliiiiil.has_indirect_call, 0
	.section	.AMDGPU.csdata,"",@progbits
; Kernel info:
; codeLenInByte = 10876
; TotalNumSgprs: 44
; NumVgprs: 160
; ScratchSize: 0
; MemoryBound: 0
; FloatMode: 240
; IeeeMode: 1
; LDSByteSize: 12288 bytes/workgroup (compile time only)
; SGPRBlocks: 0
; VGPRBlocks: 19
; NumSGPRsForWavesPerEU: 44
; NumVGPRsForWavesPerEU: 160
; Occupancy: 9
; WaveLimiterHint : 1
; COMPUTE_PGM_RSRC2:SCRATCH_EN: 0
; COMPUTE_PGM_RSRC2:USER_SGPR: 2
; COMPUTE_PGM_RSRC2:TRAP_HANDLER: 0
; COMPUTE_PGM_RSRC2:TGID_X_EN: 1
; COMPUTE_PGM_RSRC2:TGID_Y_EN: 1
; COMPUTE_PGM_RSRC2:TGID_Z_EN: 1
; COMPUTE_PGM_RSRC2:TIDIG_COMP_CNT: 1
	.section	.text._ZL33flash_attn_stream_k_fixup_uniformILi128ELi4ELi2EEvPfPK15HIP_vector_typeIfLj2EEiiiiiiS1_IjLj3EES5_S5_,"axG",@progbits,_ZL33flash_attn_stream_k_fixup_uniformILi128ELi4ELi2EEvPfPK15HIP_vector_typeIfLj2EEiiiiiiS1_IjLj3EES5_S5_,comdat
	.globl	_ZL33flash_attn_stream_k_fixup_uniformILi128ELi4ELi2EEvPfPK15HIP_vector_typeIfLj2EEiiiiiiS1_IjLj3EES5_S5_ ; -- Begin function _ZL33flash_attn_stream_k_fixup_uniformILi128ELi4ELi2EEvPfPK15HIP_vector_typeIfLj2EEiiiiiiS1_IjLj3EES5_S5_
	.p2align	8
	.type	_ZL33flash_attn_stream_k_fixup_uniformILi128ELi4ELi2EEvPfPK15HIP_vector_typeIfLj2EEiiiiiiS1_IjLj3EES5_S5_,@function
_ZL33flash_attn_stream_k_fixup_uniformILi128ELi4ELi2EEvPfPK15HIP_vector_typeIfLj2EEiiiiiiS1_IjLj3EES5_S5_: ; @_ZL33flash_attn_stream_k_fixup_uniformILi128ELi4ELi2EEvPfPK15HIP_vector_typeIfLj2EEiiiiiiS1_IjLj3EES5_S5_
; %bb.0:
	s_clause 0x1
	s_load_b256 s[4:11], s[0:1], 0x1c
	s_load_b128 s[12:15], s[0:1], 0x3c
	s_wait_kmcnt 0x0
	s_mul_hi_u32 s2, s7, ttmp9
	s_delay_alu instid0(SALU_CYCLE_1) | instskip(NEXT) | instid1(SALU_CYCLE_1)
	s_add_co_i32 s2, ttmp9, s2
	s_lshr_b32 s2, s2, s8
	s_delay_alu instid0(SALU_CYCLE_1) | instskip(SKIP_2) | instid1(SALU_CYCLE_1)
	s_mul_i32 s3, s2, s9
	s_load_b64 s[8:9], s[0:1], 0x10
	s_sub_co_i32 s7, ttmp9, s3
	s_mul_hi_u32 s3, s7, s10
	s_delay_alu instid0(SALU_CYCLE_1) | instskip(NEXT) | instid1(SALU_CYCLE_1)
	s_add_co_i32 s3, s7, s3
	s_lshr_b32 s3, s3, s11
	s_delay_alu instid0(SALU_CYCLE_1) | instskip(NEXT) | instid1(SALU_CYCLE_1)
	s_mul_i32 s10, s3, s12
	s_sub_co_i32 s7, s7, s10
	s_delay_alu instid0(SALU_CYCLE_1) | instskip(NEXT) | instid1(SALU_CYCLE_1)
	s_mul_hi_u32 s10, s7, s13
	s_add_co_i32 s10, s7, s10
	s_delay_alu instid0(SALU_CYCLE_1) | instskip(NEXT) | instid1(SALU_CYCLE_1)
	s_lshr_b32 s12, s10, s14
	s_mul_i32 s10, s12, s15
	s_lshl_b32 s12, s12, 1
	s_sub_co_i32 s11, s7, s10
	s_and_b32 s7, ttmp7, 0xffff
	s_lshl_b32 s13, s11, 2
	s_lshr_b32 s10, ttmp7, 16
	s_add_co_i32 s13, s13, s7
	s_wait_kmcnt 0x0
	s_cmp_lt_i32 s13, s8
	s_cselect_b32 s13, -1, 0
	s_add_co_i32 s14, s12, s10
	s_delay_alu instid0(SALU_CYCLE_1) | instskip(SKIP_1) | instid1(SALU_CYCLE_1)
	s_cmp_lt_i32 s14, s5
	s_cselect_b32 s14, -1, 0
	s_and_b32 s13, s13, s14
	s_delay_alu instid0(SALU_CYCLE_1)
	s_and_not1_b32 vcc_lo, exec_lo, s13
	s_cbranch_vccnz .LBB44_6
; %bb.1:
	s_mul_i32 s2, s2, s8
	s_mul_i32 s5, s3, s5
	s_add_co_i32 s2, s2, s7
	s_delay_alu instid0(SALU_CYCLE_1) | instskip(NEXT) | instid1(SALU_CYCLE_1)
	s_mul_i32 s2, s2, s9
	s_add_co_i32 s8, s2, s10
	s_load_b128 s[0:3], s[0:1], 0x0
	s_add_co_i32 s5, s8, s5
	s_mul_i32 s8, s9, s11
	s_add_co_i32 s5, s5, s12
	s_lshl_b32 s8, s8, 9
	s_lshl_b32 s5, s5, 7
	s_delay_alu instid0(SALU_CYCLE_1)
	s_add_co_i32 s8, s8, s5
	s_lshl_b32 s5, s7, 1
	v_or_b32_e32 v1, s8, v0
	s_mul_i32 s8, s6, ttmp9
	s_wait_alu 0xfffe
	s_add_co_i32 s9, s8, s6
	s_wait_alu 0xfffe
	s_add_co_i32 s12, s9, -2
	v_ashrrev_i32_e32 v2, 31, v1
	s_delay_alu instid0(VALU_DEP_1) | instskip(SKIP_1) | instid1(VALU_DEP_1)
	v_lshlrev_b64_e32 v[1:2], 2, v[1:2]
	s_wait_kmcnt 0x0
	v_add_co_u32 v1, vcc_lo, s0, v1
	s_delay_alu instid0(VALU_DEP_1)
	v_add_co_ci_u32_e64 v2, null, s1, v2, vcc_lo
	s_add_co_i32 s0, s5, s10
	s_lshl_b32 s1, s9, 3
	global_load_b32 v5, v[1:2], off
	s_wait_alu 0xfffe
	s_add_co_i32 s0, s0, s1
	s_wait_alu 0xfffe
	s_add_co_i32 s0, s0, -8
	s_wait_alu 0xfffe
	s_ashr_i32 s1, s0, 31
	s_wait_alu 0xfffe
	s_lshl_b64 s[0:1], s[0:1], 3
	s_cmp_lt_i32 s12, s8
	s_wait_alu 0xfffe
	s_add_nc_u64 s[0:1], s[2:3], s[0:1]
	s_load_b32 s11, s[0:1], 0x4
	s_cbranch_scc1 .LBB44_4
; %bb.2:
	s_load_b32 s0, s[0:1], 0x0
	s_add_co_i32 s13, ttmp9, 1
	s_lshl_b32 s12, s4, 5
	s_mul_i32 s1, s6, s13
	s_lshl_b32 s6, s7, 8
	s_lshl_b32 s7, s10, 7
	s_wait_alu 0xfffe
	s_lshl_b32 s14, s1, 10
	s_add_co_i32 s6, s7, s6
	s_lshl_b32 s1, s1, 3
	s_add_co_i32 s14, s6, s14
	s_wait_alu 0xfffe
	s_add_co_i32 s1, s10, s1
	v_or_b32_e32 v0, s14, v0
	s_lshl_b32 s4, s4, 3
	s_ashr_i32 s13, s12, 31
	s_wait_alu 0xfffe
	s_add_co_i32 s1, s1, s4
	s_wait_kmcnt 0x0
	v_dual_mov_b32 v6, s11 :: v_dual_add_nc_u32 v3, 0xfffff800, v0
	s_lshl_b64 s[6:7], s[12:13], 2
	s_wait_alu 0xfffe
	s_add_co_i32 s4, s1, s5
	s_add_nc_u64 s[6:7], s[2:3], s[6:7]
	s_add_co_i32 s1, s9, -1
	s_add_co_i32 s4, s4, -16
.LBB44_3:                               ; =>This Inner Loop Header: Depth=1
	v_ashrrev_i32_e32 v4, 31, v3
	s_ashr_i32 s5, s4, 31
	v_mov_b32_e32 v10, v6
	s_lshl_b64 s[10:11], s[4:5], 3
	s_wait_loadcnt 0x0
	v_mov_b32_e32 v9, v5
	v_lshlrev_b64_e32 v[7:8], 2, v[3:4]
	s_wait_alu 0xfffe
	s_add_nc_u64 s[10:11], s[2:3], s[10:11]
	v_max_num_f32_e64 v4, s0, s0
	s_load_b64 s[10:11], s[10:11], 0x0
	v_add_nc_u32_e32 v3, 0xfffffc00, v3
	v_add_co_u32 v7, vcc_lo, s6, v7
	s_wait_alu 0xfffd
	v_add_co_ci_u32_e64 v8, null, s7, v8, vcc_lo
	v_readfirstlane_b32 s5, v4
	global_load_b32 v0, v[7:8], off
	s_wait_kmcnt 0x0
	v_max_num_f32_e64 v4, s10, s10
	s_delay_alu instid0(VALU_DEP_1) | instskip(SKIP_1) | instid1(SALU_CYCLE_3)
	v_readfirstlane_b32 s9, v4
	s_max_num_f32 s5, s5, s9
	s_sub_f32 s0, s0, s5
	s_sub_f32 s9, s10, s5
	s_wait_alu 0xfffe
	s_delay_alu instid0(SALU_CYCLE_1) | instskip(NEXT) | instid1(SALU_CYCLE_1)
	s_mul_f32 s10, s0, 0x3fb8aa3b
	s_mul_f32 s12, s9, 0x3fb8aa3b
	s_wait_alu 0xfffe
	s_delay_alu instid0(SALU_CYCLE_1)
	s_xor_b32 s13, s10, 0x80000000
	s_rndne_f32 s14, s10
	s_fmamk_f32 s13, s0, 0x3fb8aa3b, s13
	s_cmp_nlt_f32 s0, 0xc2ce8ed0
	s_rndne_f32 s15, s12
	s_wait_alu 0xfffe
	s_sub_f32 s10, s10, s14
	s_fmamk_f32 s13, s0, 0x32a5705f, s13
	s_cvt_i32_f32 s14, s14
	s_cselect_b32 vcc_lo, -1, 0
	s_cmp_ngt_f32 s0, 0x42b17218
	s_wait_alu 0xfffe
	s_add_f32 s10, s10, s13
	s_sub_f32 s13, s12, s15
	s_wait_alu 0xfffe
	s_delay_alu instid0(SALU_CYCLE_1) | instskip(SKIP_1) | instid1(TRANS32_DEP_1)
	v_s_exp_f32 s10, s10
	s_wait_alu 0xf1ff
	v_ldexp_f32 v4, s10, s14
	s_cvt_i32_f32 s10, s15
	s_delay_alu instid0(VALU_DEP_1) | instskip(SKIP_3) | instid1(VALU_DEP_1)
	v_cndmask_b32_e32 v4, 0, v4, vcc_lo
	s_cselect_b32 vcc_lo, -1, 0
	s_cmp_ge_f32 s0, 0xc1a00000
	s_wait_alu 0xfffe
	v_cndmask_b32_e32 v4, 0x7f800000, v4, vcc_lo
	s_cselect_b32 vcc_lo, -1, 0
	s_xor_b32 s0, s12, 0x80000000
	s_cmp_nlt_f32 s9, 0xc2ce8ed0
	s_wait_alu 0xfffe
	s_fmamk_f32 s0, s9, 0x3fb8aa3b, s0
	s_wait_alu 0xfffe
	s_delay_alu instid0(SALU_CYCLE_2) | instskip(SKIP_1) | instid1(SALU_CYCLE_2)
	s_fmamk_f32 s0, s9, 0x32a5705f, s0
	s_wait_alu 0xfffe
	s_add_f32 s0, s13, s0
	s_wait_alu 0xfffe
	s_delay_alu instid0(SALU_CYCLE_2) | instskip(SKIP_1) | instid1(TRANS32_DEP_1)
	v_s_exp_f32 s0, s0
	s_wait_alu 0xf1ff
	v_ldexp_f32 v7, s0, s10
	s_cselect_b32 s0, -1, 0
	s_cmp_ngt_f32 s9, 0x42b17218
	s_wait_alu 0xfffe
	s_delay_alu instid0(VALU_DEP_1) | instskip(SKIP_3) | instid1(VALU_DEP_1)
	v_cndmask_b32_e64 v7, 0, v7, s0
	s_cselect_b32 s0, -1, 0
	s_cmp_ge_f32 s9, 0xc1a00000
	s_wait_alu 0xfffe
	v_cndmask_b32_e64 v7, 0x7f800000, v7, s0
	s_cselect_b32 s0, -1, 0
	s_add_co_i32 s1, s1, -1
	s_add_co_i32 s4, s4, -8
	s_wait_alu 0xfffe
	s_cmp_le_i32 s1, s8
	v_cndmask_b32_e64 v7, 0, v7, s0
	s_mov_b32 s0, s5
	s_wait_loadcnt 0x0
	s_delay_alu instid0(VALU_DEP_1) | instskip(NEXT) | instid1(VALU_DEP_1)
	v_dual_mul_f32 v5, v0, v7 :: v_dual_cndmask_b32 v4, 0, v4
	v_dual_mul_f32 v8, s11, v7 :: v_dual_fmac_f32 v5, v9, v4
	s_delay_alu instid0(VALU_DEP_1) | instskip(NEXT) | instid1(VALU_DEP_1)
	v_mov_b32_e32 v6, v8
	v_fmac_f32_e32 v6, v10, v4
	s_cbranch_scc0 .LBB44_3
	s_branch .LBB44_5
.LBB44_4:
	s_wait_kmcnt 0x0
	v_mov_b32_e32 v6, s11
.LBB44_5:
	s_wait_loadcnt 0x0
	s_delay_alu instid0(VALU_DEP_1) | instskip(NEXT) | instid1(VALU_DEP_1)
	v_div_scale_f32 v0, null, v6, v6, v5
	v_rcp_f32_e32 v3, v0
	s_delay_alu instid0(TRANS32_DEP_1) | instskip(NEXT) | instid1(VALU_DEP_1)
	v_fma_f32 v4, -v0, v3, 1.0
	v_fmac_f32_e32 v3, v4, v3
	v_div_scale_f32 v4, vcc_lo, v5, v6, v5
	s_delay_alu instid0(VALU_DEP_1) | instskip(NEXT) | instid1(VALU_DEP_1)
	v_mul_f32_e32 v7, v4, v3
	v_fma_f32 v8, -v0, v7, v4
	s_delay_alu instid0(VALU_DEP_1) | instskip(NEXT) | instid1(VALU_DEP_1)
	v_fmac_f32_e32 v7, v8, v3
	v_fma_f32 v0, -v0, v7, v4
	s_wait_alu 0xfffd
	s_delay_alu instid0(VALU_DEP_1) | instskip(NEXT) | instid1(VALU_DEP_1)
	v_div_fmas_f32 v0, v0, v3, v7
	v_div_fixup_f32 v0, v0, v6, v5
	global_store_b32 v[1:2], v0, off
.LBB44_6:
	s_endpgm
	.section	.rodata,"a",@progbits
	.p2align	6, 0x0
	.amdhsa_kernel _ZL33flash_attn_stream_k_fixup_uniformILi128ELi4ELi2EEvPfPK15HIP_vector_typeIfLj2EEiiiiiiS1_IjLj3EES5_S5_
		.amdhsa_group_segment_fixed_size 0
		.amdhsa_private_segment_fixed_size 0
		.amdhsa_kernarg_size 76
		.amdhsa_user_sgpr_count 2
		.amdhsa_user_sgpr_dispatch_ptr 0
		.amdhsa_user_sgpr_queue_ptr 0
		.amdhsa_user_sgpr_kernarg_segment_ptr 1
		.amdhsa_user_sgpr_dispatch_id 0
		.amdhsa_user_sgpr_private_segment_size 0
		.amdhsa_wavefront_size32 1
		.amdhsa_uses_dynamic_stack 0
		.amdhsa_enable_private_segment 0
		.amdhsa_system_sgpr_workgroup_id_x 1
		.amdhsa_system_sgpr_workgroup_id_y 1
		.amdhsa_system_sgpr_workgroup_id_z 1
		.amdhsa_system_sgpr_workgroup_info 0
		.amdhsa_system_vgpr_workitem_id 0
		.amdhsa_next_free_vgpr 11
		.amdhsa_next_free_sgpr 16
		.amdhsa_reserve_vcc 1
		.amdhsa_float_round_mode_32 0
		.amdhsa_float_round_mode_16_64 0
		.amdhsa_float_denorm_mode_32 3
		.amdhsa_float_denorm_mode_16_64 3
		.amdhsa_fp16_overflow 0
		.amdhsa_workgroup_processor_mode 1
		.amdhsa_memory_ordered 1
		.amdhsa_forward_progress 1
		.amdhsa_inst_pref_size 9
		.amdhsa_round_robin_scheduling 0
		.amdhsa_exception_fp_ieee_invalid_op 0
		.amdhsa_exception_fp_denorm_src 0
		.amdhsa_exception_fp_ieee_div_zero 0
		.amdhsa_exception_fp_ieee_overflow 0
		.amdhsa_exception_fp_ieee_underflow 0
		.amdhsa_exception_fp_ieee_inexact 0
		.amdhsa_exception_int_div_zero 0
	.end_amdhsa_kernel
	.section	.text._ZL33flash_attn_stream_k_fixup_uniformILi128ELi4ELi2EEvPfPK15HIP_vector_typeIfLj2EEiiiiiiS1_IjLj3EES5_S5_,"axG",@progbits,_ZL33flash_attn_stream_k_fixup_uniformILi128ELi4ELi2EEvPfPK15HIP_vector_typeIfLj2EEiiiiiiS1_IjLj3EES5_S5_,comdat
.Lfunc_end44:
	.size	_ZL33flash_attn_stream_k_fixup_uniformILi128ELi4ELi2EEvPfPK15HIP_vector_typeIfLj2EEiiiiiiS1_IjLj3EES5_S5_, .Lfunc_end44-_ZL33flash_attn_stream_k_fixup_uniformILi128ELi4ELi2EEvPfPK15HIP_vector_typeIfLj2EEiiiiiiS1_IjLj3EES5_S5_
                                        ; -- End function
	.set _ZL33flash_attn_stream_k_fixup_uniformILi128ELi4ELi2EEvPfPK15HIP_vector_typeIfLj2EEiiiiiiS1_IjLj3EES5_S5_.num_vgpr, 11
	.set _ZL33flash_attn_stream_k_fixup_uniformILi128ELi4ELi2EEvPfPK15HIP_vector_typeIfLj2EEiiiiiiS1_IjLj3EES5_S5_.num_agpr, 0
	.set _ZL33flash_attn_stream_k_fixup_uniformILi128ELi4ELi2EEvPfPK15HIP_vector_typeIfLj2EEiiiiiiS1_IjLj3EES5_S5_.numbered_sgpr, 16
	.set _ZL33flash_attn_stream_k_fixup_uniformILi128ELi4ELi2EEvPfPK15HIP_vector_typeIfLj2EEiiiiiiS1_IjLj3EES5_S5_.num_named_barrier, 0
	.set _ZL33flash_attn_stream_k_fixup_uniformILi128ELi4ELi2EEvPfPK15HIP_vector_typeIfLj2EEiiiiiiS1_IjLj3EES5_S5_.private_seg_size, 0
	.set _ZL33flash_attn_stream_k_fixup_uniformILi128ELi4ELi2EEvPfPK15HIP_vector_typeIfLj2EEiiiiiiS1_IjLj3EES5_S5_.uses_vcc, 1
	.set _ZL33flash_attn_stream_k_fixup_uniformILi128ELi4ELi2EEvPfPK15HIP_vector_typeIfLj2EEiiiiiiS1_IjLj3EES5_S5_.uses_flat_scratch, 0
	.set _ZL33flash_attn_stream_k_fixup_uniformILi128ELi4ELi2EEvPfPK15HIP_vector_typeIfLj2EEiiiiiiS1_IjLj3EES5_S5_.has_dyn_sized_stack, 0
	.set _ZL33flash_attn_stream_k_fixup_uniformILi128ELi4ELi2EEvPfPK15HIP_vector_typeIfLj2EEiiiiiiS1_IjLj3EES5_S5_.has_recursion, 0
	.set _ZL33flash_attn_stream_k_fixup_uniformILi128ELi4ELi2EEvPfPK15HIP_vector_typeIfLj2EEiiiiiiS1_IjLj3EES5_S5_.has_indirect_call, 0
	.section	.AMDGPU.csdata,"",@progbits
; Kernel info:
; codeLenInByte = 1140
; TotalNumSgprs: 18
; NumVgprs: 11
; ScratchSize: 0
; MemoryBound: 0
; FloatMode: 240
; IeeeMode: 1
; LDSByteSize: 0 bytes/workgroup (compile time only)
; SGPRBlocks: 0
; VGPRBlocks: 1
; NumSGPRsForWavesPerEU: 18
; NumVGPRsForWavesPerEU: 11
; Occupancy: 16
; WaveLimiterHint : 0
; COMPUTE_PGM_RSRC2:SCRATCH_EN: 0
; COMPUTE_PGM_RSRC2:USER_SGPR: 2
; COMPUTE_PGM_RSRC2:TRAP_HANDLER: 0
; COMPUTE_PGM_RSRC2:TGID_X_EN: 1
; COMPUTE_PGM_RSRC2:TGID_Y_EN: 1
; COMPUTE_PGM_RSRC2:TGID_Z_EN: 1
; COMPUTE_PGM_RSRC2:TIDIG_COMP_CNT: 0
	.section	.text._ZL33flash_attn_stream_k_fixup_generalILi128ELi4ELi2EEvPfPK15HIP_vector_typeIfLj2EEiiiiS1_IjLj3EES5_S5_S5_,"axG",@progbits,_ZL33flash_attn_stream_k_fixup_generalILi128ELi4ELi2EEvPfPK15HIP_vector_typeIfLj2EEiiiiS1_IjLj3EES5_S5_S5_,comdat
	.globl	_ZL33flash_attn_stream_k_fixup_generalILi128ELi4ELi2EEvPfPK15HIP_vector_typeIfLj2EEiiiiS1_IjLj3EES5_S5_S5_ ; -- Begin function _ZL33flash_attn_stream_k_fixup_generalILi128ELi4ELi2EEvPfPK15HIP_vector_typeIfLj2EEiiiiS1_IjLj3EES5_S5_S5_
	.p2align	8
	.type	_ZL33flash_attn_stream_k_fixup_generalILi128ELi4ELi2EEvPfPK15HIP_vector_typeIfLj2EEiiiiS1_IjLj3EES5_S5_S5_,@function
_ZL33flash_attn_stream_k_fixup_generalILi128ELi4ELi2EEvPfPK15HIP_vector_typeIfLj2EEiiiiS1_IjLj3EES5_S5_S5_: ; @_ZL33flash_attn_stream_k_fixup_generalILi128ELi4ELi2EEvPfPK15HIP_vector_typeIfLj2EEiiiiS1_IjLj3EES5_S5_S5_
; %bb.0:
	s_clause 0x1
	s_load_b128 s[4:7], s[0:1], 0x10
	s_load_b32 s16, s[0:1], 0x50
	s_mov_b32 s2, ttmp9
	s_ashr_i32 s3, ttmp9, 31
	s_mov_b32 s17, 0
	s_delay_alu instid0(SALU_CYCLE_1) | instskip(SKIP_3) | instid1(SALU_CYCLE_1)
	s_mov_b32 s8, s17
	s_wait_kmcnt 0x0
	s_ashr_i32 s19, s7, 31
	s_mov_b32 s18, s7
	s_mul_u64 s[2:3], s[18:19], s[2:3]
	s_delay_alu instid0(SALU_CYCLE_1) | instskip(NEXT) | instid1(SALU_CYCLE_1)
	s_mov_b32 s9, s3
	s_cmp_lg_u64 s[8:9], 0
	s_cbranch_scc0 .LBB45_21
; %bb.1:
	s_add_nc_u64 s[8:9], s[16:17], 0
	s_mov_b32 s15, s17
	s_xor_b64 s[8:9], s[8:9], 0
	s_mov_b32 s23, s17
	s_cvt_f32_u32 s7, s8
	s_cvt_f32_u32 s10, s9
	s_sub_nc_u64 s[12:13], 0, s[8:9]
	s_delay_alu instid0(SALU_CYCLE_2) | instskip(NEXT) | instid1(SALU_CYCLE_3)
	s_fmamk_f32 s7, s10, 0x4f800000, s7
	v_s_rcp_f32 s7, s7
	s_delay_alu instid0(TRANS32_DEP_1) | instskip(SKIP_1) | instid1(SALU_CYCLE_2)
	s_mul_f32 s7, s7, 0x5f7ffffc
	s_wait_alu 0xfffe
	s_mul_f32 s10, s7, 0x2f800000
	s_delay_alu instid0(SALU_CYCLE_3) | instskip(NEXT) | instid1(SALU_CYCLE_3)
	s_trunc_f32 s10, s10
	s_fmamk_f32 s7, s10, 0xcf800000, s7
	s_cvt_u32_f32 s11, s10
	s_wait_alu 0xfffe
	s_delay_alu instid0(SALU_CYCLE_1) | instskip(NEXT) | instid1(SALU_CYCLE_3)
	s_cvt_u32_f32 s10, s7
	s_mul_u64 s[20:21], s[12:13], s[10:11]
	s_delay_alu instid0(SALU_CYCLE_1)
	s_mul_hi_u32 s25, s10, s21
	s_mul_i32 s24, s10, s21
	s_mul_hi_u32 s14, s10, s20
	s_mul_i32 s22, s11, s20
	s_add_nc_u64 s[14:15], s[14:15], s[24:25]
	s_mul_hi_u32 s7, s11, s20
	s_mul_hi_u32 s26, s11, s21
	s_add_co_u32 s14, s14, s22
	s_wait_alu 0xfffe
	s_add_co_ci_u32 s22, s15, s7
	s_mul_i32 s20, s11, s21
	s_add_co_ci_u32 s21, s26, 0
	s_delay_alu instid0(SALU_CYCLE_1)
	s_add_nc_u64 s[14:15], s[22:23], s[20:21]
	s_mov_b32 s21, s17
	s_add_co_u32 s10, s10, s14
	s_cselect_b32 s7, -1, 0
	s_wait_alu 0xfffe
	s_cmp_lg_u32 s7, 0
	s_add_co_ci_u32 s11, s11, s15
	s_mov_b32 s15, s17
	s_mul_u64 s[12:13], s[12:13], s[10:11]
	s_delay_alu instid0(SALU_CYCLE_1)
	s_mul_hi_u32 s23, s10, s13
	s_mul_i32 s22, s10, s13
	s_mul_hi_u32 s14, s10, s12
	s_mul_i32 s20, s11, s12
	s_add_nc_u64 s[14:15], s[14:15], s[22:23]
	s_mul_hi_u32 s7, s11, s12
	s_mul_hi_u32 s24, s11, s13
	s_mul_i32 s12, s11, s13
	s_add_co_u32 s13, s14, s20
	s_wait_alu 0xfffe
	s_add_co_ci_u32 s20, s15, s7
	s_add_co_ci_u32 s13, s24, 0
	s_mov_b32 s15, s17
	s_add_nc_u64 s[12:13], s[20:21], s[12:13]
	s_delay_alu instid0(SALU_CYCLE_1) | instskip(SKIP_1) | instid1(SALU_CYCLE_1)
	s_add_co_u32 s7, s10, s12
	s_cselect_b32 s10, -1, 0
	s_cmp_lg_u32 s10, 0
	s_add_co_ci_u32 s20, s11, s13
	s_ashr_i32 s10, s3, 31
	s_delay_alu instid0(SALU_CYCLE_1) | instskip(NEXT) | instid1(SALU_CYCLE_1)
	s_mov_b32 s11, s10
	s_add_nc_u64 s[12:13], s[2:3], s[10:11]
	s_delay_alu instid0(SALU_CYCLE_1) | instskip(NEXT) | instid1(SALU_CYCLE_1)
	s_xor_b64 s[12:13], s[12:13], s[10:11]
	s_mul_hi_u32 s23, s12, s20
	s_mul_i32 s22, s12, s20
	s_wait_alu 0xfffe
	s_mul_hi_u32 s14, s12, s7
	s_mul_hi_u32 s24, s13, s7
	s_mul_i32 s7, s13, s7
	s_add_nc_u64 s[14:15], s[14:15], s[22:23]
	s_mul_hi_u32 s3, s13, s20
	s_wait_alu 0xfffe
	s_add_co_u32 s7, s14, s7
	s_mul_i32 s22, s13, s20
	s_add_co_ci_u32 s20, s15, s24
	s_add_co_ci_u32 s23, s3, 0
	s_delay_alu instid0(SALU_CYCLE_1) | instskip(NEXT) | instid1(SALU_CYCLE_1)
	s_add_nc_u64 s[14:15], s[20:21], s[22:23]
	s_mul_u64 s[20:21], s[8:9], s[14:15]
	s_delay_alu instid0(SALU_CYCLE_1)
	s_sub_co_u32 s3, s12, s20
	s_cselect_b32 s7, -1, 0
	s_sub_co_i32 s12, s13, s21
	s_wait_alu 0xfffe
	s_cmp_lg_u32 s7, 0
	s_sub_co_ci_u32 s12, s12, s9
	s_sub_co_u32 s20, s3, s8
	s_cselect_b32 s22, -1, 0
	s_delay_alu instid0(SALU_CYCLE_1) | instskip(SKIP_2) | instid1(SALU_CYCLE_1)
	s_cmp_lg_u32 s22, 0
	s_add_nc_u64 s[22:23], s[14:15], 1
	s_sub_co_ci_u32 s12, s12, 0
	s_cmp_ge_u32 s12, s9
	s_cselect_b32 s24, -1, 0
	s_cmp_ge_u32 s20, s8
	s_cselect_b32 s20, -1, 0
	s_cmp_eq_u32 s12, s9
	s_cselect_b32 s12, s20, s24
	s_add_nc_u64 s[24:25], s[14:15], 2
	s_cmp_lg_u32 s12, 0
	s_cselect_b32 s12, s24, s22
	s_cselect_b32 s20, s25, s23
	s_cmp_lg_u32 s7, 0
	s_sub_co_ci_u32 s7, s13, s21
	s_wait_alu 0xfffe
	s_cmp_ge_u32 s7, s9
	s_cselect_b32 s13, -1, 0
	s_cmp_ge_u32 s3, s8
	s_cselect_b32 s3, -1, 0
	s_cmp_eq_u32 s7, s9
	s_cselect_b32 s3, s3, s13
	s_delay_alu instid0(SALU_CYCLE_1) | instskip(SKIP_4) | instid1(SALU_CYCLE_1)
	s_cmp_lg_u32 s3, 0
	s_mov_b32 s3, s17
	s_cselect_b32 s9, s20, s15
	s_cselect_b32 s8, s12, s14
	s_xor_b64 s[10:11], s[10:11], 0
	s_xor_b64 s[8:9], s[8:9], s[10:11]
	s_delay_alu instid0(SALU_CYCLE_1)
	s_sub_nc_u64 s[20:21], s[8:9], s[10:11]
	s_and_not1_b32 vcc_lo, exec_lo, s3
	s_cbranch_vccnz .LBB45_3
.LBB45_2:
	v_cvt_f32_u32_e32 v1, s16
	s_sub_co_i32 s7, 0, s16
	s_delay_alu instid0(VALU_DEP_1) | instskip(NEXT) | instid1(TRANS32_DEP_1)
	v_rcp_iflag_f32_e32 v1, v1
	v_mul_f32_e32 v1, 0x4f7ffffe, v1
	s_delay_alu instid0(VALU_DEP_1) | instskip(NEXT) | instid1(VALU_DEP_1)
	v_cvt_u32_f32_e32 v1, v1
	v_readfirstlane_b32 s3, v1
	s_wait_alu 0xfffe
	s_mul_i32 s7, s7, s3
	s_wait_alu 0xfffe
	s_mul_hi_u32 s7, s3, s7
	s_wait_alu 0xfffe
	s_add_co_i32 s3, s3, s7
	s_delay_alu instid0(SALU_CYCLE_1) | instskip(NEXT) | instid1(SALU_CYCLE_1)
	s_mul_hi_u32 s3, s2, s3
	s_mul_i32 s7, s3, s16
	s_wait_alu 0xfffe
	s_sub_co_i32 s2, s2, s7
	s_add_co_i32 s7, s3, 1
	s_sub_co_i32 s8, s2, s16
	s_cmp_ge_u32 s2, s16
	s_wait_alu 0xfffe
	s_cselect_b32 s3, s7, s3
	s_cselect_b32 s2, s8, s2
	s_add_co_i32 s7, s3, 1
	s_cmp_ge_u32 s2, s16
	s_wait_alu 0xfffe
	s_cselect_b32 s20, s7, s3
.LBB45_3:
	s_add_co_i32 s2, ttmp9, 1
	s_mov_b32 s8, 0
	s_ashr_i32 s3, s2, 31
	s_delay_alu instid0(SALU_CYCLE_1) | instskip(NEXT) | instid1(SALU_CYCLE_1)
	s_mul_u64 s[2:3], s[18:19], s[2:3]
	s_mov_b32 s9, s3
	s_delay_alu instid0(SALU_CYCLE_1)
	s_cmp_lg_u64 s[8:9], 0
	s_cbranch_scc0 .LBB45_22
; %bb.4:
	s_add_nc_u64 s[10:11], s[16:17], 0
	s_mov_b32 s23, s8
	s_xor_b64 s[10:11], s[10:11], 0
	s_mov_b32 s27, s8
	s_cvt_f32_u32 s7, s10
	s_cvt_f32_u32 s9, s11
	s_sub_nc_u64 s[14:15], 0, s[10:11]
	s_wait_alu 0xfffe
	s_delay_alu instid0(SALU_CYCLE_1) | instskip(SKIP_1) | instid1(SALU_CYCLE_2)
	s_fmamk_f32 s7, s9, 0x4f800000, s7
	s_wait_alu 0xfffe
	v_s_rcp_f32 s7, s7
	s_delay_alu instid0(TRANS32_DEP_1) | instskip(SKIP_1) | instid1(SALU_CYCLE_2)
	s_mul_f32 s7, s7, 0x5f7ffffc
	s_wait_alu 0xfffe
	s_mul_f32 s9, s7, 0x2f800000
	s_delay_alu instid0(SALU_CYCLE_3) | instskip(NEXT) | instid1(SALU_CYCLE_3)
	s_trunc_f32 s9, s9
	s_fmamk_f32 s7, s9, 0xcf800000, s7
	s_cvt_u32_f32 s13, s9
	s_wait_alu 0xfffe
	s_delay_alu instid0(SALU_CYCLE_1) | instskip(NEXT) | instid1(SALU_CYCLE_3)
	s_cvt_u32_f32 s12, s7
	s_mul_u64 s[24:25], s[14:15], s[12:13]
	s_delay_alu instid0(SALU_CYCLE_1)
	s_mul_hi_u32 s29, s12, s25
	s_mul_i32 s28, s12, s25
	s_mul_hi_u32 s22, s12, s24
	s_mul_i32 s9, s13, s24
	s_add_nc_u64 s[22:23], s[22:23], s[28:29]
	s_mul_hi_u32 s7, s13, s24
	s_mul_hi_u32 s21, s13, s25
	s_add_co_u32 s9, s22, s9
	s_wait_alu 0xfffe
	s_add_co_ci_u32 s26, s23, s7
	s_mul_i32 s24, s13, s25
	s_add_co_ci_u32 s25, s21, 0
	s_delay_alu instid0(SALU_CYCLE_1)
	s_add_nc_u64 s[22:23], s[26:27], s[24:25]
	s_mov_b32 s25, s8
	s_add_co_u32 s12, s12, s22
	s_cselect_b32 s7, -1, 0
	s_wait_alu 0xfffe
	s_cmp_lg_u32 s7, 0
	s_add_co_ci_u32 s13, s13, s23
	s_mov_b32 s23, s8
	s_mul_u64 s[14:15], s[14:15], s[12:13]
	s_delay_alu instid0(SALU_CYCLE_1)
	s_mul_hi_u32 s27, s12, s15
	s_mul_i32 s26, s12, s15
	s_mul_hi_u32 s22, s12, s14
	s_mul_i32 s9, s13, s14
	s_add_nc_u64 s[22:23], s[22:23], s[26:27]
	s_mul_hi_u32 s7, s13, s14
	s_mul_hi_u32 s21, s13, s15
	s_add_co_u32 s9, s22, s9
	s_wait_alu 0xfffe
	s_add_co_ci_u32 s24, s23, s7
	s_mul_i32 s14, s13, s15
	s_add_co_ci_u32 s15, s21, 0
	s_mov_b32 s23, s8
	s_add_nc_u64 s[14:15], s[24:25], s[14:15]
	s_delay_alu instid0(SALU_CYCLE_1) | instskip(SKIP_1) | instid1(SALU_CYCLE_1)
	s_add_co_u32 s7, s12, s14
	s_cselect_b32 s9, -1, 0
	s_cmp_lg_u32 s9, 0
	s_add_co_ci_u32 s9, s13, s15
	s_ashr_i32 s12, s3, 31
	s_delay_alu instid0(SALU_CYCLE_1) | instskip(NEXT) | instid1(SALU_CYCLE_1)
	s_mov_b32 s13, s12
	s_add_nc_u64 s[14:15], s[2:3], s[12:13]
	s_delay_alu instid0(SALU_CYCLE_1) | instskip(NEXT) | instid1(SALU_CYCLE_1)
	s_xor_b64 s[14:15], s[14:15], s[12:13]
	s_mul_hi_u32 s27, s14, s9
	s_mul_i32 s26, s14, s9
	s_wait_alu 0xfffe
	s_mul_hi_u32 s22, s14, s7
	s_mul_hi_u32 s21, s15, s7
	s_mul_i32 s7, s15, s7
	s_add_nc_u64 s[22:23], s[22:23], s[26:27]
	s_mul_hi_u32 s3, s15, s9
	s_wait_alu 0xfffe
	s_add_co_u32 s7, s22, s7
	s_add_co_ci_u32 s24, s23, s21
	s_mul_i32 s26, s15, s9
	s_add_co_ci_u32 s27, s3, 0
	s_delay_alu instid0(SALU_CYCLE_1) | instskip(NEXT) | instid1(SALU_CYCLE_1)
	s_add_nc_u64 s[22:23], s[24:25], s[26:27]
	s_mul_u64 s[24:25], s[10:11], s[22:23]
	s_add_nc_u64 s[26:27], s[22:23], 1
	s_sub_co_u32 s3, s14, s24
	s_cselect_b32 s7, -1, 0
	s_sub_co_i32 s9, s15, s25
	s_wait_alu 0xfffe
	s_cmp_lg_u32 s7, 0
	s_add_nc_u64 s[28:29], s[22:23], 2
	s_sub_co_ci_u32 s9, s9, s11
	s_sub_co_u32 s14, s3, s10
	s_cselect_b32 s21, -1, 0
	s_delay_alu instid0(SALU_CYCLE_1) | instskip(SKIP_1) | instid1(SALU_CYCLE_1)
	s_cmp_lg_u32 s21, 0
	s_sub_co_ci_u32 s9, s9, 0
	s_cmp_ge_u32 s9, s11
	s_cselect_b32 s21, -1, 0
	s_cmp_ge_u32 s14, s10
	s_cselect_b32 s14, -1, 0
	s_cmp_eq_u32 s9, s11
	s_cselect_b32 s9, s14, s21
	s_delay_alu instid0(SALU_CYCLE_1)
	s_cmp_lg_u32 s9, 0
	s_cselect_b32 s9, s28, s26
	s_cselect_b32 s14, s29, s27
	s_cmp_lg_u32 s7, 0
	s_sub_co_ci_u32 s7, s15, s25
	s_wait_alu 0xfffe
	s_cmp_ge_u32 s7, s11
	s_cselect_b32 s15, -1, 0
	s_cmp_ge_u32 s3, s10
	s_cselect_b32 s3, -1, 0
	s_cmp_eq_u32 s7, s11
	s_cselect_b32 s3, s3, s15
	s_delay_alu instid0(SALU_CYCLE_1) | instskip(SKIP_3) | instid1(SALU_CYCLE_1)
	s_cmp_lg_u32 s3, 0
	s_cselect_b32 s11, s14, s23
	s_cselect_b32 s10, s9, s22
	s_xor_b64 s[12:13], s[12:13], 0
	s_xor_b64 s[10:11], s[10:11], s[12:13]
	s_delay_alu instid0(SALU_CYCLE_1)
	s_sub_nc_u64 s[10:11], s[10:11], s[12:13]
	s_load_b96 s[12:14], s[0:1], 0x44
	s_and_not1_b32 vcc_lo, exec_lo, s8
	s_cbranch_vccnz .LBB45_6
.LBB45_5:
	v_cvt_f32_u32_e32 v1, s16
	s_sub_co_i32 s7, 0, s16
	s_delay_alu instid0(VALU_DEP_1) | instskip(NEXT) | instid1(TRANS32_DEP_1)
	v_rcp_iflag_f32_e32 v1, v1
	v_mul_f32_e32 v1, 0x4f7ffffe, v1
	s_delay_alu instid0(VALU_DEP_1) | instskip(NEXT) | instid1(VALU_DEP_1)
	v_cvt_u32_f32_e32 v1, v1
	v_readfirstlane_b32 s3, v1
	s_wait_alu 0xfffe
	s_mul_i32 s7, s7, s3
	s_wait_alu 0xfffe
	s_mul_hi_u32 s7, s3, s7
	s_wait_alu 0xfffe
	s_add_co_i32 s3, s3, s7
	s_delay_alu instid0(SALU_CYCLE_1) | instskip(NEXT) | instid1(SALU_CYCLE_1)
	s_mul_hi_u32 s3, s2, s3
	s_mul_i32 s7, s3, s16
	s_wait_alu 0xfffe
	s_sub_co_i32 s2, s2, s7
	s_add_co_i32 s7, s3, 1
	s_sub_co_i32 s8, s2, s16
	s_cmp_ge_u32 s2, s16
	s_wait_alu 0xfffe
	s_cselect_b32 s3, s7, s3
	s_cselect_b32 s2, s8, s2
	s_add_co_i32 s7, s3, 1
	s_cmp_ge_u32 s2, s16
	s_wait_alu 0xfffe
	s_cselect_b32 s10, s7, s3
.LBB45_6:
	s_mov_b32 s21, 0
	s_wait_kmcnt 0x0
	s_mov_b32 s22, s12
	s_mov_b32 s23, s21
	s_cmp_eq_u32 s20, s10
	s_mul_u64 s[2:3], s[20:21], s[22:23]
	s_cselect_b32 s7, -1, 0
	s_add_co_i32 s2, s3, s20
	s_mov_b32 s11, s21
	s_lshr_b32 s12, s2, s13
	s_mul_u64 s[2:3], s[10:11], s[22:23]
	s_mul_i32 s2, s12, s14
	s_delay_alu instid0(SALU_CYCLE_1) | instskip(SKIP_2) | instid1(SALU_CYCLE_1)
	s_cmp_eq_u32 s2, s20
	s_cselect_b32 s2, -1, 0
	s_add_co_i32 s3, s3, s10
	s_lshr_b32 s3, s3, s13
	s_delay_alu instid0(SALU_CYCLE_1)
	s_cmp_eq_u32 s12, s3
	s_mul_i32 s3, s3, s14
	s_cselect_b32 s8, -1, 0
	s_cmp_lg_u32 s3, s10
	s_cselect_b32 s3, -1, 0
	s_wait_alu 0xfffe
	s_or_b32 s2, s7, s2
	s_and_b32 s3, s8, s3
	s_delay_alu instid0(SALU_CYCLE_1) | instskip(NEXT) | instid1(SALU_CYCLE_1)
	s_or_b32 s2, s2, s3
	s_and_b32 vcc_lo, exec_lo, s2
	s_cbranch_vccnz .LBB45_24
; %bb.7:
	s_load_b256 s[24:31], s[0:1], 0x20
	s_mov_b32 s3, s21
	s_wait_kmcnt 0x0
	s_mov_b32 s2, s24
	s_delay_alu instid0(SALU_CYCLE_1) | instskip(NEXT) | instid1(SALU_CYCLE_1)
	s_mul_u64 s[2:3], s[20:21], s[2:3]
	s_add_co_i32 s2, s3, s20
	s_delay_alu instid0(SALU_CYCLE_1) | instskip(SKIP_2) | instid1(SALU_CYCLE_1)
	s_lshr_b32 s7, s2, s25
	s_load_b32 s2, s[0:1], 0x40
	s_mul_i32 s3, s7, s26
	s_sub_co_i32 s3, s20, s3
	s_delay_alu instid0(SALU_CYCLE_1) | instskip(NEXT) | instid1(SALU_CYCLE_1)
	s_mul_hi_u32 s8, s3, s27
	s_add_co_i32 s8, s3, s8
	s_delay_alu instid0(SALU_CYCLE_1) | instskip(NEXT) | instid1(SALU_CYCLE_1)
	s_lshr_b32 s8, s8, s28
	s_mul_i32 s9, s8, s29
	s_delay_alu instid0(SALU_CYCLE_1) | instskip(NEXT) | instid1(SALU_CYCLE_1)
	s_sub_co_i32 s9, s3, s9
	s_mul_hi_u32 s3, s9, s30
	s_delay_alu instid0(SALU_CYCLE_1) | instskip(NEXT) | instid1(SALU_CYCLE_1)
	s_add_co_i32 s3, s9, s3
	s_lshr_b32 s24, s3, s31
	s_mov_b32 s3, s21
	s_wait_kmcnt 0x0
	s_mul_i32 s2, s24, s2
	s_lshl_b32 s21, s24, 1
	s_sub_co_i32 s2, s9, s2
	s_delay_alu instid0(SALU_CYCLE_1) | instskip(SKIP_2) | instid1(SALU_CYCLE_1)
	s_mul_u64 s[10:11], s[2:3], s[22:23]
	s_lshr_b32 s3, ttmp7, 16
	s_add_co_i32 s2, s2, s11
	s_lshr_b32 s15, s2, s13
	s_and_b32 s2, ttmp7, 0xffff
	s_lshl_b32 s9, s15, 2
	s_delay_alu instid0(SALU_CYCLE_1) | instskip(NEXT) | instid1(SALU_CYCLE_1)
	s_add_co_i32 s9, s9, s2
	s_cmp_lt_i32 s9, s4
	s_cselect_b32 s9, -1, 0
	s_add_co_i32 s10, s21, s3
	s_delay_alu instid0(SALU_CYCLE_1) | instskip(SKIP_1) | instid1(SALU_CYCLE_1)
	s_cmp_lt_i32 s10, s6
	s_cselect_b32 s10, -1, 0
	s_and_b32 s9, s9, s10
	s_delay_alu instid0(SALU_CYCLE_1)
	s_and_not1_b32 vcc_lo, exec_lo, s9
	s_cbranch_vccnz .LBB45_24
; %bb.8:
	s_mul_i32 s4, s7, s4
	s_mul_i32 s6, s8, s6
	s_add_co_i32 s4, s4, s2
	s_load_b128 s[8:11], s[0:1], 0x0
	s_mul_i32 s4, s4, s5
	s_mul_i32 s1, s5, s15
	s_add_co_i32 s4, s4, s3
	s_lshl_b32 s1, s1, 9
	s_add_co_i32 s0, s4, s6
	s_lshl_b32 s15, s2, 1
	s_add_co_i32 s0, s0, s21
	s_add_co_i32 s15, s15, s3
	s_lshl_b32 s0, s0, 7
	v_cvt_f32_u32_e32 v4, s16
	s_add_co_i32 s1, s1, s0
	s_add_co_i32 s34, ttmp9, -1
	v_or_b32_e32 v1, s1, v0
	s_add_nc_u64 s[0:1], s[16:17], 0
	v_rcp_iflag_f32_e32 v4, v4
	s_wait_alu 0xfffe
	s_xor_b64 s[6:7], s[0:1], 0
	s_lshl_b32 s0, ttmp9, 3
	v_ashrrev_i32_e32 v2, 31, v1
	s_wait_alu 0xfffe
	s_cvt_f32_u32 s1, s6
	s_cvt_f32_u32 s2, s7
	s_add_co_i32 s0, s15, s0
	v_lshl_or_b32 v0, s15, 7, v0
	v_lshlrev_b64_e32 v[1:2], 2, v[1:2]
	s_wait_alu 0xfffe
	s_fmamk_f32 s2, s2, 0x4f800000, s1
	s_ashr_i32 s1, s0, 31
	s_sub_nc_u64 s[30:31], 0, s[6:7]
	s_wait_alu 0xfffe
	s_lshl_b64 s[0:1], s[0:1], 3
	v_s_rcp_f32 s2, s2
	s_wait_kmcnt 0x0
	v_add_co_u32 v1, vcc_lo, s8, v1
	s_delay_alu instid0(VALU_DEP_1)
	v_add_co_ci_u32_e64 v2, null, s9, v2, vcc_lo
	s_wait_alu 0xfffe
	s_add_nc_u64 s[0:1], s[10:11], s[0:1]
	s_mov_b32 s8, 0
	s_load_b64 s[26:27], s[0:1], 0x0
	global_load_b32 v3, v[1:2], off
	s_mul_f32 s2, s2, 0x5f7ffffc
	v_mul_f32_e32 v4, 0x4f7ffffe, v4
	s_lshl_b32 s0, s16, 5
	s_wait_alu 0xfffe
	s_mul_f32 s1, s2, 0x2f800000
	s_wait_alu 0xfffe
	s_delay_alu instid0(SALU_CYCLE_2)
	s_trunc_f32 s3, s1
	s_mov_b32 s1, s8
	s_wait_alu 0xfffe
	s_lshl_b64 s[0:1], s[0:1], 2
	s_fmamk_f32 s2, s3, 0xcf800000, s2
	s_cvt_u32_f32 s29, s3
	s_wait_alu 0xfffe
	s_add_nc_u64 s[24:25], s[10:11], s[0:1]
	s_cvt_u32_f32 s28, s2
	s_wait_kmcnt 0x0
	v_mov_b32_e32 v5, s27
	v_cvt_u32_f32_e32 v4, v4
.LBB45_9:                               ; =>This Inner Loop Header: Depth=1
	s_wait_alu 0xfffe
	s_ashr_i32 s35, s34, 31
	s_mov_b32 s2, -1
	s_wait_alu 0xfffe
	s_mul_u64 s[0:1], s[34:35], s[18:19]
                                        ; implicit-def: $sgpr38_sgpr39
	s_wait_alu 0xfffe
	s_mov_b32 s9, s1
	s_wait_alu 0xfffe
	s_cmp_lg_u64 s[8:9], 0
	s_cbranch_scc0 .LBB45_11
; %bb.10:                               ;   in Loop: Header=BB45_9 Depth=1
	s_mul_u64 s[2:3], s[30:31], s[28:29]
	s_mov_b32 s37, s8
	s_wait_alu 0xfffe
	s_mul_hi_u32 s5, s28, s3
	s_mul_i32 s4, s28, s3
	s_mul_hi_u32 s36, s28, s2
	s_mul_hi_u32 s9, s29, s2
	s_wait_alu 0xfffe
	s_add_nc_u64 s[4:5], s[36:37], s[4:5]
	s_mul_i32 s2, s29, s2
	s_mul_hi_u32 s17, s29, s3
	s_wait_alu 0xfffe
	s_add_co_u32 s2, s4, s2
	s_add_co_ci_u32 s2, s5, s9
	s_add_co_ci_u32 s5, s17, 0
	s_mul_i32 s4, s29, s3
	s_mov_b32 s3, s8
	s_mov_b32 s39, s8
	s_wait_alu 0xfffe
	s_add_nc_u64 s[2:3], s[2:3], s[4:5]
	s_wait_alu 0xfffe
	s_add_co_u32 s2, s28, s2
	s_cselect_b32 s4, -1, 0
	s_wait_alu 0xfffe
	s_cmp_lg_u32 s4, 0
	s_add_co_ci_u32 s3, s29, s3
	s_wait_alu 0xfffe
	s_mul_u64 s[4:5], s[30:31], s[2:3]
	s_wait_alu 0xfffe
	s_mul_hi_u32 s37, s2, s5
	s_mul_i32 s36, s2, s5
	s_mul_hi_u32 s38, s2, s4
	s_mul_hi_u32 s9, s3, s4
	s_mul_i32 s4, s3, s4
	s_wait_alu 0xfffe
	s_add_nc_u64 s[36:37], s[38:39], s[36:37]
	s_mul_hi_u32 s17, s3, s5
	s_wait_alu 0xfffe
	s_add_co_u32 s4, s36, s4
	s_add_co_ci_u32 s4, s37, s9
	s_add_co_ci_u32 s37, s17, 0
	s_mul_i32 s36, s3, s5
	s_mov_b32 s5, s8
	s_wait_alu 0xfffe
	s_add_nc_u64 s[4:5], s[4:5], s[36:37]
	s_mov_b32 s37, s8
	s_wait_alu 0xfffe
	s_add_co_u32 s9, s2, s4
	s_cselect_b32 s2, -1, 0
	s_wait_alu 0xfffe
	s_cmp_lg_u32 s2, 0
	s_add_co_ci_u32 s17, s3, s5
	s_ashr_i32 s2, s1, 31
	s_wait_alu 0xfffe
	s_mov_b32 s3, s2
	s_wait_alu 0xfffe
	s_add_nc_u64 s[4:5], s[0:1], s[2:3]
	s_wait_alu 0xfffe
	s_xor_b64 s[4:5], s[4:5], s[2:3]
	s_wait_alu 0xfffe
	s_mul_hi_u32 s39, s4, s17
	s_mul_i32 s38, s4, s17
	s_mul_hi_u32 s36, s4, s9
	s_mul_i32 s21, s5, s9
	s_wait_alu 0xfffe
	s_add_nc_u64 s[36:37], s[36:37], s[38:39]
	s_mul_hi_u32 s9, s5, s9
	s_mul_hi_u32 s1, s5, s17
	s_wait_alu 0xfffe
	s_add_co_u32 s21, s36, s21
	s_add_co_ci_u32 s36, s37, s9
	s_add_co_ci_u32 s39, s1, 0
	s_mul_i32 s38, s5, s17
	s_mov_b32 s37, s8
	s_wait_alu 0xfffe
	s_add_nc_u64 s[36:37], s[36:37], s[38:39]
	s_wait_alu 0xfffe
	s_mul_u64 s[38:39], s[6:7], s[36:37]
	s_add_nc_u64 s[40:41], s[36:37], 1
	s_sub_co_u32 s1, s4, s38
	s_cselect_b32 s4, -1, 0
	s_sub_co_i32 s9, s5, s39
	s_wait_alu 0xfffe
	s_cmp_lg_u32 s4, 0
	s_add_nc_u64 s[42:43], s[36:37], 2
	s_sub_co_ci_u32 s9, s9, s7
	s_sub_co_u32 s17, s1, s6
	s_cselect_b32 s21, -1, 0
	s_delay_alu instid0(SALU_CYCLE_1)
	s_cmp_lg_u32 s21, 0
	s_wait_alu 0xfffe
	s_sub_co_ci_u32 s9, s9, 0
	s_wait_alu 0xfffe
	s_cmp_ge_u32 s9, s7
	s_cselect_b32 s21, -1, 0
	s_cmp_ge_u32 s17, s6
	s_cselect_b32 s17, -1, 0
	s_cmp_eq_u32 s9, s7
	s_wait_alu 0xfffe
	s_cselect_b32 s9, s17, s21
	s_wait_alu 0xfffe
	s_cmp_lg_u32 s9, 0
	s_cselect_b32 s9, s42, s40
	s_cselect_b32 s17, s43, s41
	s_cmp_lg_u32 s4, 0
	s_sub_co_ci_u32 s4, s5, s39
	s_wait_alu 0xfffe
	s_cmp_ge_u32 s4, s7
	s_cselect_b32 s5, -1, 0
	s_cmp_ge_u32 s1, s6
	s_cselect_b32 s1, -1, 0
	s_cmp_eq_u32 s4, s7
	s_wait_alu 0xfffe
	s_cselect_b32 s1, s1, s5
	s_wait_alu 0xfffe
	s_cmp_lg_u32 s1, 0
	s_cselect_b32 s5, s17, s37
	s_cselect_b32 s4, s9, s36
	s_xor_b64 s[2:3], s[2:3], 0
	s_wait_alu 0xfffe
	s_xor_b64 s[4:5], s[4:5], s[2:3]
	s_wait_alu 0xfffe
	s_sub_nc_u64 s[38:39], s[4:5], s[2:3]
	s_mov_b32 s2, 0
.LBB45_11:                              ;   in Loop: Header=BB45_9 Depth=1
	s_wait_alu 0xfffe
	s_and_not1_b32 vcc_lo, exec_lo, s2
	s_wait_alu 0xfffe
	s_cbranch_vccnz .LBB45_13
; %bb.12:                               ;   in Loop: Header=BB45_9 Depth=1
	v_readfirstlane_b32 s1, v4
	s_sub_co_i32 s2, 0, s16
	s_wait_alu 0xfffe
	s_mul_i32 s2, s2, s1
	s_wait_alu 0xfffe
	s_mul_hi_u32 s2, s1, s2
	s_wait_alu 0xfffe
	s_add_co_i32 s1, s1, s2
	s_wait_alu 0xfffe
	s_mul_hi_u32 s1, s0, s1
	s_wait_alu 0xfffe
	s_mul_i32 s2, s1, s16
	s_wait_alu 0xfffe
	s_sub_co_i32 s0, s0, s2
	s_add_co_i32 s2, s1, 1
	s_wait_alu 0xfffe
	s_sub_co_i32 s3, s0, s16
	s_cmp_ge_u32 s0, s16
	s_cselect_b32 s1, s2, s1
	s_wait_alu 0xfffe
	s_cselect_b32 s0, s3, s0
	s_add_co_i32 s2, s1, 1
	s_wait_alu 0xfffe
	s_cmp_ge_u32 s0, s16
	s_cselect_b32 s38, s2, s1
.LBB45_13:                              ;   in Loop: Header=BB45_9 Depth=1
	v_readfirstlane_b32 s9, v0
	s_cmp_lg_u32 s20, s38
	s_mov_b32 s0, -1
                                        ; implicit-def: $sgpr21
                                        ; implicit-def: $vgpr6
                                        ; implicit-def: $vgpr7
                                        ; implicit-def: $sgpr17
                                        ; implicit-def: $sgpr27
	s_cbranch_scc1 .LBB45_16
; %bb.14:                               ;   in Loop: Header=BB45_9 Depth=1
	s_wait_alu 0xfffe
	s_and_not1_b32 vcc_lo, exec_lo, s0
	s_wait_alu 0xfffe
	s_cbranch_vccz .LBB45_19
.LBB45_15:                              ;   in Loop: Header=BB45_9 Depth=1
	s_and_not1_b32 vcc_lo, exec_lo, s21
	s_wait_alu 0xfffe
	s_cbranch_vccnz .LBB45_20
	s_branch .LBB45_23
.LBB45_16:                              ;   in Loop: Header=BB45_9 Depth=1
	s_add_co_i32 s0, s34, s16
	s_mov_b32 s1, s8
	s_wait_alu 0xfffe
	s_lshl_b32 s0, s0, 3
	v_max_num_f32_e64 v6, s26, s26
	s_wait_alu 0xfffe
	s_add_co_i32 s0, s0, s15
	s_mov_b32 s39, s8
	s_wait_alu 0xfffe
	s_lshl_b64 s[0:1], s[0:1], 3
	s_mul_u64 s[40:41], s[38:39], s[22:23]
	s_wait_alu 0xfffe
	s_add_nc_u64 s[0:1], s[10:11], s[0:1]
	s_mov_b32 s27, s20
	s_load_b64 s[36:37], s[0:1], 0x0
	v_readfirstlane_b32 s0, v6
	s_wait_kmcnt 0x0
	v_max_num_f32_e64 v7, s36, s36
	s_delay_alu instid0(VALU_DEP_1) | instskip(SKIP_2) | instid1(SALU_CYCLE_2)
	v_readfirstlane_b32 s1, v7
	s_max_num_f32 s9, s0, s1
	s_wait_alu 0xfffe
	s_sub_f32 s33, s26, s9
	s_sub_f32 s35, s36, s9
	s_wait_alu 0xfffe
	s_delay_alu instid0(SALU_CYCLE_1)
	s_cmp_nlt_f32 s33, 0xc2ce8ed0
	s_cselect_b32 s0, -1, 0
	s_cmp_ngt_f32 s33, 0x42b17218
	s_cselect_b32 s1, -1, 0
	s_cmp_ge_f32 s33, 0xc1a00000
	s_cselect_b32 s2, -1, 0
	s_cmp_nlt_f32 s35, 0xc2ce8ed0
	s_cselect_b32 s3, -1, 0
	s_cmp_ngt_f32 s35, 0x42b17218
	s_cselect_b32 s4, -1, 0
	s_cmp_ge_f32 s35, 0xc1a00000
	s_cselect_b32 s5, -1, 0
	s_add_co_i32 s17, s41, s38
	s_wait_alu 0xfffe
	s_lshr_b32 s17, s17, s13
	s_wait_alu 0xfffe
	s_mul_i32 s21, s17, s14
	s_delay_alu instid0(SALU_CYCLE_1)
	s_cmp_eq_u32 s21, s38
	s_cselect_b32 s21, -1, 0
	s_cmp_lt_u32 s17, s12
	s_cselect_b32 s17, -1, 0
	s_wait_alu 0xfffe
	s_or_b32 s17, s17, s21
	s_mov_b32 s21, -1
	s_wait_alu 0xfffe
	s_and_b32 vcc_lo, exec_lo, s17
	s_mov_b32 s17, s34
	s_wait_alu 0xfffe
	s_cbranch_vccnz .LBB45_18
; %bb.17:                               ;   in Loop: Header=BB45_9 Depth=1
	s_add_co_i32 s17, s34, -1
	s_mov_b32 s21, 0
	s_mov_b32 s27, s38
.LBB45_18:                              ;   in Loop: Header=BB45_9 Depth=1
	v_lshl_add_u32 v6, s34, 10, v0
	s_mul_f32 s36, s35, 0x3fb8aa3b
	s_mul_f32 s38, s33, 0x3fb8aa3b
	s_wait_alu 0xfffe
	s_delay_alu instid0(SALU_CYCLE_1)
	s_xor_b32 s39, s36, 0x80000000
	v_ashrrev_i32_e32 v7, 31, v6
	s_rndne_f32 s40, s36
	s_fmamk_f32 s39, s35, 0x3fb8aa3b, s39
	s_xor_b32 s41, s38, 0x80000000
	s_rndne_f32 s42, s38
	v_lshlrev_b64_e32 v[6:7], 2, v[6:7]
	s_sub_f32 s36, s36, s40
	s_fmamk_f32 s35, s35, 0x32a5705f, s39
	s_fmamk_f32 s39, s33, 0x3fb8aa3b, s41
	s_sub_f32 s38, s38, s42
	s_delay_alu instid0(VALU_DEP_1)
	v_add_co_u32 v6, vcc_lo, s24, v6
	s_wait_alu 0xfffd
	v_add_co_ci_u32_e64 v7, null, s25, v7, vcc_lo
	s_wait_alu 0xfffe
	s_add_f32 s35, s36, s35
	s_fmamk_f32 s33, s33, 0x32a5705f, s39
	s_cvt_i32_f32 s36, s40
	global_load_b32 v6, v[6:7], off
	s_wait_alu 0xfffe
	v_s_exp_f32 s35, s35
	s_add_f32 s33, s38, s33
	s_wait_alu 0xfffe
	s_delay_alu instid0(SALU_CYCLE_2) | instskip(NEXT) | instid1(TRANS32_DEP_2)
	v_s_exp_f32 s33, s33
	v_ldexp_f32 v7, s35, s36
	s_cvt_i32_f32 s35, s42
	s_wait_alu 0xf1fe
	s_delay_alu instid0(TRANS32_DEP_1) | instid1(SALU_CYCLE_2)
	v_ldexp_f32 v8, s33, s35
	s_delay_alu instid0(VALU_DEP_2) | instskip(NEXT) | instid1(VALU_DEP_2)
	v_cndmask_b32_e64 v7, 0, v7, s3
	v_cndmask_b32_e64 v8, 0, v8, s0
	s_delay_alu instid0(VALU_DEP_2) | instskip(NEXT) | instid1(VALU_DEP_2)
	v_cndmask_b32_e64 v7, 0x7f800000, v7, s4
	v_cndmask_b32_e64 v8, 0x7f800000, v8, s1
	;; [unrolled: 3-line block ×3, first 2 shown]
	s_wait_loadcnt 0x0
	s_delay_alu instid0(VALU_DEP_2) | instskip(SKIP_1) | instid1(VALU_DEP_1)
	v_mul_f32_e32 v6, v6, v7
	v_mul_f32_e32 v7, s37, v7
	v_fmac_f32_e32 v7, v5, v8
	s_delay_alu instid0(VALU_DEP_3)
	v_fmac_f32_e32 v6, v3, v8
	s_cbranch_execnz .LBB45_15
.LBB45_19:                              ;   in Loop: Header=BB45_9 Depth=1
	s_wait_loadcnt 0x0
	v_dual_mov_b32 v7, v5 :: v_dual_mov_b32 v6, v3
	s_add_co_i32 s17, s34, -1
	s_mov_b32 s27, s20
	s_mov_b32 s9, s26
	s_cbranch_execz .LBB45_23
.LBB45_20:                              ;   in Loop: Header=BB45_9 Depth=1
	v_mov_b32_e32 v5, v7
	s_wait_loadcnt 0x0
	v_mov_b32_e32 v3, v6
	s_wait_alu 0xfffe
	s_mov_b32 s20, s27
	s_mov_b32 s34, s17
	;; [unrolled: 1-line block ×3, first 2 shown]
	s_branch .LBB45_9
.LBB45_21:
                                        ; implicit-def: $sgpr20_sgpr21
	s_branch .LBB45_2
.LBB45_22:
                                        ; implicit-def: $sgpr10_sgpr11
	s_load_b96 s[12:14], s[0:1], 0x44
	s_branch .LBB45_5
.LBB45_23:
	v_div_scale_f32 v0, null, v7, v7, v6
	s_wait_loadcnt 0x0
	s_delay_alu instid0(VALU_DEP_1) | instskip(NEXT) | instid1(TRANS32_DEP_1)
	v_rcp_f32_e32 v3, v0
	v_fma_f32 v4, -v0, v3, 1.0
	s_delay_alu instid0(VALU_DEP_1) | instskip(SKIP_1) | instid1(VALU_DEP_1)
	v_fmac_f32_e32 v3, v4, v3
	v_div_scale_f32 v4, vcc_lo, v6, v7, v6
	v_mul_f32_e32 v5, v4, v3
	s_delay_alu instid0(VALU_DEP_1) | instskip(NEXT) | instid1(VALU_DEP_1)
	v_fma_f32 v8, -v0, v5, v4
	v_fmac_f32_e32 v5, v8, v3
	s_delay_alu instid0(VALU_DEP_1) | instskip(SKIP_1) | instid1(VALU_DEP_1)
	v_fma_f32 v0, -v0, v5, v4
	s_wait_alu 0xfffd
	v_div_fmas_f32 v0, v0, v3, v5
	s_delay_alu instid0(VALU_DEP_1)
	v_div_fixup_f32 v0, v0, v7, v6
	global_store_b32 v[1:2], v0, off
.LBB45_24:
	s_endpgm
	.section	.rodata,"a",@progbits
	.p2align	6, 0x0
	.amdhsa_kernel _ZL33flash_attn_stream_k_fixup_generalILi128ELi4ELi2EEvPfPK15HIP_vector_typeIfLj2EEiiiiS1_IjLj3EES5_S5_S5_
		.amdhsa_group_segment_fixed_size 0
		.amdhsa_private_segment_fixed_size 0
		.amdhsa_kernarg_size 336
		.amdhsa_user_sgpr_count 2
		.amdhsa_user_sgpr_dispatch_ptr 0
		.amdhsa_user_sgpr_queue_ptr 0
		.amdhsa_user_sgpr_kernarg_segment_ptr 1
		.amdhsa_user_sgpr_dispatch_id 0
		.amdhsa_user_sgpr_private_segment_size 0
		.amdhsa_wavefront_size32 1
		.amdhsa_uses_dynamic_stack 0
		.amdhsa_enable_private_segment 0
		.amdhsa_system_sgpr_workgroup_id_x 1
		.amdhsa_system_sgpr_workgroup_id_y 1
		.amdhsa_system_sgpr_workgroup_id_z 1
		.amdhsa_system_sgpr_workgroup_info 0
		.amdhsa_system_vgpr_workitem_id 0
		.amdhsa_next_free_vgpr 9
		.amdhsa_next_free_sgpr 44
		.amdhsa_reserve_vcc 1
		.amdhsa_float_round_mode_32 0
		.amdhsa_float_round_mode_16_64 0
		.amdhsa_float_denorm_mode_32 3
		.amdhsa_float_denorm_mode_16_64 3
		.amdhsa_fp16_overflow 0
		.amdhsa_workgroup_processor_mode 1
		.amdhsa_memory_ordered 1
		.amdhsa_forward_progress 1
		.amdhsa_inst_pref_size 28
		.amdhsa_round_robin_scheduling 0
		.amdhsa_exception_fp_ieee_invalid_op 0
		.amdhsa_exception_fp_denorm_src 0
		.amdhsa_exception_fp_ieee_div_zero 0
		.amdhsa_exception_fp_ieee_overflow 0
		.amdhsa_exception_fp_ieee_underflow 0
		.amdhsa_exception_fp_ieee_inexact 0
		.amdhsa_exception_int_div_zero 0
	.end_amdhsa_kernel
	.section	.text._ZL33flash_attn_stream_k_fixup_generalILi128ELi4ELi2EEvPfPK15HIP_vector_typeIfLj2EEiiiiS1_IjLj3EES5_S5_S5_,"axG",@progbits,_ZL33flash_attn_stream_k_fixup_generalILi128ELi4ELi2EEvPfPK15HIP_vector_typeIfLj2EEiiiiS1_IjLj3EES5_S5_S5_,comdat
.Lfunc_end45:
	.size	_ZL33flash_attn_stream_k_fixup_generalILi128ELi4ELi2EEvPfPK15HIP_vector_typeIfLj2EEiiiiS1_IjLj3EES5_S5_S5_, .Lfunc_end45-_ZL33flash_attn_stream_k_fixup_generalILi128ELi4ELi2EEvPfPK15HIP_vector_typeIfLj2EEiiiiS1_IjLj3EES5_S5_S5_
                                        ; -- End function
	.set _ZL33flash_attn_stream_k_fixup_generalILi128ELi4ELi2EEvPfPK15HIP_vector_typeIfLj2EEiiiiS1_IjLj3EES5_S5_S5_.num_vgpr, 9
	.set _ZL33flash_attn_stream_k_fixup_generalILi128ELi4ELi2EEvPfPK15HIP_vector_typeIfLj2EEiiiiS1_IjLj3EES5_S5_S5_.num_agpr, 0
	.set _ZL33flash_attn_stream_k_fixup_generalILi128ELi4ELi2EEvPfPK15HIP_vector_typeIfLj2EEiiiiS1_IjLj3EES5_S5_S5_.numbered_sgpr, 44
	.set _ZL33flash_attn_stream_k_fixup_generalILi128ELi4ELi2EEvPfPK15HIP_vector_typeIfLj2EEiiiiS1_IjLj3EES5_S5_S5_.num_named_barrier, 0
	.set _ZL33flash_attn_stream_k_fixup_generalILi128ELi4ELi2EEvPfPK15HIP_vector_typeIfLj2EEiiiiS1_IjLj3EES5_S5_S5_.private_seg_size, 0
	.set _ZL33flash_attn_stream_k_fixup_generalILi128ELi4ELi2EEvPfPK15HIP_vector_typeIfLj2EEiiiiS1_IjLj3EES5_S5_S5_.uses_vcc, 1
	.set _ZL33flash_attn_stream_k_fixup_generalILi128ELi4ELi2EEvPfPK15HIP_vector_typeIfLj2EEiiiiS1_IjLj3EES5_S5_S5_.uses_flat_scratch, 0
	.set _ZL33flash_attn_stream_k_fixup_generalILi128ELi4ELi2EEvPfPK15HIP_vector_typeIfLj2EEiiiiS1_IjLj3EES5_S5_S5_.has_dyn_sized_stack, 0
	.set _ZL33flash_attn_stream_k_fixup_generalILi128ELi4ELi2EEvPfPK15HIP_vector_typeIfLj2EEiiiiS1_IjLj3EES5_S5_S5_.has_recursion, 0
	.set _ZL33flash_attn_stream_k_fixup_generalILi128ELi4ELi2EEvPfPK15HIP_vector_typeIfLj2EEiiiiS1_IjLj3EES5_S5_S5_.has_indirect_call, 0
	.section	.AMDGPU.csdata,"",@progbits
; Kernel info:
; codeLenInByte = 3548
; TotalNumSgprs: 46
; NumVgprs: 9
; ScratchSize: 0
; MemoryBound: 0
; FloatMode: 240
; IeeeMode: 1
; LDSByteSize: 0 bytes/workgroup (compile time only)
; SGPRBlocks: 0
; VGPRBlocks: 1
; NumSGPRsForWavesPerEU: 46
; NumVGPRsForWavesPerEU: 9
; Occupancy: 16
; WaveLimiterHint : 0
; COMPUTE_PGM_RSRC2:SCRATCH_EN: 0
; COMPUTE_PGM_RSRC2:USER_SGPR: 2
; COMPUTE_PGM_RSRC2:TRAP_HANDLER: 0
; COMPUTE_PGM_RSRC2:TGID_X_EN: 1
; COMPUTE_PGM_RSRC2:TGID_Y_EN: 1
; COMPUTE_PGM_RSRC2:TGID_Z_EN: 1
; COMPUTE_PGM_RSRC2:TIDIG_COMP_CNT: 0
	.section	.text._ZL15flash_attn_tileILi128ELi128ELi2ELi2ELb0EEvPKcS1_S1_S1_S1_PKiPfP15HIP_vector_typeIfLj2EEffffjfiS5_IjLj3EEiiiiiiiiiiiliiliiiiil,"axG",@progbits,_ZL15flash_attn_tileILi128ELi128ELi2ELi2ELb0EEvPKcS1_S1_S1_S1_PKiPfP15HIP_vector_typeIfLj2EEffffjfiS5_IjLj3EEiiiiiiiiiiiliiliiiiil,comdat
	.globl	_ZL15flash_attn_tileILi128ELi128ELi2ELi2ELb0EEvPKcS1_S1_S1_S1_PKiPfP15HIP_vector_typeIfLj2EEffffjfiS5_IjLj3EEiiiiiiiiiiiliiliiiiil ; -- Begin function _ZL15flash_attn_tileILi128ELi128ELi2ELi2ELb0EEvPKcS1_S1_S1_S1_PKiPfP15HIP_vector_typeIfLj2EEffffjfiS5_IjLj3EEiiiiiiiiiiiliiliiiiil
	.p2align	8
	.type	_ZL15flash_attn_tileILi128ELi128ELi2ELi2ELb0EEvPKcS1_S1_S1_S1_PKiPfP15HIP_vector_typeIfLj2EEffffjfiS5_IjLj3EEiiiiiiiiiiiliiliiiiil,@function
_ZL15flash_attn_tileILi128ELi128ELi2ELi2ELb0EEvPKcS1_S1_S1_S1_PKiPfP15HIP_vector_typeIfLj2EEffffjfiS5_IjLj3EEiiiiiiiiiiiliiliiiiil: ; @_ZL15flash_attn_tileILi128ELi128ELi2ELi2ELb0EEvPKcS1_S1_S1_S1_PKiPfP15HIP_vector_typeIfLj2EEffffjfiS5_IjLj3EEiiiiiiiiiiiliiliiiiil
; %bb.0:
	s_clause 0x1
	s_load_b128 s[20:23], s[0:1], 0x5c
	s_load_b64 s[30:31], s[0:1], 0x80
	s_lshr_b32 s5, ttmp7, 16
	s_load_b64 s[36:37], s[0:1], 0xb8
	s_mov_b64 s[34:35], 0
	s_wait_kmcnt 0x0
	s_lshr_b32 s2, s23, 31
	s_delay_alu instid0(SALU_CYCLE_1) | instskip(NEXT) | instid1(SALU_CYCLE_1)
	s_add_co_i32 s2, s23, s2
	s_ashr_i32 s2, s2, 1
	s_delay_alu instid0(SALU_CYCLE_1) | instskip(SKIP_1) | instid1(SALU_CYCLE_2)
	s_cvt_f32_u32 s3, s2
	s_sub_co_i32 s4, 0, s2
	v_rcp_iflag_f32_e32 v1, s3
	s_delay_alu instid0(TRANS32_DEP_1) | instskip(SKIP_2) | instid1(SALU_CYCLE_2)
	v_readfirstlane_b32 s3, v1
	s_mul_f32 s3, s3, 0x4f7ffffe
	s_wait_alu 0xfffe
	s_cvt_u32_f32 s3, s3
	s_wait_alu 0xfffe
	s_delay_alu instid0(SALU_CYCLE_2) | instskip(NEXT) | instid1(SALU_CYCLE_1)
	s_mul_i32 s4, s4, s3
	s_mul_hi_u32 s4, s3, s4
	s_delay_alu instid0(SALU_CYCLE_1)
	s_add_co_i32 s3, s3, s4
	s_wait_alu 0xfffe
	s_mul_hi_u32 s3, s5, s3
	s_wait_alu 0xfffe
	s_mul_i32 s4, s3, s2
	s_add_co_i32 s6, s3, 1
	s_sub_co_i32 s4, s5, s4
	s_delay_alu instid0(SALU_CYCLE_1)
	s_sub_co_i32 s7, s4, s2
	s_cmp_ge_u32 s4, s2
	s_cselect_b32 s3, s6, s3
	s_cselect_b32 s4, s7, s4
	s_wait_alu 0xfffe
	s_add_co_i32 s6, s3, 1
	s_cmp_ge_u32 s4, s2
	s_cselect_b32 s28, s6, s3
	s_abs_i32 s2, s31
	s_abs_i32 s7, s23
	s_wait_alu 0xfffe
	s_cvt_f32_u32 s3, s2
	s_sub_co_i32 s4, 0, s2
	s_lshl_b32 s5, s5, 1
	s_mul_i32 s6, s28, s23
	s_wait_alu 0xfffe
	v_rcp_iflag_f32_e32 v1, s3
	s_sub_co_i32 s33, s5, s6
	s_delay_alu instid0(TRANS32_DEP_1) | instskip(SKIP_2) | instid1(SALU_CYCLE_2)
	v_readfirstlane_b32 s3, v1
	s_mul_f32 s3, s3, 0x4f7ffffe
	s_wait_alu 0xfffe
	s_cvt_u32_f32 s3, s3
	s_wait_alu 0xfffe
	s_delay_alu instid0(SALU_CYCLE_2) | instskip(NEXT) | instid1(SALU_CYCLE_1)
	s_mul_i32 s4, s4, s3
	s_mul_hi_u32 s4, s3, s4
	s_delay_alu instid0(SALU_CYCLE_1)
	s_add_co_i32 s3, s3, s4
	s_xor_b32 s4, s23, s31
	s_wait_alu 0xfffe
	s_mul_hi_u32 s3, s7, s3
	s_ashr_i32 s24, s4, 31
	s_wait_alu 0xfffe
	s_mul_i32 s5, s3, s2
	s_delay_alu instid0(SALU_CYCLE_1)
	s_sub_co_i32 s4, s7, s5
	s_add_co_i32 s5, s3, 1
	s_sub_co_i32 s6, s4, s2
	s_cmp_ge_u32 s4, s2
	s_cselect_b32 s3, s5, s3
	s_cselect_b32 s4, s6, s4
	s_wait_alu 0xfffe
	s_add_co_i32 s5, s3, 1
	s_cmp_ge_u32 s4, s2
	s_cselect_b32 s2, s5, s3
	s_load_b512 s[4:19], s[0:1], 0x0
	s_xor_b32 s2, s2, s24
	s_mov_b32 s3, 0
	s_wait_alu 0xfffe
	s_sub_co_i32 s38, s2, s24
	s_delay_alu instid0(SALU_CYCLE_1) | instskip(NEXT) | instid1(SALU_CYCLE_1)
	s_abs_i32 s31, s38
	s_cvt_f32_u32 s2, s31
	s_wait_alu 0xfffe
	s_delay_alu instid0(SALU_CYCLE_2) | instskip(SKIP_2) | instid1(TRANS32_DEP_1)
	v_rcp_iflag_f32_e32 v1, s2
	s_wait_kmcnt 0x0
	s_cmp_eq_u64 s[10:11], 0
	v_readfirstlane_b32 s2, v1
	s_cbranch_scc1 .LBB46_2
; %bb.1:
	s_abs_i32 s26, s36
	s_delay_alu instid0(SALU_CYCLE_1) | instskip(NEXT) | instid1(SALU_CYCLE_3)
	s_cvt_f32_u32 s24, s26
	v_rcp_iflag_f32_e32 v1, s24
	s_delay_alu instid0(TRANS32_DEP_1) | instskip(SKIP_2) | instid1(SALU_CYCLE_2)
	v_readfirstlane_b32 s24, v1
	s_mul_f32 s24, s24, 0x4f7ffffe
	s_wait_alu 0xfffe
	s_cvt_u32_f32 s27, s24
	s_sub_co_i32 s24, 0, s26
	s_wait_alu 0xfffe
	s_delay_alu instid0(SALU_CYCLE_1) | instskip(SKIP_4) | instid1(SALU_CYCLE_1)
	s_mul_i32 s24, s24, s27
	s_wait_alu 0xfffe
	s_mul_hi_u32 s29, s27, s24
	s_load_b64 s[24:25], s[0:1], 0xc8
	s_add_co_i32 s27, s27, s29
	s_mul_hi_u32 s27, s28, s27
	s_delay_alu instid0(SALU_CYCLE_1) | instskip(NEXT) | instid1(SALU_CYCLE_1)
	s_mul_i32 s27, s27, s26
	s_sub_co_i32 s27, s28, s27
	s_delay_alu instid0(SALU_CYCLE_1) | instskip(SKIP_2) | instid1(SALU_CYCLE_1)
	s_sub_co_i32 s29, s27, s26
	s_cmp_ge_u32 s27, s26
	s_cselect_b32 s27, s29, s27
	s_sub_co_i32 s29, s27, s26
	s_cmp_ge_u32 s27, s26
	s_cselect_b32 s26, s29, s27
	s_delay_alu instid0(SALU_CYCLE_1)
	s_ashr_i32 s27, s26, 31
	s_wait_kmcnt 0x0
	s_mul_u64 s[24:25], s[24:25], s[26:27]
	s_wait_alu 0xfffe
	s_add_nc_u64 s[34:35], s[10:11], s[24:25]
.LBB46_2:
	v_lshrrev_b32_e32 v1, 10, v0
	s_load_b96 s[24:26], s[0:1], 0x70
	v_bfe_u32 v22, v0, 10, 1
	s_delay_alu instid0(VALU_DEP_2) | instskip(NEXT) | instid1(VALU_DEP_1)
	v_bfe_u32 v1, v1, 1, 9
	v_lshl_add_u32 v1, ttmp9, 1, v1
	s_delay_alu instid0(VALU_DEP_1) | instskip(SKIP_3) | instid1(VALU_DEP_1)
	v_mul_hi_u32 v2, s20, v1
	s_wait_kmcnt 0x0
	s_mul_i32 s10, s33, s25
	s_mov_b32 s20, s25
	v_add_nc_u32_e32 v2, v1, v2
	s_delay_alu instid0(VALU_DEP_1)
	v_lshrrev_b32_e32 v2, s21, v2
	s_ashr_i32 s21, s25, 31
	s_ashr_i32 s25, s24, 31
	s_wait_alu 0xfffe
	s_lshr_b32 s11, s21, 2
	s_lshr_b64 s[40:41], s[24:25], 2
	v_mul_lo_u32 v2, v2, s22
	v_mul_lo_u32 v7, s11, v22
	s_ashr_i32 s11, s10, 31
	s_delay_alu instid0(VALU_DEP_2) | instskip(NEXT) | instid1(VALU_DEP_1)
	v_sub_nc_u32_e32 v3, v1, v2
	v_mad_co_u64_u32 v[4:5], null, s40, v3, 0
	s_lshr_b64 s[40:41], s[20:21], 2
	s_lshr_b32 s20, s25, 2
	v_mov_b32_e32 v2, v5
	s_wait_alu 0xfffe
	s_delay_alu instid0(VALU_DEP_1)
	v_mad_co_u64_u32 v[5:6], null, s20, v3, v[2:3]
	v_mul_lo_u32 v6, s40, v22
	s_mul_i32 s20, s28, s26
	v_and_b32_e32 v2, 0x3ff, v0
	s_wait_alu 0xfffe
	s_ashr_i32 s21, s20, 31
	s_cmp_eq_u64 s[14:15], 0
	s_wait_alu 0xfffe
	s_add_nc_u64 s[4:5], s[4:5], s[20:21]
	v_lshlrev_b64_e32 v[4:5], 2, v[4:5]
	s_add_nc_u64 s[4:5], s[4:5], s[10:11]
	v_lshlrev_b64_e32 v[6:7], 2, v[6:7]
	v_lshlrev_b32_e32 v8, 4, v2
	s_delay_alu instid0(VALU_DEP_2) | instskip(NEXT) | instid1(VALU_DEP_1)
	v_add_co_u32 v6, vcc_lo, s4, v6
	v_add_co_ci_u32_e64 v7, null, s5, v7, vcc_lo
	s_load_b32 s4, s[0:1], 0x40
	v_add_co_u32 v4, vcc_lo, v6, v4
	s_wait_alu 0xfffd
	v_add_co_ci_u32_e64 v5, null, v7, v5, vcc_lo
	s_delay_alu instid0(VALU_DEP_2) | instskip(SKIP_1) | instid1(VALU_DEP_2)
	v_add_co_u32 v4, vcc_lo, v4, v8
	s_wait_alu 0xfffd
	v_add_co_ci_u32_e64 v5, null, 0, v5, vcc_lo
	global_load_b128 v[4:7], v[4:5], off
	s_wait_loadcnt 0x0
	s_wait_kmcnt 0x0
	v_fma_mixlo_f16 v5, s4, v5, 0
	v_fma_mixlo_f16 v8, s4, v4, 0
	v_bfe_u32 v4, v0, 10, 10
	v_fma_mixlo_f16 v6, s4, v6, 0
	v_fma_mixlo_f16 v7, s4, v7, 0
	v_lshlrev_b32_e32 v5, 16, v5
	v_and_b32_e32 v8, 0xffff, v8
	v_lshlrev_b32_e32 v0, 3, v2
	v_lshl_add_u32 v21, v4, 8, 0x2400
	v_lshlrev_b32_e32 v7, 16, v7
	v_and_b32_e32 v6, 0xffff, v6
	v_or_b32_e32 v5, v5, v8
	s_delay_alu instid0(VALU_DEP_4) | instskip(NEXT) | instid1(VALU_DEP_3)
	v_add_nc_u32_e32 v8, v21, v0
	v_or3_b32 v6, v7, v6, 0
	s_delay_alu instid0(VALU_DEP_3)
	v_or3_b32 v5, 0, 0, v5
	ds_store_b64 v8, v[5:6]
	s_wait_dscnt 0x0
	s_barrier_signal -1
	s_barrier_wait -1
	global_inv scope:SCOPE_SE
	s_cbranch_scc1 .LBB46_4
; %bb.3:
	s_load_b32 s4, s[0:1], 0xd0
	s_mov_b32 s5, 0
	s_wait_kmcnt 0x0
	s_mul_i32 s4, s4, s28
	s_wait_alu 0xfffe
	s_add_co_i32 s4, s4, ttmp9
	s_wait_alu 0xfffe
	s_lshl_b64 s[4:5], s[4:5], 2
	s_wait_alu 0xfffe
	s_add_nc_u64 s[4:5], s[14:15], s[4:5]
	s_load_b32 s30, s[4:5], 0x0
.LBB46_4:
	s_and_b32 s4, ttmp7, 0xffff
	v_mbcnt_lo_u32_b32 v24, -1, 0
	s_wait_alu 0xfffe
	s_lshl_b32 s10, s4, 6
	s_wait_kmcnt 0x0
	s_wait_alu 0xfffe
	s_cmp_lt_i32 s10, s30
	s_cbranch_scc1 .LBB46_7
; %bb.5:
	v_mbcnt_lo_u32_b32 v6, -1, 0
	v_mov_b32_e32 v5, 32
	s_delay_alu instid0(VALU_DEP_2)
	v_xor_b32_e32 v29, 16, v6
	v_xor_b32_e32 v28, 8, v6
	v_xor_b32_e32 v27, 4, v6
	v_xor_b32_e32 v26, 2, v6
	v_xor_b32_e32 v25, 1, v6
	v_lshlrev_b32_e32 v23, 2, v2
	s_mov_b32 s29, 0
	s_cbranch_execz .LBB46_8
; %bb.6:
	v_dual_mov_b32 v47, 0 :: v_dual_mov_b32 v48, 0
	v_mov_b32_e32 v20, 0xfeffffff
	v_mov_b32_e32 v46, 0
	s_branch .LBB46_11
.LBB46_7:
                                        ; implicit-def: $vgpr6
                                        ; implicit-def: $vgpr5
                                        ; implicit-def: $vgpr29
                                        ; implicit-def: $vgpr28
                                        ; implicit-def: $vgpr27
                                        ; implicit-def: $vgpr26
                                        ; implicit-def: $vgpr25
	v_lshlrev_b32_e32 v23, 2, v2
	s_mov_b32 s29, 0
.LBB46_8:
	s_mul_f32 s2, s2, 0x4f7ffffe
	s_clause 0x1
	s_load_b128 s[24:27], s[0:1], 0x98
	s_load_b64 s[20:21], s[0:1], 0x8c
	s_sub_co_i32 s11, 0, s31
	s_mov_b32 s15, s3
	s_cvt_u32_f32 s5, s2
	s_abs_i32 s2, s33
	s_ashr_i32 s40, s38, 31
	s_load_b64 s[38:39], s[0:1], 0xa8
	s_mul_i32 s11, s11, s5
	s_ashr_i32 s36, s33, 31
	s_wait_alu 0xfffe
	s_mul_hi_u32 s11, s5, s11
	v_lshrrev_b32_e32 v5, 3, v2
	s_wait_alu 0xfffe
	s_add_co_i32 s14, s5, s11
	s_ashr_i32 s5, s37, 1
	s_mul_u64 s[14:15], s[2:3], s[14:15]
	s_xor_b32 s11, s36, s40
	s_mul_i32 s3, s15, s31
	s_add_co_i32 s36, s15, 1
	s_wait_alu 0xfffe
	s_sub_co_i32 s2, s2, s3
	v_lshl_add_u32 v6, v4, 2, v5
	s_wait_kmcnt 0x0
	s_ashr_i32 s14, s26, 2
	s_ashr_i32 s20, s20, 2
	s_wait_alu 0xfffe
	s_sub_co_i32 s3, s2, s31
	s_cmp_ge_u32 s2, s31
	v_dual_mov_b32 v46, 0 :: v_dual_and_b32 v11, 28, v23
	s_cselect_b32 s15, s36, s15
	s_wait_alu 0xfffe
	s_cselect_b32 s2, s3, s2
	s_add_co_i32 s26, s15, 1
	s_wait_alu 0xfffe
	s_cmp_ge_u32 s2, s31
	s_mul_u64 s[2:3], s[24:25], s[28:29]
	s_cselect_b32 s15, s26, s15
	s_wait_alu 0xfffe
	s_add_nc_u64 s[2:3], s[6:7], s[2:3]
	s_xor_b32 s15, s15, s11
	v_mul_lo_u32 v5, s20, v6
	s_sub_co_i32 s7, s15, s11
	s_mul_u64 s[24:25], s[38:39], s[28:29]
	s_mul_i32 s6, s7, s21
	v_lshrrev_b32_e32 v8, 4, v2
	v_dual_mov_b32 v20, 0xfeffffff :: v_dual_lshlrev_b32 v7, 2, v11
	s_wait_alu 0xfffe
	s_add_nc_u64 s[8:9], s[8:9], s[24:25]
	s_mul_i32 s24, s7, s27
	s_ashr_i32 s7, s6, 31
	v_lshl_add_u32 v13, v4, 1, v8
	s_add_nc_u64 s[6:7], s[2:3], s[6:7]
	s_lshl_b32 s2, s20, 4
	v_mad_u32_u24 v30, 0x90, v6, v7
	s_wait_alu 0xfffe
	v_dual_mov_b32 v48, 0 :: v_dual_add_nc_u32 v7, s2, v5
	v_mul_lo_u32 v12, s14, v13
	v_and_b32_e32 v42, 60, v23
	v_ashrrev_i32_e32 v6, 31, v5
	s_delay_alu instid0(VALU_DEP_4)
	v_add_nc_u32_e32 v9, s2, v7
	v_ashrrev_i32_e32 v8, 31, v7
	v_lshl_add_u32 v35, v4, 7, 0x2800
	v_lshlrev_b32_e32 v17, 2, v42
	v_mad_co_u64_u32 v[3:4], null, v3, s5, v[2:3]
	v_add_nc_u32_e32 v14, s2, v9
	s_lshl_b32 s2, s14, 3
	v_ashrrev_i32_e32 v10, 31, v9
	s_wait_alu 0xfffe
	v_add_nc_u32_e32 v16, s2, v12
	v_lshl_or_b32 v36, v13, 8, v17
	v_ashrrev_i32_e32 v15, 31, v14
	v_ashrrev_i32_e32 v13, 31, v12
	v_lshlrev_b64_e32 v[4:5], 2, v[5:6]
	v_add_nc_u32_e32 v18, s2, v16
	v_ashrrev_i32_e32 v17, 31, v16
	v_lshlrev_b32_e32 v41, 2, v11
	v_lshlrev_b64_e32 v[6:7], 2, v[7:8]
	v_lshlrev_b64_e32 v[8:9], 2, v[9:10]
	v_add_nc_u32_e32 v43, s2, v18
	v_ashrrev_i32_e32 v19, 31, v18
	v_lshlrev_b64_e32 v[10:11], 2, v[14:15]
	v_lshlrev_b64_e32 v[12:13], 2, v[12:13]
	;; [unrolled: 1-line block ×3, first 2 shown]
	v_ashrrev_i32_e32 v44, 31, v43
	v_lshlrev_b64_e32 v[16:17], 2, v[18:19]
	v_add_nc_u32_e32 v31, 0x900, v30
	v_dual_mov_b32 v47, 0 :: v_dual_add_nc_u32 v32, 0x1200, v30
	s_delay_alu instid0(VALU_DEP_4)
	v_lshlrev_b64_e32 v[18:19], 2, v[43:44]
	v_add_nc_u32_e32 v33, 0x1b00, v30
	v_mul_u32_u24_e32 v34, 0x90, v2
	v_lshl_add_u32 v37, v2, 1, v35
	v_add_nc_u32_e32 v38, 0x800, v36
	v_add_nc_u32_e32 v39, 0x1000, v36
	;; [unrolled: 1-line block ×3, first 2 shown]
	v_xor_b32_e32 v29, 16, v24
	v_xor_b32_e32 v28, 8, v24
	;; [unrolled: 1-line block ×5, first 2 shown]
	v_lshlrev_b32_e32 v42, 2, v42
	v_add_nc_u32_e32 v43, 0x800, v0
	v_add_nc_u32_e32 v44, 0x1000, v0
	;; [unrolled: 1-line block ×3, first 2 shown]
	s_ashr_i32 s25, s24, 31
	s_ashr_i32 s21, s20, 31
	s_wait_alu 0xfffe
	s_add_nc_u64 s[8:9], s[8:9], s[24:25]
	s_ashr_i32 s15, s14, 31
	s_add_nc_u64 s[24:25], s[0:1], 0xd0
.LBB46_9:                               ; =>This Inner Loop Header: Depth=1
	v_cmp_gt_i32_e32 vcc_lo, 32, v29
	s_ashr_i32 s11, s10, 31
	s_or_b32 s2, s10, 32
	s_wait_alu 0xfffe
	s_mul_u64 s[26:27], s[10:11], s[20:21]
	s_mul_u64 s[36:37], s[10:11], s[14:15]
	s_wait_alu 0xfffd
	v_cndmask_b32_e32 v53, v24, v29, vcc_lo
	v_cmp_gt_i32_e32 vcc_lo, 32, v28
	s_wait_alu 0xfffe
	s_lshl_b64 s[26:27], s[26:27], 2
	s_lshl_b64 s[36:37], s[36:37], 2
	s_wait_alu 0xfffe
	s_add_nc_u64 s[26:27], s[6:7], s[26:27]
	s_add_nc_u64 s[36:37], s[8:9], s[36:37]
	s_wait_alu 0xfffd
	v_cndmask_b32_e32 v54, v24, v28, vcc_lo
	v_cmp_gt_i32_e32 vcc_lo, 32, v27
	s_ashr_i32 s3, s2, 31
	v_dual_mov_b32 v50, 0 :: v_dual_add_nc_u32 v51, s10, v3
	s_wait_alu 0xfffd
	v_dual_cndmask_b32 v55, v24, v27 :: v_dual_lshlrev_b32 v86, 2, v54
	v_cmp_gt_i32_e32 vcc_lo, 32, v26
	v_lshlrev_b32_e32 v85, 2, v53
	s_wait_alu 0xfffe
	s_mul_u64 s[2:3], s[2:3], s[14:15]
	v_ashrrev_i32_e32 v52, 31, v51
	s_wait_alu 0xfffe
	s_lshl_b64 s[2:3], s[2:3], 2
	s_wait_alu 0xfffd
	v_cndmask_b32_e32 v56, v24, v26, vcc_lo
	v_cmp_gt_i32_e32 vcc_lo, 32, v25
	s_wait_alu 0xfffe
	s_add_nc_u64 s[2:3], s[8:9], s[2:3]
	v_lshlrev_b64_e32 v[51:52], 1, v[51:52]
	v_dual_mov_b32 v49, v20 :: v_dual_mov_b32 v20, 0
	s_wait_alu 0xfffd
	v_cndmask_b32_e32 v57, v24, v25, vcc_lo
	v_add_co_u32 v53, vcc_lo, s26, v4
	v_lshlrev_b32_e32 v88, 2, v56
	v_lshlrev_b32_e32 v87, 2, v55
	s_wait_alu 0xfffd
	v_add_co_ci_u32_e64 v54, null, s27, v5, vcc_lo
	v_add_co_u32 v55, vcc_lo, s26, v6
	v_lshlrev_b32_e32 v89, 2, v57
	s_wait_alu 0xfffd
	v_add_co_ci_u32_e64 v56, null, s27, v7, vcc_lo
	v_add_co_u32 v57, vcc_lo, s26, v8
	s_wait_alu 0xfffd
	v_add_co_ci_u32_e64 v58, null, s27, v9, vcc_lo
	v_add_co_u32 v59, vcc_lo, s26, v10
	;; [unrolled: 3-line block ×6, first 2 shown]
	s_wait_alu 0xfffd
	v_add_co_ci_u32_e64 v84, null, s37, v19, vcc_lo
	s_wait_alu 0xfffe
	v_add_co_u32 v90, vcc_lo, s2, v12
	s_wait_alu 0xfffd
	v_add_co_ci_u32_e64 v91, null, s3, v13, vcc_lo
	v_add_co_u32 v92, vcc_lo, s2, v14
	s_wait_alu 0xfffd
	v_add_co_ci_u32_e64 v93, null, s3, v15, vcc_lo
	;; [unrolled: 3-line block ×12, first 2 shown]
	s_clause 0x3
	global_load_b128 v[51:54], v[67:68], off
	global_load_b128 v[55:58], v[69:70], off
	;; [unrolled: 1-line block ×4, first 2 shown]
	v_add_co_u32 v83, vcc_lo, v83, v42
	s_wait_alu 0xfffd
	v_add_co_ci_u32_e64 v84, null, 0, v84, vcc_lo
	v_add_co_u32 v106, vcc_lo, v90, v42
	s_wait_alu 0xfffd
	v_add_co_ci_u32_e64 v107, null, 0, v91, vcc_lo
	;; [unrolled: 3-line block ×5, first 2 shown]
	s_wait_loadcnt 0x3
	ds_store_b128 v30, v[51:54]
	s_wait_loadcnt 0x2
	ds_store_b128 v31, v[55:58]
	;; [unrolled: 2-line block ×4, first 2 shown]
	s_wait_dscnt 0x0
	s_barrier_signal -1
	s_barrier_wait -1
	global_inv scope:SCOPE_SE
	ds_load_b128 v[51:54], v34
	ds_load_b128 v[55:58], v21
	ds_load_b128 v[59:62], v34 offset:4608
	s_wait_dscnt 0x1
	;;#ASMSTART
	v_dot2_f32_f16 v20, v51, v55, v20
	;;#ASMEND
	;;#ASMSTART
	v_dot2_f32_f16 v20, v52, v56, v20
	;;#ASMEND
	;;#ASMSTART
	v_dot2_f32_f16 v20, v53, v57, v20
	;;#ASMEND
	;;#ASMSTART
	v_dot2_f32_f16 v20, v54, v58, v20
	;;#ASMEND
	s_wait_dscnt 0x0
	;;#ASMSTART
	v_dot2_f32_f16 v50, v59, v55, v50
	;;#ASMEND
	;;#ASMSTART
	v_dot2_f32_f16 v50, v60, v56, v50
	;;#ASMEND
	;;#ASMSTART
	v_dot2_f32_f16 v50, v61, v57, v50
	;;#ASMEND
	;;#ASMSTART
	v_dot2_f32_f16 v50, v62, v58, v50
	;;#ASMEND
	ds_load_b128 v[51:54], v34 offset:16
	ds_load_b128 v[55:58], v21 offset:16
	ds_load_b128 v[59:62], v34 offset:4624
	s_wait_dscnt 0x1
	;;#ASMSTART
	v_dot2_f32_f16 v20, v51, v55, v20
	;;#ASMEND
	;;#ASMSTART
	v_dot2_f32_f16 v20, v52, v56, v20
	;;#ASMEND
	;;#ASMSTART
	v_dot2_f32_f16 v20, v53, v57, v20
	;;#ASMEND
	;;#ASMSTART
	v_dot2_f32_f16 v20, v54, v58, v20
	;;#ASMEND
	s_wait_dscnt 0x0
	;;#ASMSTART
	v_dot2_f32_f16 v50, v59, v55, v50
	;;#ASMEND
	;;#ASMSTART
	v_dot2_f32_f16 v50, v60, v56, v50
	;;#ASMEND
	;;#ASMSTART
	v_dot2_f32_f16 v50, v61, v57, v50
	;;#ASMEND
	;;#ASMSTART
	v_dot2_f32_f16 v50, v62, v58, v50
	;;#ASMEND
	ds_load_b128 v[51:54], v34 offset:32
	ds_load_b128 v[55:58], v21 offset:32
	ds_load_b128 v[59:62], v34 offset:4640
	s_wait_dscnt 0x1
	;;#ASMSTART
	v_dot2_f32_f16 v20, v51, v55, v20
	;;#ASMEND
	;;#ASMSTART
	v_dot2_f32_f16 v20, v52, v56, v20
	;;#ASMEND
	;;#ASMSTART
	v_dot2_f32_f16 v20, v53, v57, v20
	;;#ASMEND
	;;#ASMSTART
	v_dot2_f32_f16 v20, v54, v58, v20
	;;#ASMEND
	s_wait_dscnt 0x0
	;;#ASMSTART
	v_dot2_f32_f16 v50, v59, v55, v50
	;;#ASMEND
	;;#ASMSTART
	v_dot2_f32_f16 v50, v60, v56, v50
	;;#ASMEND
	;;#ASMSTART
	v_dot2_f32_f16 v50, v61, v57, v50
	;;#ASMEND
	;;#ASMSTART
	v_dot2_f32_f16 v50, v62, v58, v50
	;;#ASMEND
	ds_load_b128 v[51:54], v34 offset:48
	ds_load_b128 v[55:58], v21 offset:48
	ds_load_b128 v[59:62], v34 offset:4656
	s_wait_dscnt 0x1
	;;#ASMSTART
	v_dot2_f32_f16 v20, v51, v55, v20
	;;#ASMEND
	;;#ASMSTART
	v_dot2_f32_f16 v20, v52, v56, v20
	;;#ASMEND
	;;#ASMSTART
	v_dot2_f32_f16 v20, v53, v57, v20
	;;#ASMEND
	;;#ASMSTART
	v_dot2_f32_f16 v20, v54, v58, v20
	;;#ASMEND
	s_wait_dscnt 0x0
	;;#ASMSTART
	v_dot2_f32_f16 v50, v59, v55, v50
	;;#ASMEND
	;;#ASMSTART
	v_dot2_f32_f16 v50, v60, v56, v50
	;;#ASMEND
	;;#ASMSTART
	v_dot2_f32_f16 v50, v61, v57, v50
	;;#ASMEND
	;;#ASMSTART
	v_dot2_f32_f16 v50, v62, v58, v50
	;;#ASMEND
	ds_load_b128 v[51:54], v34 offset:64
	ds_load_b128 v[55:58], v21 offset:64
	ds_load_b128 v[59:62], v34 offset:4672
	s_wait_dscnt 0x1
	;;#ASMSTART
	v_dot2_f32_f16 v20, v51, v55, v20
	;;#ASMEND
	;;#ASMSTART
	v_dot2_f32_f16 v20, v52, v56, v20
	;;#ASMEND
	;;#ASMSTART
	v_dot2_f32_f16 v20, v53, v57, v20
	;;#ASMEND
	;;#ASMSTART
	v_dot2_f32_f16 v20, v54, v58, v20
	;;#ASMEND
	s_wait_dscnt 0x0
	;;#ASMSTART
	v_dot2_f32_f16 v50, v59, v55, v50
	;;#ASMEND
	;;#ASMSTART
	v_dot2_f32_f16 v50, v60, v56, v50
	;;#ASMEND
	;;#ASMSTART
	v_dot2_f32_f16 v50, v61, v57, v50
	;;#ASMEND
	;;#ASMSTART
	v_dot2_f32_f16 v50, v62, v58, v50
	;;#ASMEND
	ds_load_b128 v[51:54], v34 offset:80
	ds_load_b128 v[55:58], v21 offset:80
	ds_load_b128 v[59:62], v34 offset:4688
	s_wait_dscnt 0x1
	;;#ASMSTART
	v_dot2_f32_f16 v20, v51, v55, v20
	;;#ASMEND
	;;#ASMSTART
	v_dot2_f32_f16 v20, v52, v56, v20
	;;#ASMEND
	;;#ASMSTART
	v_dot2_f32_f16 v20, v53, v57, v20
	;;#ASMEND
	;;#ASMSTART
	v_dot2_f32_f16 v20, v54, v58, v20
	;;#ASMEND
	s_wait_dscnt 0x0
	;;#ASMSTART
	v_dot2_f32_f16 v50, v59, v55, v50
	;;#ASMEND
	;;#ASMSTART
	v_dot2_f32_f16 v50, v60, v56, v50
	;;#ASMEND
	;;#ASMSTART
	v_dot2_f32_f16 v50, v61, v57, v50
	;;#ASMEND
	;;#ASMSTART
	v_dot2_f32_f16 v50, v62, v58, v50
	;;#ASMEND
	ds_load_b128 v[51:54], v34 offset:96
	ds_load_b128 v[55:58], v21 offset:96
	ds_load_b128 v[59:62], v34 offset:4704
	s_wait_dscnt 0x1
	;;#ASMSTART
	v_dot2_f32_f16 v20, v51, v55, v20
	;;#ASMEND
	;;#ASMSTART
	v_dot2_f32_f16 v20, v52, v56, v20
	;;#ASMEND
	;;#ASMSTART
	v_dot2_f32_f16 v20, v53, v57, v20
	;;#ASMEND
	;;#ASMSTART
	v_dot2_f32_f16 v20, v54, v58, v20
	;;#ASMEND
	s_wait_dscnt 0x0
	;;#ASMSTART
	v_dot2_f32_f16 v50, v59, v55, v50
	;;#ASMEND
	;;#ASMSTART
	v_dot2_f32_f16 v50, v60, v56, v50
	;;#ASMEND
	;;#ASMSTART
	v_dot2_f32_f16 v50, v61, v57, v50
	;;#ASMEND
	;;#ASMSTART
	v_dot2_f32_f16 v50, v62, v58, v50
	;;#ASMEND
	ds_load_b128 v[51:54], v34 offset:112
	ds_load_b128 v[55:58], v21 offset:112
	ds_load_b128 v[59:62], v34 offset:4720
	s_wait_dscnt 0x1
	;;#ASMSTART
	v_dot2_f32_f16 v20, v51, v55, v20
	;;#ASMEND
	;;#ASMSTART
	v_dot2_f32_f16 v20, v52, v56, v20
	;;#ASMEND
	;; [unrolled: 3-line block ×4, first 2 shown]
	s_wait_dscnt 0x0
	;;#ASMSTART
	v_dot2_f32_f16 v50, v59, v55, v50
	;;#ASMEND
	;;#ASMSTART
	v_dot2_f32_f16 v50, v60, v56, v50
	;;#ASMEND
	;; [unrolled: 3-line block ×4, first 2 shown]
	s_wait_loadcnt 0x0
	s_barrier_signal -1
	s_barrier_wait -1
	global_inv scope:SCOPE_SE
	s_clause 0x3
	global_load_b128 v[51:54], v[67:68], off offset:128
	global_load_b128 v[55:58], v[69:70], off offset:128
	;; [unrolled: 1-line block ×4, first 2 shown]
	s_wait_loadcnt 0x3
	ds_store_b128 v30, v[51:54]
	s_wait_loadcnt 0x2
	ds_store_b128 v31, v[55:58]
	;; [unrolled: 2-line block ×4, first 2 shown]
	s_wait_dscnt 0x0
	s_barrier_signal -1
	s_barrier_wait -1
	global_inv scope:SCOPE_SE
	ds_load_b128 v[51:54], v34
	ds_load_b128 v[55:58], v21 offset:128
	ds_load_b128 v[59:62], v34 offset:4608
	s_wait_dscnt 0x1
	;;#ASMSTART
	v_dot2_f32_f16 v20, v51, v55, v20
	;;#ASMEND
	;;#ASMSTART
	v_dot2_f32_f16 v20, v52, v56, v20
	;;#ASMEND
	;;#ASMSTART
	v_dot2_f32_f16 v20, v53, v57, v20
	;;#ASMEND
	;;#ASMSTART
	v_dot2_f32_f16 v20, v54, v58, v20
	;;#ASMEND
	s_wait_dscnt 0x0
	;;#ASMSTART
	v_dot2_f32_f16 v50, v59, v55, v50
	;;#ASMEND
	;;#ASMSTART
	v_dot2_f32_f16 v50, v60, v56, v50
	;;#ASMEND
	;;#ASMSTART
	v_dot2_f32_f16 v50, v61, v57, v50
	;;#ASMEND
	;;#ASMSTART
	v_dot2_f32_f16 v50, v62, v58, v50
	;;#ASMEND
	ds_load_b128 v[51:54], v34 offset:16
	ds_load_b128 v[55:58], v21 offset:144
	ds_load_b128 v[59:62], v34 offset:4624
	s_wait_dscnt 0x1
	;;#ASMSTART
	v_dot2_f32_f16 v20, v51, v55, v20
	;;#ASMEND
	;;#ASMSTART
	v_dot2_f32_f16 v20, v52, v56, v20
	;;#ASMEND
	;;#ASMSTART
	v_dot2_f32_f16 v20, v53, v57, v20
	;;#ASMEND
	;;#ASMSTART
	v_dot2_f32_f16 v20, v54, v58, v20
	;;#ASMEND
	s_wait_dscnt 0x0
	;;#ASMSTART
	v_dot2_f32_f16 v50, v59, v55, v50
	;;#ASMEND
	;;#ASMSTART
	v_dot2_f32_f16 v50, v60, v56, v50
	;;#ASMEND
	;;#ASMSTART
	v_dot2_f32_f16 v50, v61, v57, v50
	;;#ASMEND
	;;#ASMSTART
	v_dot2_f32_f16 v50, v62, v58, v50
	;;#ASMEND
	ds_load_b128 v[51:54], v34 offset:32
	;; [unrolled: 29-line block ×7, first 2 shown]
	ds_load_b128 v[55:58], v21 offset:240
	ds_load_b128 v[59:62], v34 offset:4720
	s_wait_dscnt 0x1
	;;#ASMSTART
	v_dot2_f32_f16 v20, v51, v55, v20
	;;#ASMEND
	;;#ASMSTART
	v_dot2_f32_f16 v20, v52, v56, v20
	;;#ASMEND
	;; [unrolled: 3-line block ×4, first 2 shown]
	s_wait_dscnt 0x0
	;;#ASMSTART
	v_dot2_f32_f16 v50, v59, v55, v50
	;;#ASMEND
	;;#ASMSTART
	v_dot2_f32_f16 v50, v60, v56, v50
	;;#ASMEND
	;; [unrolled: 3-line block ×4, first 2 shown]
	s_clause 0x1
	global_load_u16 v67, v[75:76], off
	global_load_u16 v68, v[75:76], off offset:64
	s_wait_loadcnt 0x0
	s_barrier_signal -1
	s_barrier_wait -1
	global_inv scope:SCOPE_SE
	s_clause 0x3
	global_load_b128 v[51:54], v[77:78], off
	global_load_b128 v[55:58], v[79:80], off
	;; [unrolled: 1-line block ×4, first 2 shown]
	v_cvt_f32_f16_e32 v67, v67
	v_cvt_f32_f16_e32 v68, v68
	s_delay_alu instid0(VALU_DEP_1) | instskip(NEXT) | instid1(VALU_DEP_1)
	v_dual_add_f32 v50, v50, v68 :: v_dual_add_f32 v67, v20, v67
	v_add_f32_e32 v68, 0x40051340, v50
	s_delay_alu instid0(VALU_DEP_2) | instskip(NEXT) | instid1(VALU_DEP_1)
	v_add_f32_e32 v20, 0x40051340, v67
	v_max3_num_f32 v20, v49, v20, v68
	ds_bpermute_b32 v68, v85, v20
	s_wait_dscnt 0x0
	v_max_num_f32_e32 v68, v68, v68
	s_delay_alu instid0(VALU_DEP_1) | instskip(SKIP_3) | instid1(VALU_DEP_1)
	v_max_num_f32_e32 v20, v20, v68
	ds_bpermute_b32 v68, v86, v20
	s_wait_dscnt 0x0
	v_max_num_f32_e32 v68, v68, v68
	v_max_num_f32_e32 v20, v20, v68
	ds_bpermute_b32 v68, v87, v20
	s_wait_dscnt 0x0
	v_max_num_f32_e32 v68, v68, v68
	s_delay_alu instid0(VALU_DEP_1) | instskip(SKIP_3) | instid1(VALU_DEP_1)
	v_max_num_f32_e32 v20, v20, v68
	ds_bpermute_b32 v68, v88, v20
	s_wait_dscnt 0x0
	v_max_num_f32_e32 v68, v68, v68
	v_max_num_f32_e32 v20, v20, v68
	ds_bpermute_b32 v68, v89, v20
	s_wait_dscnt 0x0
	v_max_num_f32_e32 v68, v68, v68
	s_delay_alu instid0(VALU_DEP_1) | instskip(NEXT) | instid1(VALU_DEP_1)
	v_max_num_f32_e32 v20, v20, v68
	v_sub_f32_e32 v49, v49, v20
	v_sub_f32_e32 v67, v67, v20
	;; [unrolled: 1-line block ×3, first 2 shown]
	s_delay_alu instid0(VALU_DEP_3) | instskip(NEXT) | instid1(VALU_DEP_2)
	v_mul_f32_e32 v70, 0x3fb8aa3b, v49
	v_dual_mul_f32 v68, 0x3fb8aa3b, v67 :: v_dual_mul_f32 v69, 0x3fb8aa3b, v50
	v_cmp_ngt_f32_e64 s3, 0xc2ce8ed0, v67
	v_cmp_ngt_f32_e32 vcc_lo, 0xc2ce8ed0, v50
	s_delay_alu instid0(VALU_DEP_4) | instskip(NEXT) | instid1(VALU_DEP_4)
	v_fma_f32 v75, 0x3fb8aa3b, v49, -v70
	v_fma_f32 v71, 0x3fb8aa3b, v67, -v68
	v_rndne_f32_e32 v72, v68
	v_fma_f32 v73, 0x3fb8aa3b, v50, -v69
	v_rndne_f32_e32 v74, v69
	v_rndne_f32_e32 v76, v70
	s_delay_alu instid0(VALU_DEP_4) | instskip(NEXT) | instid1(VALU_DEP_4)
	v_dual_fmac_f32 v71, 0x32a5705f, v67 :: v_dual_sub_f32 v68, v68, v72
	v_fmac_f32_e32 v73, 0x32a5705f, v50
	s_delay_alu instid0(VALU_DEP_4) | instskip(NEXT) | instid1(VALU_DEP_4)
	v_sub_f32_e32 v69, v69, v74
	v_dual_fmac_f32 v75, 0x32a5705f, v49 :: v_dual_sub_f32 v70, v70, v76
	s_delay_alu instid0(VALU_DEP_4) | instskip(SKIP_1) | instid1(VALU_DEP_4)
	v_add_f32_e32 v68, v68, v71
	v_cvt_i32_f32_e32 v72, v72
	v_add_f32_e32 v69, v69, v73
	v_cvt_i32_f32_e32 v74, v74
	v_add_f32_e32 v70, v70, v75
	v_exp_f32_e32 v68, v68
	v_cvt_i32_f32_e32 v76, v76
	v_exp_f32_e32 v69, v69
	v_cmp_ngt_f32_e64 s2, 0xc2ce8ed0, v49
	v_exp_f32_e32 v70, v70
	s_delay_alu instid0(TRANS32_DEP_3) | instskip(NEXT) | instid1(TRANS32_DEP_2)
	v_ldexp_f32 v68, v68, v72
	v_ldexp_f32 v69, v69, v74
	s_delay_alu instid0(TRANS32_DEP_1) | instskip(SKIP_1) | instid1(VALU_DEP_3)
	v_ldexp_f32 v70, v70, v76
	s_wait_alu 0xf1ff
	v_cndmask_b32_e64 v68, 0, v68, s3
	v_cmp_nlt_f32_e64 s3, 0x42b17218, v67
	s_wait_alu 0xfffd
	v_cndmask_b32_e32 v69, 0, v69, vcc_lo
	v_cmp_nlt_f32_e32 vcc_lo, 0x42b17218, v50
	v_cndmask_b32_e64 v50, 0, v70, s2
	v_cmp_nlt_f32_e64 s2, 0x42b17218, v49
	s_wait_alu 0xf1ff
	v_cndmask_b32_e64 v114, 0x7f800000, v68, s3
	s_wait_alu 0xfffd
	v_cndmask_b32_e32 v115, 0x7f800000, v69, vcc_lo
	v_cndmask_b32_e64 v49, 0x7f800000, v50, s2
	s_delay_alu instid0(VALU_DEP_3) | instskip(NEXT) | instid1(VALU_DEP_3)
	v_cvt_f16_f32_e32 v50, v114
	v_cvt_f16_f32_e32 v67, v115
	ds_store_b16 v37, v50
	ds_store_b16 v37, v67 offset:64
	s_wait_loadcnt 0x3
	ds_store_b128 v36, v[51:54]
	s_wait_loadcnt 0x2
	ds_store_b128 v38, v[55:58]
	;; [unrolled: 2-line block ×4, first 2 shown]
	s_wait_dscnt 0x0
	s_barrier_signal -1
	s_barrier_wait -1
	global_inv scope:SCOPE_SE
	ds_load_b128 v[50:53], v35
	v_cvt_f16_f32_e32 v68, v49
	s_delay_alu instid0(VALU_DEP_1)
	v_and_b32_e32 v102, 0xffff, v68
	ds_load_2addr_b64 v[54:57], v0 offset1:32
	ds_load_b128 v[58:61], v35 offset:16
	ds_load_b128 v[62:65], v35 offset:32
	;; [unrolled: 1-line block ×3, first 2 shown]
	ds_load_2addr_b64 v[70:73], v0 offset0:64 offset1:96
	ds_load_2addr_b64 v[74:77], v0 offset0:128 offset1:160
	;; [unrolled: 1-line block ×3, first 2 shown]
	ds_load_2addr_b64 v[82:85], v43 offset1:32
	ds_load_2addr_b64 v[86:89], v43 offset0:64 offset1:96
	ds_load_2addr_b64 v[90:93], v43 offset0:128 offset1:160
	;; [unrolled: 1-line block ×3, first 2 shown]
	ds_load_2addr_b64 v[98:101], v44 offset1:32
	v_mul_u32_u24_e32 v116, 0x10001, v102
	s_wait_dscnt 0x9
	v_and_b32_e32 v118, 0xffff, v62
	v_and_b32_e32 v119, 0xffff, v63
	;; [unrolled: 1-line block ×3, first 2 shown]
	v_lshrrev_b32_e32 v50, 16, v50
	v_and_b32_e32 v120, 0xffff, v64
	v_and_b32_e32 v121, 0xffff, v65
	s_delay_alu instid0(VALU_DEP_4) | instskip(NEXT) | instid1(VALU_DEP_4)
	v_mul_u32_u24_e32 v117, 0x10001, v102
	v_mul_u32_u24_e32 v50, 0x10001, v50
	ds_load_2addr_b64 v[102:105], v44 offset0:64 offset1:96
	v_pk_mul_f16 v54, v54, v117
	s_delay_alu instid0(VALU_DEP_1) | instskip(SKIP_2) | instid1(VALU_DEP_3)
	v_pk_fma_f16 v46, v46, v116, v54
	v_pk_mul_f16 v54, v55, v117
	v_lshrrev_b32_e32 v117, 16, v53
	v_pk_fma_f16 v46, v56, v50, v46
	s_delay_alu instid0(VALU_DEP_3) | instskip(SKIP_1) | instid1(VALU_DEP_4)
	v_pk_fma_f16 v47, v47, v116, v54
	v_and_b32_e32 v116, 0xffff, v53
	v_mul_u32_u24_e32 v117, 0x10001, v117
	s_delay_alu instid0(VALU_DEP_3)
	v_pk_fma_f16 v47, v57, v50, v47
	v_and_b32_e32 v50, 0xffff, v51
	v_lshrrev_b32_e32 v51, 16, v51
	v_mul_u32_u24_e32 v116, 0x10001, v116
	ds_load_2addr_b64 v[54:57], v44 offset0:128 offset1:160
	v_mul_u32_u24_e32 v50, 0x10001, v50
	v_mul_u32_u24_e32 v51, 0x10001, v51
	s_wait_dscnt 0x9
	s_delay_alu instid0(VALU_DEP_2) | instskip(SKIP_2) | instid1(VALU_DEP_3)
	v_pk_fma_f16 v46, v70, v50, v46
	v_pk_fma_f16 v47, v71, v50, v47
	v_and_b32_e32 v50, 0xffff, v52
	v_pk_fma_f16 v46, v72, v51, v46
	s_delay_alu instid0(VALU_DEP_3) | instskip(SKIP_1) | instid1(VALU_DEP_4)
	v_pk_fma_f16 v47, v73, v51, v47
	v_lshrrev_b32_e32 v51, 16, v52
	v_mul_u32_u24_e32 v50, 0x10001, v50
	ds_load_2addr_b64 v[70:73], v44 offset0:192 offset1:224
	v_mul_u32_u24_e32 v51, 0x10001, v51
	s_wait_dscnt 0x9
	v_pk_fma_f16 v46, v74, v50, v46
	v_pk_fma_f16 v47, v75, v50, v47
	s_delay_alu instid0(VALU_DEP_2) | instskip(NEXT) | instid1(VALU_DEP_2)
	v_pk_fma_f16 v46, v76, v51, v46
	v_pk_fma_f16 v47, v77, v51, v47
	ds_load_2addr_b64 v[74:77], v45 offset1:32
	ds_load_2addr_b64 v[50:53], v45 offset0:64 offset1:96
	s_wait_dscnt 0xa
	v_pk_fma_f16 v46, v78, v116, v46
	v_pk_fma_f16 v47, v79, v116, v47
	v_and_b32_e32 v116, 0xffff, v58
	v_lshrrev_b32_e32 v58, 16, v58
	s_delay_alu instid0(VALU_DEP_4) | instskip(NEXT) | instid1(VALU_DEP_4)
	v_pk_fma_f16 v46, v80, v117, v46
	v_pk_fma_f16 v47, v81, v117, v47
	s_delay_alu instid0(VALU_DEP_4) | instskip(NEXT) | instid1(VALU_DEP_4)
	v_mul_u32_u24_e32 v116, 0x10001, v116
	v_mul_u32_u24_e32 v58, 0x10001, v58
	ds_load_2addr_b64 v[78:81], v45 offset0:128 offset1:160
	v_and_b32_e32 v117, 0xffff, v61
	s_wait_dscnt 0xa
	v_pk_fma_f16 v46, v82, v116, v46
	v_pk_fma_f16 v47, v83, v116, v47
	v_and_b32_e32 v116, 0xffff, v60
	s_delay_alu instid0(VALU_DEP_3) | instskip(NEXT) | instid1(VALU_DEP_3)
	v_pk_fma_f16 v46, v84, v58, v46
	v_pk_fma_f16 v47, v85, v58, v47
	v_and_b32_e32 v58, 0xffff, v59
	v_lshrrev_b32_e32 v59, 16, v59
	ds_load_2addr_b64 v[82:85], v45 offset0:192 offset1:224
	s_wait_loadcnt_dscnt 0x0
	s_barrier_signal -1
	v_mul_u32_u24_e32 v58, 0x10001, v58
	v_mul_u32_u24_e32 v59, 0x10001, v59
	s_barrier_wait -1
	global_inv scope:SCOPE_SE
	v_mul_u32_u24_e32 v116, 0x10001, v116
	v_pk_fma_f16 v46, v86, v58, v46
	v_pk_fma_f16 v47, v87, v58, v47
	s_delay_alu instid0(VALU_DEP_2) | instskip(NEXT) | instid1(VALU_DEP_2)
	v_pk_fma_f16 v46, v88, v59, v46
	v_pk_fma_f16 v47, v89, v59, v47
	global_load_b128 v[86:89], v[106:107], off
	v_lshrrev_b32_e32 v106, 16, v60
	v_lshrrev_b32_e32 v107, 16, v61
	v_pk_fma_f16 v46, v90, v116, v46
	v_pk_fma_f16 v47, v91, v116, v47
	global_load_b128 v[58:61], v[108:109], off
	v_mul_u32_u24_e32 v90, 0x10001, v106
	v_lshrrev_b32_e32 v108, 16, v62
	v_lshrrev_b32_e32 v109, 16, v63
	;; [unrolled: 1-line block ×4, first 2 shown]
	v_pk_fma_f16 v46, v92, v90, v46
	v_pk_fma_f16 v47, v93, v90, v47
	s_clause 0x1
	global_load_b128 v[62:65], v[110:111], off
	global_load_b128 v[90:93], v[112:113], off
	v_mul_u32_u24_e32 v112, 0x10001, v117
	v_mul_u32_u24_e32 v109, 0x10001, v109
	;; [unrolled: 1-line block ×3, first 2 shown]
	v_mov_b32_e32 v110, v48
	v_add_f32_e32 v48, v114, v115
	v_pk_fma_f16 v46, v94, v112, v46
	v_pk_fma_f16 v47, v95, v112, v47
	v_mul_u32_u24_e32 v95, 0x10001, v107
	v_mul_u32_u24_e32 v107, 0x10001, v108
	;; [unrolled: 1-line block ×5, first 2 shown]
	v_pk_fma_f16 v46, v96, v95, v46
	v_pk_fma_f16 v47, v97, v95, v47
	v_mul_u32_u24_e32 v97, 0x10001, v118
	v_lshrrev_b32_e32 v111, 16, v66
	v_and_b32_e32 v66, 0xffff, v66
	v_mul_u32_u24_e32 v106, 0x10001, v106
	v_lshrrev_b32_e32 v94, 16, v67
	v_pk_fma_f16 v46, v98, v97, v46
	v_pk_fma_f16 v47, v99, v97, v47
	v_mul_u32_u24_e32 v66, 0x10001, v66
	v_and_b32_e32 v67, 0xffff, v67
	v_mul_u32_u24_e32 v111, 0x10001, v111
	v_pk_fma_f16 v46, v100, v107, v46
	v_pk_fma_f16 v47, v101, v107, v47
	v_lshrrev_b32_e32 v95, 16, v68
	v_mul_u32_u24_e32 v67, 0x10001, v67
	v_and_b32_e32 v68, 0xffff, v68
	v_pk_fma_f16 v46, v102, v108, v46
	v_pk_fma_f16 v47, v103, v108, v47
	v_mul_u32_u24_e32 v94, 0x10001, v94
	v_lshrrev_b32_e32 v96, 16, v69
	v_mul_u32_u24_e32 v68, 0x10001, v68
	v_pk_fma_f16 v46, v104, v109, v46
	v_pk_fma_f16 v47, v105, v109, v47
	v_and_b32_e32 v69, 0xffff, v69
	v_mul_u32_u24_e32 v95, 0x10001, v95
	v_mul_u32_u24_e32 v96, 0x10001, v96
	v_pk_fma_f16 v46, v54, v112, v46
	v_pk_fma_f16 v47, v55, v112, v47
	v_mul_u32_u24_e32 v69, 0x10001, v69
	s_wait_loadcnt 0x3
	ds_store_b128 v36, v[86:89]
	s_wait_loadcnt 0x2
	ds_store_b128 v38, v[58:61]
	s_wait_loadcnt 0x1
	ds_store_b128 v39, v[62:65]
	s_wait_loadcnt 0x0
	ds_store_b128 v40, v[90:93]
	v_pk_fma_f16 v46, v56, v113, v46
	v_pk_fma_f16 v47, v57, v113, v47
	s_wait_dscnt 0x0
	s_barrier_signal -1
	s_barrier_wait -1
	v_pk_fma_f16 v46, v70, v114, v46
	v_pk_fma_f16 v47, v71, v114, v47
	global_inv scope:SCOPE_SE
	v_pk_fma_f16 v46, v72, v106, v46
	v_pk_fma_f16 v47, v73, v106, v47
	s_delay_alu instid0(VALU_DEP_2) | instskip(NEXT) | instid1(VALU_DEP_2)
	v_pk_fma_f16 v46, v74, v66, v46
	v_pk_fma_f16 v47, v75, v66, v47
	s_delay_alu instid0(VALU_DEP_2) | instskip(NEXT) | instid1(VALU_DEP_2)
	;; [unrolled: 3-line block ×8, first 2 shown]
	v_pk_fma_f16 v46, v84, v96, v46
	v_pk_fma_f16 v47, v85, v96, v47
	ds_load_b128 v[50:53], v35 offset:64
	ds_load_2addr_b64 v[54:57], v0 offset1:32
	ds_load_b128 v[58:61], v35 offset:80
	ds_load_b128 v[62:65], v35 offset:96
	;; [unrolled: 1-line block ×3, first 2 shown]
	ds_load_2addr_b64 v[70:73], v0 offset0:64 offset1:96
	ds_load_2addr_b64 v[74:77], v0 offset0:128 offset1:160
	;; [unrolled: 1-line block ×3, first 2 shown]
	ds_load_2addr_b64 v[82:85], v43 offset1:32
	ds_load_2addr_b64 v[86:89], v43 offset0:64 offset1:96
	ds_load_2addr_b64 v[90:93], v43 offset0:128 offset1:160
	;; [unrolled: 1-line block ×3, first 2 shown]
	ds_load_2addr_b64 v[98:101], v44 offset1:32
	ds_load_2addr_b64 v[102:105], v44 offset0:64 offset1:96
	s_wait_dscnt 0xd
	v_lshrrev_b32_e32 v106, 16, v50
	v_and_b32_e32 v50, 0xffff, v50
	v_and_b32_e32 v111, 0xffff, v51
	v_lshrrev_b32_e32 v107, 16, v51
	s_wait_dscnt 0xb
	v_lshrrev_b32_e32 v114, 16, v58
	v_and_b32_e32 v118, 0xffff, v58
	v_mul_u32_u24_e32 v50, 0x10001, v50
	v_mul_u32_u24_e32 v58, 0x10001, v111
	v_and_b32_e32 v112, 0xffff, v52
	v_lshrrev_b32_e32 v108, 16, v52
	v_and_b32_e32 v113, 0xffff, v53
	v_pk_fma_f16 v46, v54, v50, v46
	v_pk_fma_f16 v47, v55, v50, v47
	v_mul_u32_u24_e32 v54, 0x10001, v106
	s_wait_dscnt 0xa
	v_lshrrev_b32_e32 v106, 16, v62
	v_and_b32_e32 v123, 0xffff, v62
	v_mul_u32_u24_e32 v62, 0x10001, v108
	v_lshrrev_b32_e32 v109, 16, v53
	v_pk_fma_f16 v46, v56, v54, v46
	v_pk_fma_f16 v47, v57, v54, v47
	v_dual_fmac_f32 v48, v110, v49 :: v_dual_and_b32 v119, 0xffff, v59
	v_lshrrev_b32_e32 v115, 16, v59
	s_wait_dscnt 0x8
	v_pk_fma_f16 v46, v70, v58, v46
	v_pk_fma_f16 v47, v71, v58, v47
	v_mul_u32_u24_e32 v58, 0x10001, v107
	v_mul_u32_u24_e32 v70, 0x10001, v113
	v_and_b32_e32 v120, 0xffff, v60
	v_lshrrev_b32_e32 v116, 16, v60
	v_and_b32_e32 v121, 0xffff, v61
	v_pk_fma_f16 v46, v72, v58, v46
	v_pk_fma_f16 v47, v73, v58, v47
	v_mul_u32_u24_e32 v58, 0x10001, v112
	v_lshrrev_b32_e32 v117, 16, v61
	v_mul_u32_u24_e32 v108, 0x10001, v121
	v_mul_u32_u24_e32 v112, 0x10001, v123
	ds_load_2addr_b64 v[50:53], v44 offset0:128 offset1:160
	s_wait_dscnt 0x8
	v_pk_fma_f16 v46, v74, v58, v46
	v_pk_fma_f16 v47, v75, v58, v47
	v_lshrrev_b32_e32 v74, 16, v66
	v_and_b32_e32 v124, 0xffff, v63
	v_mul_u32_u24_e32 v106, 0x10001, v106
	v_pk_fma_f16 v46, v76, v62, v46
	v_pk_fma_f16 v47, v77, v62, v47
	v_lshrrev_b32_e32 v111, 16, v63
	v_mul_u32_u24_e32 v113, 0x10001, v124
	ds_load_2addr_b64 v[54:57], v44 offset0:192 offset1:224
	s_wait_dscnt 0x8
	v_pk_fma_f16 v46, v78, v70, v46
	v_pk_fma_f16 v47, v79, v70, v47
	v_mul_u32_u24_e32 v70, 0x10001, v109
	v_and_b32_e32 v78, 0xffff, v66
	v_mul_u32_u24_e32 v66, 0x10001, v118
	v_mul_u32_u24_e32 v109, 0x10001, v117
	v_and_b32_e32 v125, 0xffff, v64
	v_pk_fma_f16 v46, v80, v70, v46
	v_pk_fma_f16 v47, v81, v70, v47
	v_mul_u32_u24_e32 v70, 0x10001, v114
	v_mul_u32_u24_e32 v111, 0x10001, v111
	v_lshrrev_b32_e32 v107, 16, v64
	s_wait_dscnt 0x7
	v_pk_fma_f16 v46, v82, v66, v46
	v_pk_fma_f16 v47, v83, v66, v47
	v_mul_u32_u24_e32 v82, 0x10001, v119
	v_mul_u32_u24_e32 v83, 0x10001, v115
	;; [unrolled: 1-line block ×3, first 2 shown]
	v_pk_fma_f16 v46, v84, v70, v46
	v_pk_fma_f16 v47, v85, v70, v47
	v_mul_u32_u24_e32 v84, 0x10001, v120
	v_mul_u32_u24_e32 v85, 0x10001, v116
	v_and_b32_e32 v126, 0xffff, v65
	s_wait_dscnt 0x6
	v_pk_fma_f16 v46, v86, v82, v46
	v_pk_fma_f16 v47, v87, v82, v47
	ds_load_2addr_b64 v[58:61], v45 offset1:32
	v_mul_u32_u24_e32 v107, 0x10001, v107
	v_lshrrev_b32_e32 v122, 16, v65
	v_pk_fma_f16 v46, v88, v83, v46
	v_pk_fma_f16 v47, v89, v83, v47
	v_mul_u32_u24_e32 v115, 0x10001, v126
	ds_load_2addr_b64 v[62:65], v45 offset0:64 offset1:96
	v_mul_u32_u24_e32 v116, 0x10001, v122
	s_wait_dscnt 0x7
	v_pk_fma_f16 v46, v90, v84, v46
	v_pk_fma_f16 v47, v91, v84, v47
	v_mul_u32_u24_e32 v78, 0x10001, v78
	v_lshrrev_b32_e32 v75, 16, v67
	v_lshrrev_b32_e32 v76, 16, v68
	v_pk_fma_f16 v46, v92, v85, v46
	v_pk_fma_f16 v47, v93, v85, v47
	v_lshrrev_b32_e32 v77, 16, v69
	v_and_b32_e32 v79, 0xffff, v67
	v_and_b32_e32 v80, 0xffff, v68
	s_wait_dscnt 0x6
	v_pk_fma_f16 v46, v94, v108, v46
	v_pk_fma_f16 v47, v95, v108, v47
	v_and_b32_e32 v81, 0xffff, v69
	ds_load_2addr_b64 v[66:69], v45 offset0:128 offset1:160
	v_mul_u32_u24_e32 v74, 0x10001, v74
	v_pk_fma_f16 v46, v96, v109, v46
	v_pk_fma_f16 v47, v97, v109, v47
	v_mul_u32_u24_e32 v79, 0x10001, v79
	ds_load_2addr_b64 v[70:73], v45 offset0:192 offset1:224
	v_mul_u32_u24_e32 v75, 0x10001, v75
	s_wait_dscnt 0x7
	v_pk_fma_f16 v46, v98, v112, v46
	v_pk_fma_f16 v47, v99, v112, v47
	s_wait_loadcnt_dscnt 0x0
	s_barrier_signal -1
	s_barrier_wait -1
	v_pk_fma_f16 v46, v100, v106, v46
	v_pk_fma_f16 v47, v101, v106, v47
	global_inv scope:SCOPE_SE
	s_load_b32 s2, s[24:25], 0x4
	v_mul_u32_u24_e32 v80, 0x10001, v80
	v_pk_fma_f16 v46, v102, v113, v46
	v_pk_fma_f16 v47, v103, v113, v47
	v_mul_u32_u24_e32 v76, 0x10001, v76
	v_mul_u32_u24_e32 v81, 0x10001, v81
	;; [unrolled: 1-line block ×3, first 2 shown]
	v_pk_fma_f16 v46, v104, v111, v46
	v_pk_fma_f16 v47, v105, v111, v47
	s_delay_alu instid0(VALU_DEP_2) | instskip(NEXT) | instid1(VALU_DEP_2)
	v_pk_fma_f16 v46, v50, v114, v46
	v_pk_fma_f16 v47, v51, v114, v47
	s_delay_alu instid0(VALU_DEP_2) | instskip(NEXT) | instid1(VALU_DEP_2)
	v_pk_fma_f16 v46, v52, v107, v46
	v_pk_fma_f16 v47, v53, v107, v47
	s_wait_kmcnt 0x0
	s_lshl_b32 s2, s2, 6
	s_delay_alu instid0(VALU_DEP_2) | instskip(NEXT) | instid1(VALU_DEP_2)
	v_pk_fma_f16 v46, v54, v115, v46
	v_pk_fma_f16 v47, v55, v115, v47
	s_wait_alu 0xfffe
	s_add_co_i32 s10, s2, s10
	s_wait_alu 0xfffe
	s_cmp_ge_i32 s10, s30
	v_pk_fma_f16 v46, v56, v116, v46
	v_pk_fma_f16 v47, v57, v116, v47
	s_delay_alu instid0(VALU_DEP_2) | instskip(NEXT) | instid1(VALU_DEP_2)
	v_pk_fma_f16 v46, v58, v78, v46
	v_pk_fma_f16 v47, v59, v78, v47
	s_delay_alu instid0(VALU_DEP_2) | instskip(NEXT) | instid1(VALU_DEP_2)
	;; [unrolled: 3-line block ×8, first 2 shown]
	v_pk_fma_f16 v46, v72, v49, v46
	v_pk_fma_f16 v47, v73, v49, v47
	s_cbranch_scc0 .LBB46_9
; %bb.10:
	v_dual_mov_b32 v5, 32 :: v_dual_mov_b32 v6, v24
.LBB46_11:
	s_delay_alu instid0(VALU_DEP_1)
	v_cmp_lt_i32_e32 vcc_lo, v29, v5
	s_cmp_lg_u64 s[12:13], 0
	s_cselect_b32 s2, -1, 0
	s_cmp_eq_u32 s4, 0
	s_wait_alu 0xfffd
	v_cndmask_b32_e32 v0, v6, v29, vcc_lo
	v_cmp_lt_i32_e32 vcc_lo, v28, v5
	s_cselect_b32 s3, -1, 0
	s_wait_alu 0xfffe
	s_and_b32 s2, s3, s2
	s_wait_alu 0xfffd
	v_cndmask_b32_e32 v3, v6, v28, vcc_lo
	v_cmp_lt_i32_e32 vcc_lo, v27, v5
	s_delay_alu instid0(VALU_DEP_2)
	v_lshlrev_b32_e32 v3, 2, v3
	v_lshlrev_b32_e32 v0, 2, v0
	s_wait_alu 0xfffd
	v_cndmask_b32_e32 v4, v6, v27, vcc_lo
	v_cmp_lt_i32_e32 vcc_lo, v26, v5
	ds_bpermute_b32 v0, v0, v48
	v_lshlrev_b32_e32 v4, 2, v4
	s_wait_dscnt 0x0
	v_add_f32_e32 v0, v48, v0
	ds_bpermute_b32 v3, v3, v0
	s_wait_dscnt 0x0
	v_add_f32_e32 v0, v0, v3
	ds_bpermute_b32 v3, v4, v0
	s_wait_alu 0xfffd
	v_cndmask_b32_e32 v4, v6, v26, vcc_lo
	v_cmp_lt_i32_e32 vcc_lo, v25, v5
	s_delay_alu instid0(VALU_DEP_2)
	v_lshlrev_b32_e32 v4, 2, v4
	s_wait_dscnt 0x0
	v_add_f32_e32 v0, v0, v3
	ds_bpermute_b32 v3, v4, v0
	s_wait_alu 0xfffd
	v_cndmask_b32_e32 v4, v6, v25, vcc_lo
	s_wait_alu 0xfffe
	s_and_b32 vcc_lo, exec_lo, s2
	s_delay_alu instid0(VALU_DEP_1)
	v_lshlrev_b32_e32 v4, 2, v4
	s_wait_dscnt 0x0
	v_add_f32_e32 v0, v0, v3
	ds_bpermute_b32 v3, v4, v0
	s_wait_dscnt 0x0
	v_add_f32_e32 v21, v0, v3
	s_wait_alu 0xfffe
	s_cbranch_vccz .LBB46_13
; %bb.12:
	v_add_nc_u32_e32 v3, s33, v22
	s_delay_alu instid0(VALU_DEP_1) | instskip(NEXT) | instid1(VALU_DEP_1)
	v_ashrrev_i32_e32 v4, 31, v3
	v_lshlrev_b64_e32 v[3:4], 2, v[3:4]
	s_delay_alu instid0(VALU_DEP_1) | instskip(SKIP_1) | instid1(VALU_DEP_2)
	v_add_co_u32 v3, vcc_lo, s12, v3
	s_wait_alu 0xfffd
	v_add_co_ci_u32_e64 v4, null, s13, v4, vcc_lo
	global_load_b32 v0, v[3:4], off
	v_max_num_f32_e32 v3, v20, v20
	s_wait_loadcnt 0x0
	v_max_num_f32_e32 v4, v0, v0
	s_delay_alu instid0(VALU_DEP_1) | instskip(NEXT) | instid1(VALU_DEP_1)
	v_max_num_f32_e32 v3, v3, v4
	v_sub_f32_e32 v4, v20, v3
	s_delay_alu instid0(VALU_DEP_1) | instskip(NEXT) | instid1(VALU_DEP_1)
	v_dual_sub_f32 v0, v0, v3 :: v_dual_mul_f32 v5, 0x3fb8aa3b, v4
	v_fma_f32 v6, 0x3fb8aa3b, v4, -v5
	v_rndne_f32_e32 v7, v5
	s_delay_alu instid0(VALU_DEP_3) | instskip(NEXT) | instid1(VALU_DEP_2)
	v_mul_f32_e32 v8, 0x3fb8aa3b, v0
	v_dual_fmac_f32 v6, 0x32a5705f, v4 :: v_dual_sub_f32 v5, v5, v7
	s_delay_alu instid0(VALU_DEP_2) | instskip(SKIP_2) | instid1(VALU_DEP_4)
	v_fma_f32 v9, 0x3fb8aa3b, v0, -v8
	v_rndne_f32_e32 v10, v8
	v_cvt_i32_f32_e32 v7, v7
	v_add_f32_e32 v5, v5, v6
	v_cmp_ngt_f32_e32 vcc_lo, 0xc2ce8ed0, v4
	s_delay_alu instid0(VALU_DEP_4) | instskip(SKIP_1) | instid1(VALU_DEP_4)
	v_dual_sub_f32 v6, v8, v10 :: v_dual_fmac_f32 v9, 0x32a5705f, v0
	v_mov_b32_e32 v20, v3
	v_exp_f32_e32 v5, v5
	s_delay_alu instid0(VALU_DEP_2) | instskip(NEXT) | instid1(VALU_DEP_1)
	v_add_f32_e32 v6, v6, v9
	v_exp_f32_e32 v6, v6
	s_delay_alu instid0(TRANS32_DEP_2) | instskip(SKIP_2) | instid1(VALU_DEP_2)
	v_ldexp_f32 v5, v5, v7
	v_cvt_i32_f32_e32 v7, v10
	s_wait_alu 0xfffd
	v_cndmask_b32_e32 v5, 0, v5, vcc_lo
	v_cmp_nlt_f32_e32 vcc_lo, 0x42b17218, v4
	s_delay_alu instid0(TRANS32_DEP_1) | instid1(VALU_DEP_3)
	v_ldexp_f32 v6, v6, v7
	s_wait_alu 0xfffd
	s_delay_alu instid0(VALU_DEP_3)
	v_cndmask_b32_e32 v4, 0x7f800000, v5, vcc_lo
	v_cmp_ngt_f32_e32 vcc_lo, 0xc2ce8ed0, v0
	s_wait_alu 0xfffd
	v_cndmask_b32_e32 v5, 0, v6, vcc_lo
	v_cmp_nlt_f32_e32 vcc_lo, 0x42b17218, v0
	s_wait_alu 0xfffd
	s_delay_alu instid0(VALU_DEP_2) | instskip(NEXT) | instid1(VALU_DEP_1)
	v_cndmask_b32_e32 v0, 0x7f800000, v5, vcc_lo
	v_fmac_f32_e32 v0, v21, v4
	s_delay_alu instid0(VALU_DEP_1) | instskip(SKIP_1) | instid1(VALU_DEP_1)
	v_mov_b32_e32 v21, v0
	v_cvt_f16_f32_e32 v6, v4
	v_and_b32_e32 v5, 0xffff, v6
	s_delay_alu instid0(VALU_DEP_1) | instskip(NEXT) | instid1(VALU_DEP_1)
	v_mul_u32_u24_e32 v4, 0x10001, v5
	v_pk_mul_f16 v46, v46, v4
	v_pk_mul_f16 v47, v47, v4
.LBB46_13:
	s_mov_b32 s2, exec_lo
	v_cmpx_gt_i32_e64 s22, v1
	s_cbranch_execz .LBB46_16
; %bb.14:
	v_div_scale_f32 v4, null, v21, v21, 1.0
	v_mad_co_u64_u32 v[0:1], null, s28, s22, v[1:2]
	s_load_b32 s1, s[0:1], 0xd4
	v_rcp_f32_e32 v5, v4
	v_div_scale_f32 v6, vcc_lo, 1.0, v21, 1.0
	v_cmp_eq_u32_e64 s0, 0, v2
	v_mul_lo_u32 v0, v0, s23
	s_delay_alu instid0(TRANS32_DEP_1) | instskip(NEXT) | instid1(VALU_DEP_2)
	v_fma_f32 v3, -v4, v5, 1.0
	v_add3_u32 v0, s33, v22, v0
	s_delay_alu instid0(VALU_DEP_2) | instskip(SKIP_2) | instid1(VALU_DEP_1)
	v_fmac_f32_e32 v5, v3, v5
	s_wait_kmcnt 0x0
	s_cmp_lg_u32 s1, 1
	v_mul_f32_e32 v7, v6, v5
	s_delay_alu instid0(VALU_DEP_1) | instskip(NEXT) | instid1(VALU_DEP_1)
	v_fma_f32 v1, -v4, v7, v6
	v_fmac_f32_e32 v7, v1, v5
	v_mad_co_u64_u32 v[0:1], null, s1, v0, s[4:5]
	s_cselect_b32 s1, -1, 0
	s_wait_alu 0xfffe
	s_and_b32 s0, s0, s1
	v_fma_f32 v1, -v4, v7, v6
	v_lshrrev_b32_e32 v6, 16, v46
	v_cvt_f32_f16_e32 v4, v46
	v_lshl_add_u32 v2, v0, 7, v23
	s_wait_alu 0xfffd
	v_div_fmas_f32 v1, v1, v5, v7
	v_lshrrev_b32_e32 v5, 16, v47
	v_cvt_f32_f16_e32 v8, v6
	v_cvt_f32_f16_e32 v7, v47
	s_delay_alu instid0(VALU_DEP_4) | instskip(NEXT) | instid1(VALU_DEP_4)
	v_div_fixup_f32 v6, v1, v21, 1.0
	v_cvt_f32_f16_e32 v9, v5
	s_delay_alu instid0(VALU_DEP_2) | instskip(SKIP_1) | instid1(VALU_DEP_1)
	v_cndmask_b32_e64 v10, v6, 1.0, s1
	v_mov_b32_e32 v3, 0
	v_lshlrev_b64_e32 v[1:2], 2, v[2:3]
	s_delay_alu instid0(VALU_DEP_3) | instskip(NEXT) | instid1(VALU_DEP_2)
	v_mul_f32_e32 v3, v10, v7
	v_add_co_u32 v5, vcc_lo, s16, v1
	s_wait_alu 0xfffd
	s_delay_alu instid0(VALU_DEP_3)
	v_add_co_ci_u32_e64 v6, null, s17, v2, vcc_lo
	v_mul_f32_e32 v1, v10, v4
	v_mul_f32_e32 v2, v10, v8
	;; [unrolled: 1-line block ×3, first 2 shown]
	global_store_b128 v[5:6], v[1:4], off
	s_wait_alu 0xfffe
	s_and_b32 exec_lo, exec_lo, s0
	s_cbranch_execz .LBB46_16
; %bb.15:
	v_ashrrev_i32_e32 v1, 31, v0
	s_delay_alu instid0(VALU_DEP_1) | instskip(NEXT) | instid1(VALU_DEP_1)
	v_lshlrev_b64_e32 v[0:1], 3, v[0:1]
	v_add_co_u32 v0, vcc_lo, s18, v0
	s_wait_alu 0xfffd
	s_delay_alu instid0(VALU_DEP_2)
	v_add_co_ci_u32_e64 v1, null, s19, v1, vcc_lo
	global_store_b64 v[0:1], v[20:21], off
.LBB46_16:
	s_nop 0
	s_sendmsg sendmsg(MSG_DEALLOC_VGPRS)
	s_endpgm
	.section	.rodata,"a",@progbits
	.p2align	6, 0x0
	.amdhsa_kernel _ZL15flash_attn_tileILi128ELi128ELi2ELi2ELb0EEvPKcS1_S1_S1_S1_PKiPfP15HIP_vector_typeIfLj2EEffffjfiS5_IjLj3EEiiiiiiiiiiiliiliiiiil
		.amdhsa_group_segment_fixed_size 10752
		.amdhsa_private_segment_fixed_size 0
		.amdhsa_kernarg_size 464
		.amdhsa_user_sgpr_count 2
		.amdhsa_user_sgpr_dispatch_ptr 0
		.amdhsa_user_sgpr_queue_ptr 0
		.amdhsa_user_sgpr_kernarg_segment_ptr 1
		.amdhsa_user_sgpr_dispatch_id 0
		.amdhsa_user_sgpr_private_segment_size 0
		.amdhsa_wavefront_size32 1
		.amdhsa_uses_dynamic_stack 0
		.amdhsa_enable_private_segment 0
		.amdhsa_system_sgpr_workgroup_id_x 1
		.amdhsa_system_sgpr_workgroup_id_y 1
		.amdhsa_system_sgpr_workgroup_id_z 1
		.amdhsa_system_sgpr_workgroup_info 0
		.amdhsa_system_vgpr_workitem_id 1
		.amdhsa_next_free_vgpr 127
		.amdhsa_next_free_sgpr 42
		.amdhsa_reserve_vcc 1
		.amdhsa_float_round_mode_32 0
		.amdhsa_float_round_mode_16_64 0
		.amdhsa_float_denorm_mode_32 3
		.amdhsa_float_denorm_mode_16_64 3
		.amdhsa_fp16_overflow 0
		.amdhsa_workgroup_processor_mode 1
		.amdhsa_memory_ordered 1
		.amdhsa_forward_progress 1
		.amdhsa_inst_pref_size 59
		.amdhsa_round_robin_scheduling 0
		.amdhsa_exception_fp_ieee_invalid_op 0
		.amdhsa_exception_fp_denorm_src 0
		.amdhsa_exception_fp_ieee_div_zero 0
		.amdhsa_exception_fp_ieee_overflow 0
		.amdhsa_exception_fp_ieee_underflow 0
		.amdhsa_exception_fp_ieee_inexact 0
		.amdhsa_exception_int_div_zero 0
	.end_amdhsa_kernel
	.section	.text._ZL15flash_attn_tileILi128ELi128ELi2ELi2ELb0EEvPKcS1_S1_S1_S1_PKiPfP15HIP_vector_typeIfLj2EEffffjfiS5_IjLj3EEiiiiiiiiiiiliiliiiiil,"axG",@progbits,_ZL15flash_attn_tileILi128ELi128ELi2ELi2ELb0EEvPKcS1_S1_S1_S1_PKiPfP15HIP_vector_typeIfLj2EEffffjfiS5_IjLj3EEiiiiiiiiiiiliiliiiiil,comdat
.Lfunc_end46:
	.size	_ZL15flash_attn_tileILi128ELi128ELi2ELi2ELb0EEvPKcS1_S1_S1_S1_PKiPfP15HIP_vector_typeIfLj2EEffffjfiS5_IjLj3EEiiiiiiiiiiiliiliiiiil, .Lfunc_end46-_ZL15flash_attn_tileILi128ELi128ELi2ELi2ELb0EEvPKcS1_S1_S1_S1_PKiPfP15HIP_vector_typeIfLj2EEffffjfiS5_IjLj3EEiiiiiiiiiiiliiliiiiil
                                        ; -- End function
	.set _ZL15flash_attn_tileILi128ELi128ELi2ELi2ELb0EEvPKcS1_S1_S1_S1_PKiPfP15HIP_vector_typeIfLj2EEffffjfiS5_IjLj3EEiiiiiiiiiiiliiliiiiil.num_vgpr, 127
	.set _ZL15flash_attn_tileILi128ELi128ELi2ELi2ELb0EEvPKcS1_S1_S1_S1_PKiPfP15HIP_vector_typeIfLj2EEffffjfiS5_IjLj3EEiiiiiiiiiiiliiliiiiil.num_agpr, 0
	.set _ZL15flash_attn_tileILi128ELi128ELi2ELi2ELb0EEvPKcS1_S1_S1_S1_PKiPfP15HIP_vector_typeIfLj2EEffffjfiS5_IjLj3EEiiiiiiiiiiiliiliiiiil.numbered_sgpr, 42
	.set _ZL15flash_attn_tileILi128ELi128ELi2ELi2ELb0EEvPKcS1_S1_S1_S1_PKiPfP15HIP_vector_typeIfLj2EEffffjfiS5_IjLj3EEiiiiiiiiiiiliiliiiiil.num_named_barrier, 0
	.set _ZL15flash_attn_tileILi128ELi128ELi2ELi2ELb0EEvPKcS1_S1_S1_S1_PKiPfP15HIP_vector_typeIfLj2EEffffjfiS5_IjLj3EEiiiiiiiiiiiliiliiiiil.private_seg_size, 0
	.set _ZL15flash_attn_tileILi128ELi128ELi2ELi2ELb0EEvPKcS1_S1_S1_S1_PKiPfP15HIP_vector_typeIfLj2EEffffjfiS5_IjLj3EEiiiiiiiiiiiliiliiiiil.uses_vcc, 1
	.set _ZL15flash_attn_tileILi128ELi128ELi2ELi2ELb0EEvPKcS1_S1_S1_S1_PKiPfP15HIP_vector_typeIfLj2EEffffjfiS5_IjLj3EEiiiiiiiiiiiliiliiiiil.uses_flat_scratch, 0
	.set _ZL15flash_attn_tileILi128ELi128ELi2ELi2ELb0EEvPKcS1_S1_S1_S1_PKiPfP15HIP_vector_typeIfLj2EEffffjfiS5_IjLj3EEiiiiiiiiiiiliiliiiiil.has_dyn_sized_stack, 0
	.set _ZL15flash_attn_tileILi128ELi128ELi2ELi2ELb0EEvPKcS1_S1_S1_S1_PKiPfP15HIP_vector_typeIfLj2EEffffjfiS5_IjLj3EEiiiiiiiiiiiliiliiiiil.has_recursion, 0
	.set _ZL15flash_attn_tileILi128ELi128ELi2ELi2ELb0EEvPKcS1_S1_S1_S1_PKiPfP15HIP_vector_typeIfLj2EEffffjfiS5_IjLj3EEiiiiiiiiiiiliiliiiiil.has_indirect_call, 0
	.section	.AMDGPU.csdata,"",@progbits
; Kernel info:
; codeLenInByte = 7536
; TotalNumSgprs: 44
; NumVgprs: 127
; ScratchSize: 0
; MemoryBound: 0
; FloatMode: 240
; IeeeMode: 1
; LDSByteSize: 10752 bytes/workgroup (compile time only)
; SGPRBlocks: 0
; VGPRBlocks: 15
; NumSGPRsForWavesPerEU: 44
; NumVGPRsForWavesPerEU: 127
; Occupancy: 10
; WaveLimiterHint : 1
; COMPUTE_PGM_RSRC2:SCRATCH_EN: 0
; COMPUTE_PGM_RSRC2:USER_SGPR: 2
; COMPUTE_PGM_RSRC2:TRAP_HANDLER: 0
; COMPUTE_PGM_RSRC2:TGID_X_EN: 1
; COMPUTE_PGM_RSRC2:TGID_Y_EN: 1
; COMPUTE_PGM_RSRC2:TGID_Z_EN: 1
; COMPUTE_PGM_RSRC2:TIDIG_COMP_CNT: 1
	.section	.text._ZL33flash_attn_stream_k_fixup_uniformILi128ELi2ELi2EEvPfPK15HIP_vector_typeIfLj2EEiiiiiiS1_IjLj3EES5_S5_,"axG",@progbits,_ZL33flash_attn_stream_k_fixup_uniformILi128ELi2ELi2EEvPfPK15HIP_vector_typeIfLj2EEiiiiiiS1_IjLj3EES5_S5_,comdat
	.globl	_ZL33flash_attn_stream_k_fixup_uniformILi128ELi2ELi2EEvPfPK15HIP_vector_typeIfLj2EEiiiiiiS1_IjLj3EES5_S5_ ; -- Begin function _ZL33flash_attn_stream_k_fixup_uniformILi128ELi2ELi2EEvPfPK15HIP_vector_typeIfLj2EEiiiiiiS1_IjLj3EES5_S5_
	.p2align	8
	.type	_ZL33flash_attn_stream_k_fixup_uniformILi128ELi2ELi2EEvPfPK15HIP_vector_typeIfLj2EEiiiiiiS1_IjLj3EES5_S5_,@function
_ZL33flash_attn_stream_k_fixup_uniformILi128ELi2ELi2EEvPfPK15HIP_vector_typeIfLj2EEiiiiiiS1_IjLj3EES5_S5_: ; @_ZL33flash_attn_stream_k_fixup_uniformILi128ELi2ELi2EEvPfPK15HIP_vector_typeIfLj2EEiiiiiiS1_IjLj3EES5_S5_
; %bb.0:
	s_clause 0x1
	s_load_b256 s[4:11], s[0:1], 0x1c
	s_load_b128 s[12:15], s[0:1], 0x3c
	s_wait_kmcnt 0x0
	s_mul_hi_u32 s2, s7, ttmp9
	s_delay_alu instid0(SALU_CYCLE_1) | instskip(NEXT) | instid1(SALU_CYCLE_1)
	s_add_co_i32 s2, ttmp9, s2
	s_lshr_b32 s2, s2, s8
	s_delay_alu instid0(SALU_CYCLE_1) | instskip(SKIP_2) | instid1(SALU_CYCLE_1)
	s_mul_i32 s3, s2, s9
	s_load_b64 s[8:9], s[0:1], 0x10
	s_sub_co_i32 s7, ttmp9, s3
	s_mul_hi_u32 s3, s7, s10
	s_delay_alu instid0(SALU_CYCLE_1) | instskip(NEXT) | instid1(SALU_CYCLE_1)
	s_add_co_i32 s3, s7, s3
	s_lshr_b32 s3, s3, s11
	s_delay_alu instid0(SALU_CYCLE_1) | instskip(NEXT) | instid1(SALU_CYCLE_1)
	s_mul_i32 s10, s3, s12
	s_sub_co_i32 s7, s7, s10
	s_delay_alu instid0(SALU_CYCLE_1) | instskip(NEXT) | instid1(SALU_CYCLE_1)
	s_mul_hi_u32 s10, s7, s13
	s_add_co_i32 s10, s7, s10
	s_delay_alu instid0(SALU_CYCLE_1) | instskip(NEXT) | instid1(SALU_CYCLE_1)
	s_lshr_b32 s12, s10, s14
	s_mul_i32 s10, s12, s15
	s_lshl_b32 s12, s12, 1
	s_sub_co_i32 s11, s7, s10
	s_and_b32 s7, ttmp7, 0xffff
	s_lshl_b32 s13, s11, 1
	s_lshr_b32 s10, ttmp7, 16
	s_add_co_i32 s13, s13, s7
	s_wait_kmcnt 0x0
	s_cmp_lt_i32 s13, s8
	s_cselect_b32 s13, -1, 0
	s_add_co_i32 s14, s12, s10
	s_delay_alu instid0(SALU_CYCLE_1) | instskip(SKIP_1) | instid1(SALU_CYCLE_1)
	s_cmp_lt_i32 s14, s5
	s_cselect_b32 s14, -1, 0
	s_and_b32 s13, s13, s14
	s_delay_alu instid0(SALU_CYCLE_1)
	s_and_not1_b32 vcc_lo, exec_lo, s13
	s_cbranch_vccnz .LBB47_6
; %bb.1:
	s_mul_i32 s2, s2, s8
	s_mul_i32 s5, s3, s5
	s_add_co_i32 s2, s2, s7
	s_delay_alu instid0(SALU_CYCLE_1) | instskip(NEXT) | instid1(SALU_CYCLE_1)
	s_mul_i32 s2, s2, s9
	s_add_co_i32 s8, s2, s10
	s_load_b128 s[0:3], s[0:1], 0x0
	s_add_co_i32 s5, s8, s5
	s_mul_i32 s8, s9, s11
	s_add_co_i32 s5, s5, s12
	s_lshl_b32 s8, s8, 8
	s_lshl_b32 s5, s5, 7
	s_delay_alu instid0(SALU_CYCLE_1)
	s_add_co_i32 s8, s8, s5
	s_lshl_b32 s5, s7, 1
	v_or_b32_e32 v1, s8, v0
	s_mul_i32 s8, s6, ttmp9
	s_wait_alu 0xfffe
	s_add_co_i32 s9, s8, s6
	s_wait_alu 0xfffe
	s_add_co_i32 s12, s9, -2
	v_ashrrev_i32_e32 v2, 31, v1
	s_delay_alu instid0(VALU_DEP_1) | instskip(SKIP_1) | instid1(VALU_DEP_1)
	v_lshlrev_b64_e32 v[1:2], 2, v[1:2]
	s_wait_kmcnt 0x0
	v_add_co_u32 v1, vcc_lo, s0, v1
	s_delay_alu instid0(VALU_DEP_1)
	v_add_co_ci_u32_e64 v2, null, s1, v2, vcc_lo
	s_add_co_i32 s0, s5, s10
	s_lshl_b32 s1, s9, 2
	global_load_b32 v5, v[1:2], off
	s_wait_alu 0xfffe
	s_add_co_i32 s0, s0, s1
	s_wait_alu 0xfffe
	s_add_co_i32 s0, s0, -4
	s_wait_alu 0xfffe
	s_ashr_i32 s1, s0, 31
	s_wait_alu 0xfffe
	s_lshl_b64 s[0:1], s[0:1], 3
	s_cmp_lt_i32 s12, s8
	s_wait_alu 0xfffe
	s_add_nc_u64 s[0:1], s[2:3], s[0:1]
	s_load_b32 s11, s[0:1], 0x4
	s_cbranch_scc1 .LBB47_4
; %bb.2:
	s_load_b32 s0, s[0:1], 0x0
	s_add_co_i32 s13, ttmp9, 1
	s_lshl_b32 s12, s4, 4
	s_mul_i32 s1, s6, s13
	s_lshl_b32 s6, s7, 8
	s_lshl_b32 s7, s10, 7
	s_wait_alu 0xfffe
	s_lshl_b32 s14, s1, 9
	s_add_co_i32 s6, s7, s6
	s_lshl_b32 s1, s1, 2
	s_add_co_i32 s14, s6, s14
	s_wait_alu 0xfffe
	s_add_co_i32 s1, s10, s1
	v_or_b32_e32 v0, s14, v0
	s_lshl_b32 s4, s4, 2
	s_ashr_i32 s13, s12, 31
	s_wait_alu 0xfffe
	s_add_co_i32 s1, s1, s4
	s_wait_kmcnt 0x0
	v_dual_mov_b32 v6, s11 :: v_dual_add_nc_u32 v3, 0xfffffc00, v0
	s_lshl_b64 s[6:7], s[12:13], 2
	s_wait_alu 0xfffe
	s_add_co_i32 s4, s1, s5
	s_add_nc_u64 s[6:7], s[2:3], s[6:7]
	s_add_co_i32 s1, s9, -1
	s_add_co_i32 s4, s4, -8
.LBB47_3:                               ; =>This Inner Loop Header: Depth=1
	v_ashrrev_i32_e32 v4, 31, v3
	s_ashr_i32 s5, s4, 31
	v_mov_b32_e32 v10, v6
	s_lshl_b64 s[10:11], s[4:5], 3
	s_wait_loadcnt 0x0
	v_mov_b32_e32 v9, v5
	v_lshlrev_b64_e32 v[7:8], 2, v[3:4]
	s_wait_alu 0xfffe
	s_add_nc_u64 s[10:11], s[2:3], s[10:11]
	v_max_num_f32_e64 v4, s0, s0
	s_load_b64 s[10:11], s[10:11], 0x0
	v_add_nc_u32_e32 v3, 0xfffffe00, v3
	v_add_co_u32 v7, vcc_lo, s6, v7
	s_wait_alu 0xfffd
	v_add_co_ci_u32_e64 v8, null, s7, v8, vcc_lo
	v_readfirstlane_b32 s5, v4
	global_load_b32 v0, v[7:8], off
	s_wait_kmcnt 0x0
	v_max_num_f32_e64 v4, s10, s10
	s_delay_alu instid0(VALU_DEP_1) | instskip(SKIP_1) | instid1(SALU_CYCLE_3)
	v_readfirstlane_b32 s9, v4
	s_max_num_f32 s5, s5, s9
	s_sub_f32 s0, s0, s5
	s_sub_f32 s9, s10, s5
	s_wait_alu 0xfffe
	s_delay_alu instid0(SALU_CYCLE_1) | instskip(NEXT) | instid1(SALU_CYCLE_1)
	s_mul_f32 s10, s0, 0x3fb8aa3b
	s_mul_f32 s12, s9, 0x3fb8aa3b
	s_wait_alu 0xfffe
	s_delay_alu instid0(SALU_CYCLE_1)
	s_xor_b32 s13, s10, 0x80000000
	s_rndne_f32 s14, s10
	s_fmamk_f32 s13, s0, 0x3fb8aa3b, s13
	s_cmp_nlt_f32 s0, 0xc2ce8ed0
	s_rndne_f32 s15, s12
	s_wait_alu 0xfffe
	s_sub_f32 s10, s10, s14
	s_fmamk_f32 s13, s0, 0x32a5705f, s13
	s_cvt_i32_f32 s14, s14
	s_cselect_b32 vcc_lo, -1, 0
	s_cmp_ngt_f32 s0, 0x42b17218
	s_wait_alu 0xfffe
	s_add_f32 s10, s10, s13
	s_sub_f32 s13, s12, s15
	s_wait_alu 0xfffe
	s_delay_alu instid0(SALU_CYCLE_1) | instskip(SKIP_1) | instid1(TRANS32_DEP_1)
	v_s_exp_f32 s10, s10
	s_wait_alu 0xf1ff
	v_ldexp_f32 v4, s10, s14
	s_cvt_i32_f32 s10, s15
	s_delay_alu instid0(VALU_DEP_1) | instskip(SKIP_3) | instid1(VALU_DEP_1)
	v_cndmask_b32_e32 v4, 0, v4, vcc_lo
	s_cselect_b32 vcc_lo, -1, 0
	s_cmp_ge_f32 s0, 0xc1a00000
	s_wait_alu 0xfffe
	v_cndmask_b32_e32 v4, 0x7f800000, v4, vcc_lo
	s_cselect_b32 vcc_lo, -1, 0
	s_xor_b32 s0, s12, 0x80000000
	s_cmp_nlt_f32 s9, 0xc2ce8ed0
	s_wait_alu 0xfffe
	s_fmamk_f32 s0, s9, 0x3fb8aa3b, s0
	s_wait_alu 0xfffe
	s_delay_alu instid0(SALU_CYCLE_2) | instskip(SKIP_1) | instid1(SALU_CYCLE_2)
	s_fmamk_f32 s0, s9, 0x32a5705f, s0
	s_wait_alu 0xfffe
	s_add_f32 s0, s13, s0
	s_wait_alu 0xfffe
	s_delay_alu instid0(SALU_CYCLE_2) | instskip(SKIP_1) | instid1(TRANS32_DEP_1)
	v_s_exp_f32 s0, s0
	s_wait_alu 0xf1ff
	v_ldexp_f32 v7, s0, s10
	s_cselect_b32 s0, -1, 0
	s_cmp_ngt_f32 s9, 0x42b17218
	s_wait_alu 0xfffe
	s_delay_alu instid0(VALU_DEP_1) | instskip(SKIP_3) | instid1(VALU_DEP_1)
	v_cndmask_b32_e64 v7, 0, v7, s0
	s_cselect_b32 s0, -1, 0
	s_cmp_ge_f32 s9, 0xc1a00000
	s_wait_alu 0xfffe
	v_cndmask_b32_e64 v7, 0x7f800000, v7, s0
	s_cselect_b32 s0, -1, 0
	s_add_co_i32 s1, s1, -1
	s_add_co_i32 s4, s4, -4
	s_wait_alu 0xfffe
	s_cmp_le_i32 s1, s8
	v_cndmask_b32_e64 v7, 0, v7, s0
	s_mov_b32 s0, s5
	s_wait_loadcnt 0x0
	s_delay_alu instid0(VALU_DEP_1) | instskip(NEXT) | instid1(VALU_DEP_1)
	v_dual_mul_f32 v5, v0, v7 :: v_dual_cndmask_b32 v4, 0, v4
	v_dual_mul_f32 v8, s11, v7 :: v_dual_fmac_f32 v5, v9, v4
	s_delay_alu instid0(VALU_DEP_1) | instskip(NEXT) | instid1(VALU_DEP_1)
	v_mov_b32_e32 v6, v8
	v_fmac_f32_e32 v6, v10, v4
	s_cbranch_scc0 .LBB47_3
	s_branch .LBB47_5
.LBB47_4:
	s_wait_kmcnt 0x0
	v_mov_b32_e32 v6, s11
.LBB47_5:
	s_wait_loadcnt 0x0
	s_delay_alu instid0(VALU_DEP_1) | instskip(NEXT) | instid1(VALU_DEP_1)
	v_div_scale_f32 v0, null, v6, v6, v5
	v_rcp_f32_e32 v3, v0
	s_delay_alu instid0(TRANS32_DEP_1) | instskip(NEXT) | instid1(VALU_DEP_1)
	v_fma_f32 v4, -v0, v3, 1.0
	v_fmac_f32_e32 v3, v4, v3
	v_div_scale_f32 v4, vcc_lo, v5, v6, v5
	s_delay_alu instid0(VALU_DEP_1) | instskip(NEXT) | instid1(VALU_DEP_1)
	v_mul_f32_e32 v7, v4, v3
	v_fma_f32 v8, -v0, v7, v4
	s_delay_alu instid0(VALU_DEP_1) | instskip(NEXT) | instid1(VALU_DEP_1)
	v_fmac_f32_e32 v7, v8, v3
	v_fma_f32 v0, -v0, v7, v4
	s_wait_alu 0xfffd
	s_delay_alu instid0(VALU_DEP_1) | instskip(NEXT) | instid1(VALU_DEP_1)
	v_div_fmas_f32 v0, v0, v3, v7
	v_div_fixup_f32 v0, v0, v6, v5
	global_store_b32 v[1:2], v0, off
.LBB47_6:
	s_endpgm
	.section	.rodata,"a",@progbits
	.p2align	6, 0x0
	.amdhsa_kernel _ZL33flash_attn_stream_k_fixup_uniformILi128ELi2ELi2EEvPfPK15HIP_vector_typeIfLj2EEiiiiiiS1_IjLj3EES5_S5_
		.amdhsa_group_segment_fixed_size 0
		.amdhsa_private_segment_fixed_size 0
		.amdhsa_kernarg_size 76
		.amdhsa_user_sgpr_count 2
		.amdhsa_user_sgpr_dispatch_ptr 0
		.amdhsa_user_sgpr_queue_ptr 0
		.amdhsa_user_sgpr_kernarg_segment_ptr 1
		.amdhsa_user_sgpr_dispatch_id 0
		.amdhsa_user_sgpr_private_segment_size 0
		.amdhsa_wavefront_size32 1
		.amdhsa_uses_dynamic_stack 0
		.amdhsa_enable_private_segment 0
		.amdhsa_system_sgpr_workgroup_id_x 1
		.amdhsa_system_sgpr_workgroup_id_y 1
		.amdhsa_system_sgpr_workgroup_id_z 1
		.amdhsa_system_sgpr_workgroup_info 0
		.amdhsa_system_vgpr_workitem_id 0
		.amdhsa_next_free_vgpr 11
		.amdhsa_next_free_sgpr 16
		.amdhsa_reserve_vcc 1
		.amdhsa_float_round_mode_32 0
		.amdhsa_float_round_mode_16_64 0
		.amdhsa_float_denorm_mode_32 3
		.amdhsa_float_denorm_mode_16_64 3
		.amdhsa_fp16_overflow 0
		.amdhsa_workgroup_processor_mode 1
		.amdhsa_memory_ordered 1
		.amdhsa_forward_progress 1
		.amdhsa_inst_pref_size 9
		.amdhsa_round_robin_scheduling 0
		.amdhsa_exception_fp_ieee_invalid_op 0
		.amdhsa_exception_fp_denorm_src 0
		.amdhsa_exception_fp_ieee_div_zero 0
		.amdhsa_exception_fp_ieee_overflow 0
		.amdhsa_exception_fp_ieee_underflow 0
		.amdhsa_exception_fp_ieee_inexact 0
		.amdhsa_exception_int_div_zero 0
	.end_amdhsa_kernel
	.section	.text._ZL33flash_attn_stream_k_fixup_uniformILi128ELi2ELi2EEvPfPK15HIP_vector_typeIfLj2EEiiiiiiS1_IjLj3EES5_S5_,"axG",@progbits,_ZL33flash_attn_stream_k_fixup_uniformILi128ELi2ELi2EEvPfPK15HIP_vector_typeIfLj2EEiiiiiiS1_IjLj3EES5_S5_,comdat
.Lfunc_end47:
	.size	_ZL33flash_attn_stream_k_fixup_uniformILi128ELi2ELi2EEvPfPK15HIP_vector_typeIfLj2EEiiiiiiS1_IjLj3EES5_S5_, .Lfunc_end47-_ZL33flash_attn_stream_k_fixup_uniformILi128ELi2ELi2EEvPfPK15HIP_vector_typeIfLj2EEiiiiiiS1_IjLj3EES5_S5_
                                        ; -- End function
	.set _ZL33flash_attn_stream_k_fixup_uniformILi128ELi2ELi2EEvPfPK15HIP_vector_typeIfLj2EEiiiiiiS1_IjLj3EES5_S5_.num_vgpr, 11
	.set _ZL33flash_attn_stream_k_fixup_uniformILi128ELi2ELi2EEvPfPK15HIP_vector_typeIfLj2EEiiiiiiS1_IjLj3EES5_S5_.num_agpr, 0
	.set _ZL33flash_attn_stream_k_fixup_uniformILi128ELi2ELi2EEvPfPK15HIP_vector_typeIfLj2EEiiiiiiS1_IjLj3EES5_S5_.numbered_sgpr, 16
	.set _ZL33flash_attn_stream_k_fixup_uniformILi128ELi2ELi2EEvPfPK15HIP_vector_typeIfLj2EEiiiiiiS1_IjLj3EES5_S5_.num_named_barrier, 0
	.set _ZL33flash_attn_stream_k_fixup_uniformILi128ELi2ELi2EEvPfPK15HIP_vector_typeIfLj2EEiiiiiiS1_IjLj3EES5_S5_.private_seg_size, 0
	.set _ZL33flash_attn_stream_k_fixup_uniformILi128ELi2ELi2EEvPfPK15HIP_vector_typeIfLj2EEiiiiiiS1_IjLj3EES5_S5_.uses_vcc, 1
	.set _ZL33flash_attn_stream_k_fixup_uniformILi128ELi2ELi2EEvPfPK15HIP_vector_typeIfLj2EEiiiiiiS1_IjLj3EES5_S5_.uses_flat_scratch, 0
	.set _ZL33flash_attn_stream_k_fixup_uniformILi128ELi2ELi2EEvPfPK15HIP_vector_typeIfLj2EEiiiiiiS1_IjLj3EES5_S5_.has_dyn_sized_stack, 0
	.set _ZL33flash_attn_stream_k_fixup_uniformILi128ELi2ELi2EEvPfPK15HIP_vector_typeIfLj2EEiiiiiiS1_IjLj3EES5_S5_.has_recursion, 0
	.set _ZL33flash_attn_stream_k_fixup_uniformILi128ELi2ELi2EEvPfPK15HIP_vector_typeIfLj2EEiiiiiiS1_IjLj3EES5_S5_.has_indirect_call, 0
	.section	.AMDGPU.csdata,"",@progbits
; Kernel info:
; codeLenInByte = 1140
; TotalNumSgprs: 18
; NumVgprs: 11
; ScratchSize: 0
; MemoryBound: 0
; FloatMode: 240
; IeeeMode: 1
; LDSByteSize: 0 bytes/workgroup (compile time only)
; SGPRBlocks: 0
; VGPRBlocks: 1
; NumSGPRsForWavesPerEU: 18
; NumVGPRsForWavesPerEU: 11
; Occupancy: 16
; WaveLimiterHint : 0
; COMPUTE_PGM_RSRC2:SCRATCH_EN: 0
; COMPUTE_PGM_RSRC2:USER_SGPR: 2
; COMPUTE_PGM_RSRC2:TRAP_HANDLER: 0
; COMPUTE_PGM_RSRC2:TGID_X_EN: 1
; COMPUTE_PGM_RSRC2:TGID_Y_EN: 1
; COMPUTE_PGM_RSRC2:TGID_Z_EN: 1
; COMPUTE_PGM_RSRC2:TIDIG_COMP_CNT: 0
	.section	.text._ZL33flash_attn_stream_k_fixup_generalILi128ELi2ELi2EEvPfPK15HIP_vector_typeIfLj2EEiiiiS1_IjLj3EES5_S5_S5_,"axG",@progbits,_ZL33flash_attn_stream_k_fixup_generalILi128ELi2ELi2EEvPfPK15HIP_vector_typeIfLj2EEiiiiS1_IjLj3EES5_S5_S5_,comdat
	.globl	_ZL33flash_attn_stream_k_fixup_generalILi128ELi2ELi2EEvPfPK15HIP_vector_typeIfLj2EEiiiiS1_IjLj3EES5_S5_S5_ ; -- Begin function _ZL33flash_attn_stream_k_fixup_generalILi128ELi2ELi2EEvPfPK15HIP_vector_typeIfLj2EEiiiiS1_IjLj3EES5_S5_S5_
	.p2align	8
	.type	_ZL33flash_attn_stream_k_fixup_generalILi128ELi2ELi2EEvPfPK15HIP_vector_typeIfLj2EEiiiiS1_IjLj3EES5_S5_S5_,@function
_ZL33flash_attn_stream_k_fixup_generalILi128ELi2ELi2EEvPfPK15HIP_vector_typeIfLj2EEiiiiS1_IjLj3EES5_S5_S5_: ; @_ZL33flash_attn_stream_k_fixup_generalILi128ELi2ELi2EEvPfPK15HIP_vector_typeIfLj2EEiiiiS1_IjLj3EES5_S5_S5_
; %bb.0:
	s_clause 0x1
	s_load_b128 s[4:7], s[0:1], 0x10
	s_load_b32 s16, s[0:1], 0x50
	s_mov_b32 s2, ttmp9
	s_ashr_i32 s3, ttmp9, 31
	s_mov_b32 s17, 0
	s_delay_alu instid0(SALU_CYCLE_1) | instskip(SKIP_3) | instid1(SALU_CYCLE_1)
	s_mov_b32 s8, s17
	s_wait_kmcnt 0x0
	s_ashr_i32 s19, s7, 31
	s_mov_b32 s18, s7
	s_mul_u64 s[2:3], s[18:19], s[2:3]
	s_delay_alu instid0(SALU_CYCLE_1) | instskip(NEXT) | instid1(SALU_CYCLE_1)
	s_mov_b32 s9, s3
	s_cmp_lg_u64 s[8:9], 0
	s_cbranch_scc0 .LBB48_21
; %bb.1:
	s_add_nc_u64 s[8:9], s[16:17], 0
	s_mov_b32 s15, s17
	s_xor_b64 s[8:9], s[8:9], 0
	s_mov_b32 s23, s17
	s_cvt_f32_u32 s7, s8
	s_cvt_f32_u32 s10, s9
	s_sub_nc_u64 s[12:13], 0, s[8:9]
	s_delay_alu instid0(SALU_CYCLE_2) | instskip(NEXT) | instid1(SALU_CYCLE_3)
	s_fmamk_f32 s7, s10, 0x4f800000, s7
	v_s_rcp_f32 s7, s7
	s_delay_alu instid0(TRANS32_DEP_1) | instskip(SKIP_1) | instid1(SALU_CYCLE_2)
	s_mul_f32 s7, s7, 0x5f7ffffc
	s_wait_alu 0xfffe
	s_mul_f32 s10, s7, 0x2f800000
	s_delay_alu instid0(SALU_CYCLE_3) | instskip(NEXT) | instid1(SALU_CYCLE_3)
	s_trunc_f32 s10, s10
	s_fmamk_f32 s7, s10, 0xcf800000, s7
	s_cvt_u32_f32 s11, s10
	s_wait_alu 0xfffe
	s_delay_alu instid0(SALU_CYCLE_1) | instskip(NEXT) | instid1(SALU_CYCLE_3)
	s_cvt_u32_f32 s10, s7
	s_mul_u64 s[20:21], s[12:13], s[10:11]
	s_delay_alu instid0(SALU_CYCLE_1)
	s_mul_hi_u32 s25, s10, s21
	s_mul_i32 s24, s10, s21
	s_mul_hi_u32 s14, s10, s20
	s_mul_i32 s22, s11, s20
	s_add_nc_u64 s[14:15], s[14:15], s[24:25]
	s_mul_hi_u32 s7, s11, s20
	s_mul_hi_u32 s26, s11, s21
	s_add_co_u32 s14, s14, s22
	s_wait_alu 0xfffe
	s_add_co_ci_u32 s22, s15, s7
	s_mul_i32 s20, s11, s21
	s_add_co_ci_u32 s21, s26, 0
	s_delay_alu instid0(SALU_CYCLE_1)
	s_add_nc_u64 s[14:15], s[22:23], s[20:21]
	s_mov_b32 s21, s17
	s_add_co_u32 s10, s10, s14
	s_cselect_b32 s7, -1, 0
	s_wait_alu 0xfffe
	s_cmp_lg_u32 s7, 0
	s_add_co_ci_u32 s11, s11, s15
	s_mov_b32 s15, s17
	s_mul_u64 s[12:13], s[12:13], s[10:11]
	s_delay_alu instid0(SALU_CYCLE_1)
	s_mul_hi_u32 s23, s10, s13
	s_mul_i32 s22, s10, s13
	s_mul_hi_u32 s14, s10, s12
	s_mul_i32 s20, s11, s12
	s_add_nc_u64 s[14:15], s[14:15], s[22:23]
	s_mul_hi_u32 s7, s11, s12
	s_mul_hi_u32 s24, s11, s13
	s_mul_i32 s12, s11, s13
	s_add_co_u32 s13, s14, s20
	s_wait_alu 0xfffe
	s_add_co_ci_u32 s20, s15, s7
	s_add_co_ci_u32 s13, s24, 0
	s_mov_b32 s15, s17
	s_add_nc_u64 s[12:13], s[20:21], s[12:13]
	s_delay_alu instid0(SALU_CYCLE_1) | instskip(SKIP_1) | instid1(SALU_CYCLE_1)
	s_add_co_u32 s7, s10, s12
	s_cselect_b32 s10, -1, 0
	s_cmp_lg_u32 s10, 0
	s_add_co_ci_u32 s20, s11, s13
	s_ashr_i32 s10, s3, 31
	s_delay_alu instid0(SALU_CYCLE_1) | instskip(NEXT) | instid1(SALU_CYCLE_1)
	s_mov_b32 s11, s10
	s_add_nc_u64 s[12:13], s[2:3], s[10:11]
	s_delay_alu instid0(SALU_CYCLE_1) | instskip(NEXT) | instid1(SALU_CYCLE_1)
	s_xor_b64 s[12:13], s[12:13], s[10:11]
	s_mul_hi_u32 s23, s12, s20
	s_mul_i32 s22, s12, s20
	s_wait_alu 0xfffe
	s_mul_hi_u32 s14, s12, s7
	s_mul_hi_u32 s24, s13, s7
	s_mul_i32 s7, s13, s7
	s_add_nc_u64 s[14:15], s[14:15], s[22:23]
	s_mul_hi_u32 s3, s13, s20
	s_wait_alu 0xfffe
	s_add_co_u32 s7, s14, s7
	s_mul_i32 s22, s13, s20
	s_add_co_ci_u32 s20, s15, s24
	s_add_co_ci_u32 s23, s3, 0
	s_delay_alu instid0(SALU_CYCLE_1) | instskip(NEXT) | instid1(SALU_CYCLE_1)
	s_add_nc_u64 s[14:15], s[20:21], s[22:23]
	s_mul_u64 s[20:21], s[8:9], s[14:15]
	s_delay_alu instid0(SALU_CYCLE_1)
	s_sub_co_u32 s3, s12, s20
	s_cselect_b32 s7, -1, 0
	s_sub_co_i32 s12, s13, s21
	s_wait_alu 0xfffe
	s_cmp_lg_u32 s7, 0
	s_sub_co_ci_u32 s12, s12, s9
	s_sub_co_u32 s20, s3, s8
	s_cselect_b32 s22, -1, 0
	s_delay_alu instid0(SALU_CYCLE_1) | instskip(SKIP_2) | instid1(SALU_CYCLE_1)
	s_cmp_lg_u32 s22, 0
	s_add_nc_u64 s[22:23], s[14:15], 1
	s_sub_co_ci_u32 s12, s12, 0
	s_cmp_ge_u32 s12, s9
	s_cselect_b32 s24, -1, 0
	s_cmp_ge_u32 s20, s8
	s_cselect_b32 s20, -1, 0
	s_cmp_eq_u32 s12, s9
	s_cselect_b32 s12, s20, s24
	s_add_nc_u64 s[24:25], s[14:15], 2
	s_cmp_lg_u32 s12, 0
	s_cselect_b32 s12, s24, s22
	s_cselect_b32 s20, s25, s23
	s_cmp_lg_u32 s7, 0
	s_sub_co_ci_u32 s7, s13, s21
	s_wait_alu 0xfffe
	s_cmp_ge_u32 s7, s9
	s_cselect_b32 s13, -1, 0
	s_cmp_ge_u32 s3, s8
	s_cselect_b32 s3, -1, 0
	s_cmp_eq_u32 s7, s9
	s_cselect_b32 s3, s3, s13
	s_delay_alu instid0(SALU_CYCLE_1) | instskip(SKIP_4) | instid1(SALU_CYCLE_1)
	s_cmp_lg_u32 s3, 0
	s_mov_b32 s3, s17
	s_cselect_b32 s9, s20, s15
	s_cselect_b32 s8, s12, s14
	s_xor_b64 s[10:11], s[10:11], 0
	s_xor_b64 s[8:9], s[8:9], s[10:11]
	s_delay_alu instid0(SALU_CYCLE_1)
	s_sub_nc_u64 s[20:21], s[8:9], s[10:11]
	s_and_not1_b32 vcc_lo, exec_lo, s3
	s_cbranch_vccnz .LBB48_3
.LBB48_2:
	v_cvt_f32_u32_e32 v1, s16
	s_sub_co_i32 s7, 0, s16
	s_delay_alu instid0(VALU_DEP_1) | instskip(NEXT) | instid1(TRANS32_DEP_1)
	v_rcp_iflag_f32_e32 v1, v1
	v_mul_f32_e32 v1, 0x4f7ffffe, v1
	s_delay_alu instid0(VALU_DEP_1) | instskip(NEXT) | instid1(VALU_DEP_1)
	v_cvt_u32_f32_e32 v1, v1
	v_readfirstlane_b32 s3, v1
	s_wait_alu 0xfffe
	s_mul_i32 s7, s7, s3
	s_wait_alu 0xfffe
	s_mul_hi_u32 s7, s3, s7
	s_wait_alu 0xfffe
	s_add_co_i32 s3, s3, s7
	s_delay_alu instid0(SALU_CYCLE_1) | instskip(NEXT) | instid1(SALU_CYCLE_1)
	s_mul_hi_u32 s3, s2, s3
	s_mul_i32 s7, s3, s16
	s_wait_alu 0xfffe
	s_sub_co_i32 s2, s2, s7
	s_add_co_i32 s7, s3, 1
	s_sub_co_i32 s8, s2, s16
	s_cmp_ge_u32 s2, s16
	s_wait_alu 0xfffe
	s_cselect_b32 s3, s7, s3
	s_cselect_b32 s2, s8, s2
	s_add_co_i32 s7, s3, 1
	s_cmp_ge_u32 s2, s16
	s_wait_alu 0xfffe
	s_cselect_b32 s20, s7, s3
.LBB48_3:
	s_add_co_i32 s2, ttmp9, 1
	s_mov_b32 s8, 0
	s_ashr_i32 s3, s2, 31
	s_delay_alu instid0(SALU_CYCLE_1) | instskip(NEXT) | instid1(SALU_CYCLE_1)
	s_mul_u64 s[2:3], s[18:19], s[2:3]
	s_mov_b32 s9, s3
	s_delay_alu instid0(SALU_CYCLE_1)
	s_cmp_lg_u64 s[8:9], 0
	s_cbranch_scc0 .LBB48_22
; %bb.4:
	s_add_nc_u64 s[10:11], s[16:17], 0
	s_mov_b32 s23, s8
	s_xor_b64 s[10:11], s[10:11], 0
	s_mov_b32 s27, s8
	s_cvt_f32_u32 s7, s10
	s_cvt_f32_u32 s9, s11
	s_sub_nc_u64 s[14:15], 0, s[10:11]
	s_wait_alu 0xfffe
	s_delay_alu instid0(SALU_CYCLE_1) | instskip(SKIP_1) | instid1(SALU_CYCLE_2)
	s_fmamk_f32 s7, s9, 0x4f800000, s7
	s_wait_alu 0xfffe
	v_s_rcp_f32 s7, s7
	s_delay_alu instid0(TRANS32_DEP_1) | instskip(SKIP_1) | instid1(SALU_CYCLE_2)
	s_mul_f32 s7, s7, 0x5f7ffffc
	s_wait_alu 0xfffe
	s_mul_f32 s9, s7, 0x2f800000
	s_delay_alu instid0(SALU_CYCLE_3) | instskip(NEXT) | instid1(SALU_CYCLE_3)
	s_trunc_f32 s9, s9
	s_fmamk_f32 s7, s9, 0xcf800000, s7
	s_cvt_u32_f32 s13, s9
	s_wait_alu 0xfffe
	s_delay_alu instid0(SALU_CYCLE_1) | instskip(NEXT) | instid1(SALU_CYCLE_3)
	s_cvt_u32_f32 s12, s7
	s_mul_u64 s[24:25], s[14:15], s[12:13]
	s_delay_alu instid0(SALU_CYCLE_1)
	s_mul_hi_u32 s29, s12, s25
	s_mul_i32 s28, s12, s25
	s_mul_hi_u32 s22, s12, s24
	s_mul_i32 s9, s13, s24
	s_add_nc_u64 s[22:23], s[22:23], s[28:29]
	s_mul_hi_u32 s7, s13, s24
	s_mul_hi_u32 s21, s13, s25
	s_add_co_u32 s9, s22, s9
	s_wait_alu 0xfffe
	s_add_co_ci_u32 s26, s23, s7
	s_mul_i32 s24, s13, s25
	s_add_co_ci_u32 s25, s21, 0
	s_delay_alu instid0(SALU_CYCLE_1)
	s_add_nc_u64 s[22:23], s[26:27], s[24:25]
	s_mov_b32 s25, s8
	s_add_co_u32 s12, s12, s22
	s_cselect_b32 s7, -1, 0
	s_wait_alu 0xfffe
	s_cmp_lg_u32 s7, 0
	s_add_co_ci_u32 s13, s13, s23
	s_mov_b32 s23, s8
	s_mul_u64 s[14:15], s[14:15], s[12:13]
	s_delay_alu instid0(SALU_CYCLE_1)
	s_mul_hi_u32 s27, s12, s15
	s_mul_i32 s26, s12, s15
	s_mul_hi_u32 s22, s12, s14
	s_mul_i32 s9, s13, s14
	s_add_nc_u64 s[22:23], s[22:23], s[26:27]
	s_mul_hi_u32 s7, s13, s14
	s_mul_hi_u32 s21, s13, s15
	s_add_co_u32 s9, s22, s9
	s_wait_alu 0xfffe
	s_add_co_ci_u32 s24, s23, s7
	s_mul_i32 s14, s13, s15
	s_add_co_ci_u32 s15, s21, 0
	s_mov_b32 s23, s8
	s_add_nc_u64 s[14:15], s[24:25], s[14:15]
	s_delay_alu instid0(SALU_CYCLE_1) | instskip(SKIP_1) | instid1(SALU_CYCLE_1)
	s_add_co_u32 s7, s12, s14
	s_cselect_b32 s9, -1, 0
	s_cmp_lg_u32 s9, 0
	s_add_co_ci_u32 s9, s13, s15
	s_ashr_i32 s12, s3, 31
	s_delay_alu instid0(SALU_CYCLE_1) | instskip(NEXT) | instid1(SALU_CYCLE_1)
	s_mov_b32 s13, s12
	s_add_nc_u64 s[14:15], s[2:3], s[12:13]
	s_delay_alu instid0(SALU_CYCLE_1) | instskip(NEXT) | instid1(SALU_CYCLE_1)
	s_xor_b64 s[14:15], s[14:15], s[12:13]
	s_mul_hi_u32 s27, s14, s9
	s_mul_i32 s26, s14, s9
	s_wait_alu 0xfffe
	s_mul_hi_u32 s22, s14, s7
	s_mul_hi_u32 s21, s15, s7
	s_mul_i32 s7, s15, s7
	s_add_nc_u64 s[22:23], s[22:23], s[26:27]
	s_mul_hi_u32 s3, s15, s9
	s_wait_alu 0xfffe
	s_add_co_u32 s7, s22, s7
	s_add_co_ci_u32 s24, s23, s21
	s_mul_i32 s26, s15, s9
	s_add_co_ci_u32 s27, s3, 0
	s_delay_alu instid0(SALU_CYCLE_1) | instskip(NEXT) | instid1(SALU_CYCLE_1)
	s_add_nc_u64 s[22:23], s[24:25], s[26:27]
	s_mul_u64 s[24:25], s[10:11], s[22:23]
	s_add_nc_u64 s[26:27], s[22:23], 1
	s_sub_co_u32 s3, s14, s24
	s_cselect_b32 s7, -1, 0
	s_sub_co_i32 s9, s15, s25
	s_wait_alu 0xfffe
	s_cmp_lg_u32 s7, 0
	s_add_nc_u64 s[28:29], s[22:23], 2
	s_sub_co_ci_u32 s9, s9, s11
	s_sub_co_u32 s14, s3, s10
	s_cselect_b32 s21, -1, 0
	s_delay_alu instid0(SALU_CYCLE_1) | instskip(SKIP_1) | instid1(SALU_CYCLE_1)
	s_cmp_lg_u32 s21, 0
	s_sub_co_ci_u32 s9, s9, 0
	s_cmp_ge_u32 s9, s11
	s_cselect_b32 s21, -1, 0
	s_cmp_ge_u32 s14, s10
	s_cselect_b32 s14, -1, 0
	s_cmp_eq_u32 s9, s11
	s_cselect_b32 s9, s14, s21
	s_delay_alu instid0(SALU_CYCLE_1)
	s_cmp_lg_u32 s9, 0
	s_cselect_b32 s9, s28, s26
	s_cselect_b32 s14, s29, s27
	s_cmp_lg_u32 s7, 0
	s_sub_co_ci_u32 s7, s15, s25
	s_wait_alu 0xfffe
	s_cmp_ge_u32 s7, s11
	s_cselect_b32 s15, -1, 0
	s_cmp_ge_u32 s3, s10
	s_cselect_b32 s3, -1, 0
	s_cmp_eq_u32 s7, s11
	s_cselect_b32 s3, s3, s15
	s_delay_alu instid0(SALU_CYCLE_1) | instskip(SKIP_3) | instid1(SALU_CYCLE_1)
	s_cmp_lg_u32 s3, 0
	s_cselect_b32 s11, s14, s23
	s_cselect_b32 s10, s9, s22
	s_xor_b64 s[12:13], s[12:13], 0
	s_xor_b64 s[10:11], s[10:11], s[12:13]
	s_delay_alu instid0(SALU_CYCLE_1)
	s_sub_nc_u64 s[10:11], s[10:11], s[12:13]
	s_load_b96 s[12:14], s[0:1], 0x44
	s_and_not1_b32 vcc_lo, exec_lo, s8
	s_cbranch_vccnz .LBB48_6
.LBB48_5:
	v_cvt_f32_u32_e32 v1, s16
	s_sub_co_i32 s7, 0, s16
	s_delay_alu instid0(VALU_DEP_1) | instskip(NEXT) | instid1(TRANS32_DEP_1)
	v_rcp_iflag_f32_e32 v1, v1
	v_mul_f32_e32 v1, 0x4f7ffffe, v1
	s_delay_alu instid0(VALU_DEP_1) | instskip(NEXT) | instid1(VALU_DEP_1)
	v_cvt_u32_f32_e32 v1, v1
	v_readfirstlane_b32 s3, v1
	s_wait_alu 0xfffe
	s_mul_i32 s7, s7, s3
	s_wait_alu 0xfffe
	s_mul_hi_u32 s7, s3, s7
	s_wait_alu 0xfffe
	s_add_co_i32 s3, s3, s7
	s_delay_alu instid0(SALU_CYCLE_1) | instskip(NEXT) | instid1(SALU_CYCLE_1)
	s_mul_hi_u32 s3, s2, s3
	s_mul_i32 s7, s3, s16
	s_wait_alu 0xfffe
	s_sub_co_i32 s2, s2, s7
	s_add_co_i32 s7, s3, 1
	s_sub_co_i32 s8, s2, s16
	s_cmp_ge_u32 s2, s16
	s_wait_alu 0xfffe
	s_cselect_b32 s3, s7, s3
	s_cselect_b32 s2, s8, s2
	s_add_co_i32 s7, s3, 1
	s_cmp_ge_u32 s2, s16
	s_wait_alu 0xfffe
	s_cselect_b32 s10, s7, s3
.LBB48_6:
	s_mov_b32 s21, 0
	s_wait_kmcnt 0x0
	s_mov_b32 s22, s12
	s_mov_b32 s23, s21
	s_cmp_eq_u32 s20, s10
	s_mul_u64 s[2:3], s[20:21], s[22:23]
	s_cselect_b32 s7, -1, 0
	s_add_co_i32 s2, s3, s20
	s_mov_b32 s11, s21
	s_lshr_b32 s12, s2, s13
	s_mul_u64 s[2:3], s[10:11], s[22:23]
	s_mul_i32 s2, s12, s14
	s_delay_alu instid0(SALU_CYCLE_1) | instskip(SKIP_2) | instid1(SALU_CYCLE_1)
	s_cmp_eq_u32 s2, s20
	s_cselect_b32 s2, -1, 0
	s_add_co_i32 s3, s3, s10
	s_lshr_b32 s3, s3, s13
	s_delay_alu instid0(SALU_CYCLE_1)
	s_cmp_eq_u32 s12, s3
	s_mul_i32 s3, s3, s14
	s_cselect_b32 s8, -1, 0
	s_cmp_lg_u32 s3, s10
	s_cselect_b32 s3, -1, 0
	s_wait_alu 0xfffe
	s_or_b32 s2, s7, s2
	s_and_b32 s3, s8, s3
	s_delay_alu instid0(SALU_CYCLE_1) | instskip(NEXT) | instid1(SALU_CYCLE_1)
	s_or_b32 s2, s2, s3
	s_and_b32 vcc_lo, exec_lo, s2
	s_cbranch_vccnz .LBB48_24
; %bb.7:
	s_load_b256 s[24:31], s[0:1], 0x20
	s_mov_b32 s3, s21
	s_wait_kmcnt 0x0
	s_mov_b32 s2, s24
	s_delay_alu instid0(SALU_CYCLE_1) | instskip(NEXT) | instid1(SALU_CYCLE_1)
	s_mul_u64 s[2:3], s[20:21], s[2:3]
	s_add_co_i32 s2, s3, s20
	s_delay_alu instid0(SALU_CYCLE_1) | instskip(SKIP_2) | instid1(SALU_CYCLE_1)
	s_lshr_b32 s7, s2, s25
	s_load_b32 s2, s[0:1], 0x40
	s_mul_i32 s3, s7, s26
	s_sub_co_i32 s3, s20, s3
	s_delay_alu instid0(SALU_CYCLE_1) | instskip(NEXT) | instid1(SALU_CYCLE_1)
	s_mul_hi_u32 s8, s3, s27
	s_add_co_i32 s8, s3, s8
	s_delay_alu instid0(SALU_CYCLE_1) | instskip(NEXT) | instid1(SALU_CYCLE_1)
	s_lshr_b32 s8, s8, s28
	s_mul_i32 s9, s8, s29
	s_delay_alu instid0(SALU_CYCLE_1) | instskip(NEXT) | instid1(SALU_CYCLE_1)
	s_sub_co_i32 s9, s3, s9
	s_mul_hi_u32 s3, s9, s30
	s_delay_alu instid0(SALU_CYCLE_1) | instskip(NEXT) | instid1(SALU_CYCLE_1)
	s_add_co_i32 s3, s9, s3
	s_lshr_b32 s24, s3, s31
	s_mov_b32 s3, s21
	s_wait_kmcnt 0x0
	s_mul_i32 s2, s24, s2
	s_lshl_b32 s21, s24, 1
	s_sub_co_i32 s2, s9, s2
	s_delay_alu instid0(SALU_CYCLE_1) | instskip(SKIP_2) | instid1(SALU_CYCLE_1)
	s_mul_u64 s[10:11], s[2:3], s[22:23]
	s_lshr_b32 s3, ttmp7, 16
	s_add_co_i32 s2, s2, s11
	s_lshr_b32 s15, s2, s13
	s_and_b32 s2, ttmp7, 0xffff
	s_lshl_b32 s9, s15, 1
	s_delay_alu instid0(SALU_CYCLE_1) | instskip(NEXT) | instid1(SALU_CYCLE_1)
	s_add_co_i32 s9, s9, s2
	s_cmp_lt_i32 s9, s4
	s_cselect_b32 s9, -1, 0
	s_add_co_i32 s10, s21, s3
	s_delay_alu instid0(SALU_CYCLE_1) | instskip(SKIP_1) | instid1(SALU_CYCLE_1)
	s_cmp_lt_i32 s10, s6
	s_cselect_b32 s10, -1, 0
	s_and_b32 s9, s9, s10
	s_delay_alu instid0(SALU_CYCLE_1)
	s_and_not1_b32 vcc_lo, exec_lo, s9
	s_cbranch_vccnz .LBB48_24
; %bb.8:
	s_mul_i32 s4, s7, s4
	s_mul_i32 s6, s8, s6
	s_add_co_i32 s4, s4, s2
	s_load_b128 s[8:11], s[0:1], 0x0
	s_mul_i32 s4, s4, s5
	s_mul_i32 s1, s5, s15
	s_add_co_i32 s4, s4, s3
	s_lshl_b32 s1, s1, 8
	s_add_co_i32 s0, s4, s6
	s_lshl_b32 s15, s2, 1
	s_add_co_i32 s0, s0, s21
	s_add_co_i32 s15, s15, s3
	s_lshl_b32 s0, s0, 7
	v_cvt_f32_u32_e32 v4, s16
	s_add_co_i32 s1, s1, s0
	s_add_co_i32 s34, ttmp9, -1
	v_or_b32_e32 v1, s1, v0
	s_add_nc_u64 s[0:1], s[16:17], 0
	v_rcp_iflag_f32_e32 v4, v4
	s_wait_alu 0xfffe
	s_xor_b64 s[6:7], s[0:1], 0
	s_lshl_b32 s0, ttmp9, 2
	v_ashrrev_i32_e32 v2, 31, v1
	s_wait_alu 0xfffe
	s_cvt_f32_u32 s1, s6
	s_cvt_f32_u32 s2, s7
	s_add_co_i32 s0, s15, s0
	v_lshl_or_b32 v0, s15, 7, v0
	v_lshlrev_b64_e32 v[1:2], 2, v[1:2]
	s_wait_alu 0xfffe
	s_fmamk_f32 s2, s2, 0x4f800000, s1
	s_ashr_i32 s1, s0, 31
	s_sub_nc_u64 s[30:31], 0, s[6:7]
	s_wait_alu 0xfffe
	s_lshl_b64 s[0:1], s[0:1], 3
	v_s_rcp_f32 s2, s2
	s_wait_kmcnt 0x0
	v_add_co_u32 v1, vcc_lo, s8, v1
	s_delay_alu instid0(VALU_DEP_1)
	v_add_co_ci_u32_e64 v2, null, s9, v2, vcc_lo
	s_wait_alu 0xfffe
	s_add_nc_u64 s[0:1], s[10:11], s[0:1]
	s_mov_b32 s8, 0
	s_load_b64 s[26:27], s[0:1], 0x0
	global_load_b32 v3, v[1:2], off
	s_mul_f32 s2, s2, 0x5f7ffffc
	v_mul_f32_e32 v4, 0x4f7ffffe, v4
	s_lshl_b32 s0, s16, 4
	s_wait_alu 0xfffe
	s_mul_f32 s1, s2, 0x2f800000
	s_wait_alu 0xfffe
	s_delay_alu instid0(SALU_CYCLE_2)
	s_trunc_f32 s3, s1
	s_mov_b32 s1, s8
	s_wait_alu 0xfffe
	s_lshl_b64 s[0:1], s[0:1], 2
	s_fmamk_f32 s2, s3, 0xcf800000, s2
	s_cvt_u32_f32 s29, s3
	s_wait_alu 0xfffe
	s_add_nc_u64 s[24:25], s[10:11], s[0:1]
	s_cvt_u32_f32 s28, s2
	s_wait_kmcnt 0x0
	v_mov_b32_e32 v5, s27
	v_cvt_u32_f32_e32 v4, v4
.LBB48_9:                               ; =>This Inner Loop Header: Depth=1
	s_wait_alu 0xfffe
	s_ashr_i32 s35, s34, 31
	s_mov_b32 s2, -1
	s_wait_alu 0xfffe
	s_mul_u64 s[0:1], s[34:35], s[18:19]
                                        ; implicit-def: $sgpr38_sgpr39
	s_wait_alu 0xfffe
	s_mov_b32 s9, s1
	s_wait_alu 0xfffe
	s_cmp_lg_u64 s[8:9], 0
	s_cbranch_scc0 .LBB48_11
; %bb.10:                               ;   in Loop: Header=BB48_9 Depth=1
	s_mul_u64 s[2:3], s[30:31], s[28:29]
	s_mov_b32 s37, s8
	s_wait_alu 0xfffe
	s_mul_hi_u32 s5, s28, s3
	s_mul_i32 s4, s28, s3
	s_mul_hi_u32 s36, s28, s2
	s_mul_hi_u32 s9, s29, s2
	s_wait_alu 0xfffe
	s_add_nc_u64 s[4:5], s[36:37], s[4:5]
	s_mul_i32 s2, s29, s2
	s_mul_hi_u32 s17, s29, s3
	s_wait_alu 0xfffe
	s_add_co_u32 s2, s4, s2
	s_add_co_ci_u32 s2, s5, s9
	s_add_co_ci_u32 s5, s17, 0
	s_mul_i32 s4, s29, s3
	s_mov_b32 s3, s8
	s_mov_b32 s39, s8
	s_wait_alu 0xfffe
	s_add_nc_u64 s[2:3], s[2:3], s[4:5]
	s_wait_alu 0xfffe
	s_add_co_u32 s2, s28, s2
	s_cselect_b32 s4, -1, 0
	s_wait_alu 0xfffe
	s_cmp_lg_u32 s4, 0
	s_add_co_ci_u32 s3, s29, s3
	s_wait_alu 0xfffe
	s_mul_u64 s[4:5], s[30:31], s[2:3]
	s_wait_alu 0xfffe
	s_mul_hi_u32 s37, s2, s5
	s_mul_i32 s36, s2, s5
	s_mul_hi_u32 s38, s2, s4
	s_mul_hi_u32 s9, s3, s4
	s_mul_i32 s4, s3, s4
	s_wait_alu 0xfffe
	s_add_nc_u64 s[36:37], s[38:39], s[36:37]
	s_mul_hi_u32 s17, s3, s5
	s_wait_alu 0xfffe
	s_add_co_u32 s4, s36, s4
	s_add_co_ci_u32 s4, s37, s9
	s_add_co_ci_u32 s37, s17, 0
	s_mul_i32 s36, s3, s5
	s_mov_b32 s5, s8
	s_wait_alu 0xfffe
	s_add_nc_u64 s[4:5], s[4:5], s[36:37]
	s_mov_b32 s37, s8
	s_wait_alu 0xfffe
	s_add_co_u32 s9, s2, s4
	s_cselect_b32 s2, -1, 0
	s_wait_alu 0xfffe
	s_cmp_lg_u32 s2, 0
	s_add_co_ci_u32 s17, s3, s5
	s_ashr_i32 s2, s1, 31
	s_wait_alu 0xfffe
	s_mov_b32 s3, s2
	s_wait_alu 0xfffe
	s_add_nc_u64 s[4:5], s[0:1], s[2:3]
	s_wait_alu 0xfffe
	s_xor_b64 s[4:5], s[4:5], s[2:3]
	s_wait_alu 0xfffe
	s_mul_hi_u32 s39, s4, s17
	s_mul_i32 s38, s4, s17
	s_mul_hi_u32 s36, s4, s9
	s_mul_i32 s21, s5, s9
	s_wait_alu 0xfffe
	s_add_nc_u64 s[36:37], s[36:37], s[38:39]
	s_mul_hi_u32 s9, s5, s9
	s_mul_hi_u32 s1, s5, s17
	s_wait_alu 0xfffe
	s_add_co_u32 s21, s36, s21
	s_add_co_ci_u32 s36, s37, s9
	s_add_co_ci_u32 s39, s1, 0
	s_mul_i32 s38, s5, s17
	s_mov_b32 s37, s8
	s_wait_alu 0xfffe
	s_add_nc_u64 s[36:37], s[36:37], s[38:39]
	s_wait_alu 0xfffe
	s_mul_u64 s[38:39], s[6:7], s[36:37]
	s_add_nc_u64 s[40:41], s[36:37], 1
	s_sub_co_u32 s1, s4, s38
	s_cselect_b32 s4, -1, 0
	s_sub_co_i32 s9, s5, s39
	s_wait_alu 0xfffe
	s_cmp_lg_u32 s4, 0
	s_add_nc_u64 s[42:43], s[36:37], 2
	s_sub_co_ci_u32 s9, s9, s7
	s_sub_co_u32 s17, s1, s6
	s_cselect_b32 s21, -1, 0
	s_delay_alu instid0(SALU_CYCLE_1)
	s_cmp_lg_u32 s21, 0
	s_wait_alu 0xfffe
	s_sub_co_ci_u32 s9, s9, 0
	s_wait_alu 0xfffe
	s_cmp_ge_u32 s9, s7
	s_cselect_b32 s21, -1, 0
	s_cmp_ge_u32 s17, s6
	s_cselect_b32 s17, -1, 0
	s_cmp_eq_u32 s9, s7
	s_wait_alu 0xfffe
	s_cselect_b32 s9, s17, s21
	s_wait_alu 0xfffe
	s_cmp_lg_u32 s9, 0
	s_cselect_b32 s9, s42, s40
	s_cselect_b32 s17, s43, s41
	s_cmp_lg_u32 s4, 0
	s_sub_co_ci_u32 s4, s5, s39
	s_wait_alu 0xfffe
	s_cmp_ge_u32 s4, s7
	s_cselect_b32 s5, -1, 0
	s_cmp_ge_u32 s1, s6
	s_cselect_b32 s1, -1, 0
	s_cmp_eq_u32 s4, s7
	s_wait_alu 0xfffe
	s_cselect_b32 s1, s1, s5
	s_wait_alu 0xfffe
	s_cmp_lg_u32 s1, 0
	s_cselect_b32 s5, s17, s37
	s_cselect_b32 s4, s9, s36
	s_xor_b64 s[2:3], s[2:3], 0
	s_wait_alu 0xfffe
	s_xor_b64 s[4:5], s[4:5], s[2:3]
	s_wait_alu 0xfffe
	s_sub_nc_u64 s[38:39], s[4:5], s[2:3]
	s_mov_b32 s2, 0
.LBB48_11:                              ;   in Loop: Header=BB48_9 Depth=1
	s_wait_alu 0xfffe
	s_and_not1_b32 vcc_lo, exec_lo, s2
	s_wait_alu 0xfffe
	s_cbranch_vccnz .LBB48_13
; %bb.12:                               ;   in Loop: Header=BB48_9 Depth=1
	v_readfirstlane_b32 s1, v4
	s_sub_co_i32 s2, 0, s16
	s_wait_alu 0xfffe
	s_mul_i32 s2, s2, s1
	s_wait_alu 0xfffe
	s_mul_hi_u32 s2, s1, s2
	s_wait_alu 0xfffe
	s_add_co_i32 s1, s1, s2
	s_wait_alu 0xfffe
	s_mul_hi_u32 s1, s0, s1
	s_wait_alu 0xfffe
	s_mul_i32 s2, s1, s16
	s_wait_alu 0xfffe
	s_sub_co_i32 s0, s0, s2
	s_add_co_i32 s2, s1, 1
	s_wait_alu 0xfffe
	s_sub_co_i32 s3, s0, s16
	s_cmp_ge_u32 s0, s16
	s_cselect_b32 s1, s2, s1
	s_wait_alu 0xfffe
	s_cselect_b32 s0, s3, s0
	s_add_co_i32 s2, s1, 1
	s_wait_alu 0xfffe
	s_cmp_ge_u32 s0, s16
	s_cselect_b32 s38, s2, s1
.LBB48_13:                              ;   in Loop: Header=BB48_9 Depth=1
	v_readfirstlane_b32 s9, v0
	s_cmp_lg_u32 s20, s38
	s_mov_b32 s0, -1
                                        ; implicit-def: $sgpr21
                                        ; implicit-def: $vgpr6
                                        ; implicit-def: $vgpr7
                                        ; implicit-def: $sgpr17
                                        ; implicit-def: $sgpr27
	s_cbranch_scc1 .LBB48_16
; %bb.14:                               ;   in Loop: Header=BB48_9 Depth=1
	s_wait_alu 0xfffe
	s_and_not1_b32 vcc_lo, exec_lo, s0
	s_wait_alu 0xfffe
	s_cbranch_vccz .LBB48_19
.LBB48_15:                              ;   in Loop: Header=BB48_9 Depth=1
	s_and_not1_b32 vcc_lo, exec_lo, s21
	s_wait_alu 0xfffe
	s_cbranch_vccnz .LBB48_20
	s_branch .LBB48_23
.LBB48_16:                              ;   in Loop: Header=BB48_9 Depth=1
	s_add_co_i32 s0, s34, s16
	s_mov_b32 s1, s8
	s_wait_alu 0xfffe
	s_lshl_b32 s0, s0, 2
	v_max_num_f32_e64 v6, s26, s26
	s_wait_alu 0xfffe
	s_add_co_i32 s0, s0, s15
	s_mov_b32 s39, s8
	s_wait_alu 0xfffe
	s_lshl_b64 s[0:1], s[0:1], 3
	s_mul_u64 s[40:41], s[38:39], s[22:23]
	s_wait_alu 0xfffe
	s_add_nc_u64 s[0:1], s[10:11], s[0:1]
	s_mov_b32 s27, s20
	s_load_b64 s[36:37], s[0:1], 0x0
	v_readfirstlane_b32 s0, v6
	s_wait_kmcnt 0x0
	v_max_num_f32_e64 v7, s36, s36
	s_delay_alu instid0(VALU_DEP_1) | instskip(SKIP_2) | instid1(SALU_CYCLE_2)
	v_readfirstlane_b32 s1, v7
	s_max_num_f32 s9, s0, s1
	s_wait_alu 0xfffe
	s_sub_f32 s33, s26, s9
	s_sub_f32 s35, s36, s9
	s_wait_alu 0xfffe
	s_delay_alu instid0(SALU_CYCLE_1)
	s_cmp_nlt_f32 s33, 0xc2ce8ed0
	s_cselect_b32 s0, -1, 0
	s_cmp_ngt_f32 s33, 0x42b17218
	s_cselect_b32 s1, -1, 0
	s_cmp_ge_f32 s33, 0xc1a00000
	s_cselect_b32 s2, -1, 0
	s_cmp_nlt_f32 s35, 0xc2ce8ed0
	s_cselect_b32 s3, -1, 0
	s_cmp_ngt_f32 s35, 0x42b17218
	s_cselect_b32 s4, -1, 0
	s_cmp_ge_f32 s35, 0xc1a00000
	s_cselect_b32 s5, -1, 0
	s_add_co_i32 s17, s41, s38
	s_wait_alu 0xfffe
	s_lshr_b32 s17, s17, s13
	s_wait_alu 0xfffe
	s_mul_i32 s21, s17, s14
	s_delay_alu instid0(SALU_CYCLE_1)
	s_cmp_eq_u32 s21, s38
	s_cselect_b32 s21, -1, 0
	s_cmp_lt_u32 s17, s12
	s_cselect_b32 s17, -1, 0
	s_wait_alu 0xfffe
	s_or_b32 s17, s17, s21
	s_mov_b32 s21, -1
	s_wait_alu 0xfffe
	s_and_b32 vcc_lo, exec_lo, s17
	s_mov_b32 s17, s34
	s_wait_alu 0xfffe
	s_cbranch_vccnz .LBB48_18
; %bb.17:                               ;   in Loop: Header=BB48_9 Depth=1
	s_add_co_i32 s17, s34, -1
	s_mov_b32 s21, 0
	s_mov_b32 s27, s38
.LBB48_18:                              ;   in Loop: Header=BB48_9 Depth=1
	v_lshl_add_u32 v6, s34, 9, v0
	s_mul_f32 s36, s35, 0x3fb8aa3b
	s_mul_f32 s38, s33, 0x3fb8aa3b
	s_wait_alu 0xfffe
	s_delay_alu instid0(SALU_CYCLE_1)
	s_xor_b32 s39, s36, 0x80000000
	v_ashrrev_i32_e32 v7, 31, v6
	s_rndne_f32 s40, s36
	s_fmamk_f32 s39, s35, 0x3fb8aa3b, s39
	s_xor_b32 s41, s38, 0x80000000
	s_rndne_f32 s42, s38
	v_lshlrev_b64_e32 v[6:7], 2, v[6:7]
	s_sub_f32 s36, s36, s40
	s_fmamk_f32 s35, s35, 0x32a5705f, s39
	s_fmamk_f32 s39, s33, 0x3fb8aa3b, s41
	s_sub_f32 s38, s38, s42
	s_delay_alu instid0(VALU_DEP_1)
	v_add_co_u32 v6, vcc_lo, s24, v6
	s_wait_alu 0xfffd
	v_add_co_ci_u32_e64 v7, null, s25, v7, vcc_lo
	s_wait_alu 0xfffe
	s_add_f32 s35, s36, s35
	s_fmamk_f32 s33, s33, 0x32a5705f, s39
	s_cvt_i32_f32 s36, s40
	global_load_b32 v6, v[6:7], off
	s_wait_alu 0xfffe
	v_s_exp_f32 s35, s35
	s_add_f32 s33, s38, s33
	s_wait_alu 0xfffe
	s_delay_alu instid0(SALU_CYCLE_2) | instskip(NEXT) | instid1(TRANS32_DEP_2)
	v_s_exp_f32 s33, s33
	v_ldexp_f32 v7, s35, s36
	s_cvt_i32_f32 s35, s42
	s_wait_alu 0xf1fe
	s_delay_alu instid0(TRANS32_DEP_1) | instid1(SALU_CYCLE_2)
	v_ldexp_f32 v8, s33, s35
	s_delay_alu instid0(VALU_DEP_2) | instskip(NEXT) | instid1(VALU_DEP_2)
	v_cndmask_b32_e64 v7, 0, v7, s3
	v_cndmask_b32_e64 v8, 0, v8, s0
	s_delay_alu instid0(VALU_DEP_2) | instskip(NEXT) | instid1(VALU_DEP_2)
	v_cndmask_b32_e64 v7, 0x7f800000, v7, s4
	v_cndmask_b32_e64 v8, 0x7f800000, v8, s1
	;; [unrolled: 3-line block ×3, first 2 shown]
	s_wait_loadcnt 0x0
	s_delay_alu instid0(VALU_DEP_2) | instskip(SKIP_1) | instid1(VALU_DEP_1)
	v_mul_f32_e32 v6, v6, v7
	v_mul_f32_e32 v7, s37, v7
	v_fmac_f32_e32 v7, v5, v8
	s_delay_alu instid0(VALU_DEP_3)
	v_fmac_f32_e32 v6, v3, v8
	s_cbranch_execnz .LBB48_15
.LBB48_19:                              ;   in Loop: Header=BB48_9 Depth=1
	s_wait_loadcnt 0x0
	v_dual_mov_b32 v7, v5 :: v_dual_mov_b32 v6, v3
	s_add_co_i32 s17, s34, -1
	s_mov_b32 s27, s20
	s_mov_b32 s9, s26
	s_cbranch_execz .LBB48_23
.LBB48_20:                              ;   in Loop: Header=BB48_9 Depth=1
	v_mov_b32_e32 v5, v7
	s_wait_loadcnt 0x0
	v_mov_b32_e32 v3, v6
	s_wait_alu 0xfffe
	s_mov_b32 s20, s27
	s_mov_b32 s34, s17
	s_mov_b32 s26, s9
	s_branch .LBB48_9
.LBB48_21:
                                        ; implicit-def: $sgpr20_sgpr21
	s_branch .LBB48_2
.LBB48_22:
                                        ; implicit-def: $sgpr10_sgpr11
	s_load_b96 s[12:14], s[0:1], 0x44
	s_branch .LBB48_5
.LBB48_23:
	v_div_scale_f32 v0, null, v7, v7, v6
	s_wait_loadcnt 0x0
	s_delay_alu instid0(VALU_DEP_1) | instskip(NEXT) | instid1(TRANS32_DEP_1)
	v_rcp_f32_e32 v3, v0
	v_fma_f32 v4, -v0, v3, 1.0
	s_delay_alu instid0(VALU_DEP_1) | instskip(SKIP_1) | instid1(VALU_DEP_1)
	v_fmac_f32_e32 v3, v4, v3
	v_div_scale_f32 v4, vcc_lo, v6, v7, v6
	v_mul_f32_e32 v5, v4, v3
	s_delay_alu instid0(VALU_DEP_1) | instskip(NEXT) | instid1(VALU_DEP_1)
	v_fma_f32 v8, -v0, v5, v4
	v_fmac_f32_e32 v5, v8, v3
	s_delay_alu instid0(VALU_DEP_1) | instskip(SKIP_1) | instid1(VALU_DEP_1)
	v_fma_f32 v0, -v0, v5, v4
	s_wait_alu 0xfffd
	v_div_fmas_f32 v0, v0, v3, v5
	s_delay_alu instid0(VALU_DEP_1)
	v_div_fixup_f32 v0, v0, v7, v6
	global_store_b32 v[1:2], v0, off
.LBB48_24:
	s_endpgm
	.section	.rodata,"a",@progbits
	.p2align	6, 0x0
	.amdhsa_kernel _ZL33flash_attn_stream_k_fixup_generalILi128ELi2ELi2EEvPfPK15HIP_vector_typeIfLj2EEiiiiS1_IjLj3EES5_S5_S5_
		.amdhsa_group_segment_fixed_size 0
		.amdhsa_private_segment_fixed_size 0
		.amdhsa_kernarg_size 336
		.amdhsa_user_sgpr_count 2
		.amdhsa_user_sgpr_dispatch_ptr 0
		.amdhsa_user_sgpr_queue_ptr 0
		.amdhsa_user_sgpr_kernarg_segment_ptr 1
		.amdhsa_user_sgpr_dispatch_id 0
		.amdhsa_user_sgpr_private_segment_size 0
		.amdhsa_wavefront_size32 1
		.amdhsa_uses_dynamic_stack 0
		.amdhsa_enable_private_segment 0
		.amdhsa_system_sgpr_workgroup_id_x 1
		.amdhsa_system_sgpr_workgroup_id_y 1
		.amdhsa_system_sgpr_workgroup_id_z 1
		.amdhsa_system_sgpr_workgroup_info 0
		.amdhsa_system_vgpr_workitem_id 0
		.amdhsa_next_free_vgpr 9
		.amdhsa_next_free_sgpr 44
		.amdhsa_reserve_vcc 1
		.amdhsa_float_round_mode_32 0
		.amdhsa_float_round_mode_16_64 0
		.amdhsa_float_denorm_mode_32 3
		.amdhsa_float_denorm_mode_16_64 3
		.amdhsa_fp16_overflow 0
		.amdhsa_workgroup_processor_mode 1
		.amdhsa_memory_ordered 1
		.amdhsa_forward_progress 1
		.amdhsa_inst_pref_size 28
		.amdhsa_round_robin_scheduling 0
		.amdhsa_exception_fp_ieee_invalid_op 0
		.amdhsa_exception_fp_denorm_src 0
		.amdhsa_exception_fp_ieee_div_zero 0
		.amdhsa_exception_fp_ieee_overflow 0
		.amdhsa_exception_fp_ieee_underflow 0
		.amdhsa_exception_fp_ieee_inexact 0
		.amdhsa_exception_int_div_zero 0
	.end_amdhsa_kernel
	.section	.text._ZL33flash_attn_stream_k_fixup_generalILi128ELi2ELi2EEvPfPK15HIP_vector_typeIfLj2EEiiiiS1_IjLj3EES5_S5_S5_,"axG",@progbits,_ZL33flash_attn_stream_k_fixup_generalILi128ELi2ELi2EEvPfPK15HIP_vector_typeIfLj2EEiiiiS1_IjLj3EES5_S5_S5_,comdat
.Lfunc_end48:
	.size	_ZL33flash_attn_stream_k_fixup_generalILi128ELi2ELi2EEvPfPK15HIP_vector_typeIfLj2EEiiiiS1_IjLj3EES5_S5_S5_, .Lfunc_end48-_ZL33flash_attn_stream_k_fixup_generalILi128ELi2ELi2EEvPfPK15HIP_vector_typeIfLj2EEiiiiS1_IjLj3EES5_S5_S5_
                                        ; -- End function
	.set _ZL33flash_attn_stream_k_fixup_generalILi128ELi2ELi2EEvPfPK15HIP_vector_typeIfLj2EEiiiiS1_IjLj3EES5_S5_S5_.num_vgpr, 9
	.set _ZL33flash_attn_stream_k_fixup_generalILi128ELi2ELi2EEvPfPK15HIP_vector_typeIfLj2EEiiiiS1_IjLj3EES5_S5_S5_.num_agpr, 0
	.set _ZL33flash_attn_stream_k_fixup_generalILi128ELi2ELi2EEvPfPK15HIP_vector_typeIfLj2EEiiiiS1_IjLj3EES5_S5_S5_.numbered_sgpr, 44
	.set _ZL33flash_attn_stream_k_fixup_generalILi128ELi2ELi2EEvPfPK15HIP_vector_typeIfLj2EEiiiiS1_IjLj3EES5_S5_S5_.num_named_barrier, 0
	.set _ZL33flash_attn_stream_k_fixup_generalILi128ELi2ELi2EEvPfPK15HIP_vector_typeIfLj2EEiiiiS1_IjLj3EES5_S5_S5_.private_seg_size, 0
	.set _ZL33flash_attn_stream_k_fixup_generalILi128ELi2ELi2EEvPfPK15HIP_vector_typeIfLj2EEiiiiS1_IjLj3EES5_S5_S5_.uses_vcc, 1
	.set _ZL33flash_attn_stream_k_fixup_generalILi128ELi2ELi2EEvPfPK15HIP_vector_typeIfLj2EEiiiiS1_IjLj3EES5_S5_S5_.uses_flat_scratch, 0
	.set _ZL33flash_attn_stream_k_fixup_generalILi128ELi2ELi2EEvPfPK15HIP_vector_typeIfLj2EEiiiiS1_IjLj3EES5_S5_S5_.has_dyn_sized_stack, 0
	.set _ZL33flash_attn_stream_k_fixup_generalILi128ELi2ELi2EEvPfPK15HIP_vector_typeIfLj2EEiiiiS1_IjLj3EES5_S5_S5_.has_recursion, 0
	.set _ZL33flash_attn_stream_k_fixup_generalILi128ELi2ELi2EEvPfPK15HIP_vector_typeIfLj2EEiiiiS1_IjLj3EES5_S5_S5_.has_indirect_call, 0
	.section	.AMDGPU.csdata,"",@progbits
; Kernel info:
; codeLenInByte = 3548
; TotalNumSgprs: 46
; NumVgprs: 9
; ScratchSize: 0
; MemoryBound: 0
; FloatMode: 240
; IeeeMode: 1
; LDSByteSize: 0 bytes/workgroup (compile time only)
; SGPRBlocks: 0
; VGPRBlocks: 1
; NumSGPRsForWavesPerEU: 46
; NumVGPRsForWavesPerEU: 9
; Occupancy: 16
; WaveLimiterHint : 0
; COMPUTE_PGM_RSRC2:SCRATCH_EN: 0
; COMPUTE_PGM_RSRC2:USER_SGPR: 2
; COMPUTE_PGM_RSRC2:TRAP_HANDLER: 0
; COMPUTE_PGM_RSRC2:TGID_X_EN: 1
; COMPUTE_PGM_RSRC2:TGID_Y_EN: 1
; COMPUTE_PGM_RSRC2:TGID_Z_EN: 1
; COMPUTE_PGM_RSRC2:TIDIG_COMP_CNT: 0
	.section	.text._ZL15flash_attn_tileILi128ELi128ELi1ELi2ELb0EEvPKcS1_S1_S1_S1_PKiPfP15HIP_vector_typeIfLj2EEffffjfiS5_IjLj3EEiiiiiiiiiiiliiliiiiil,"axG",@progbits,_ZL15flash_attn_tileILi128ELi128ELi1ELi2ELb0EEvPKcS1_S1_S1_S1_PKiPfP15HIP_vector_typeIfLj2EEffffjfiS5_IjLj3EEiiiiiiiiiiiliiliiiiil,comdat
	.globl	_ZL15flash_attn_tileILi128ELi128ELi1ELi2ELb0EEvPKcS1_S1_S1_S1_PKiPfP15HIP_vector_typeIfLj2EEffffjfiS5_IjLj3EEiiiiiiiiiiiliiliiiiil ; -- Begin function _ZL15flash_attn_tileILi128ELi128ELi1ELi2ELb0EEvPKcS1_S1_S1_S1_PKiPfP15HIP_vector_typeIfLj2EEffffjfiS5_IjLj3EEiiiiiiiiiiiliiliiiiil
	.p2align	8
	.type	_ZL15flash_attn_tileILi128ELi128ELi1ELi2ELb0EEvPKcS1_S1_S1_S1_PKiPfP15HIP_vector_typeIfLj2EEffffjfiS5_IjLj3EEiiiiiiiiiiiliiliiiiil,@function
_ZL15flash_attn_tileILi128ELi128ELi1ELi2ELb0EEvPKcS1_S1_S1_S1_PKiPfP15HIP_vector_typeIfLj2EEffffjfiS5_IjLj3EEiiiiiiiiiiiliiliiiiil: ; @_ZL15flash_attn_tileILi128ELi128ELi1ELi2ELb0EEvPKcS1_S1_S1_S1_PKiPfP15HIP_vector_typeIfLj2EEffffjfiS5_IjLj3EEiiiiiiiiiiiliiliiiiil
; %bb.0:
	s_clause 0x1
	s_load_b128 s[20:23], s[0:1], 0x5c
	s_load_b64 s[28:29], s[0:1], 0x80
	s_lshr_b32 s5, ttmp7, 16
	s_load_b64 s[36:37], s[0:1], 0xb8
	s_mov_b32 s35, 0
	s_mov_b64 s[30:31], 0
	s_wait_kmcnt 0x0
	s_lshr_b32 s2, s23, 31
	s_delay_alu instid0(SALU_CYCLE_1) | instskip(NEXT) | instid1(SALU_CYCLE_1)
	s_add_co_i32 s2, s23, s2
	s_ashr_i32 s2, s2, 1
	s_delay_alu instid0(SALU_CYCLE_1) | instskip(SKIP_1) | instid1(SALU_CYCLE_2)
	s_cvt_f32_u32 s3, s2
	s_sub_co_i32 s4, 0, s2
	v_rcp_iflag_f32_e32 v1, s3
	s_delay_alu instid0(TRANS32_DEP_1) | instskip(SKIP_2) | instid1(SALU_CYCLE_2)
	v_readfirstlane_b32 s3, v1
	s_mul_f32 s3, s3, 0x4f7ffffe
	s_wait_alu 0xfffe
	s_cvt_u32_f32 s3, s3
	s_wait_alu 0xfffe
	s_delay_alu instid0(SALU_CYCLE_2) | instskip(NEXT) | instid1(SALU_CYCLE_1)
	s_mul_i32 s4, s4, s3
	s_mul_hi_u32 s4, s3, s4
	s_delay_alu instid0(SALU_CYCLE_1)
	s_add_co_i32 s3, s3, s4
	s_wait_alu 0xfffe
	s_mul_hi_u32 s3, s5, s3
	s_wait_alu 0xfffe
	s_mul_i32 s4, s3, s2
	s_add_co_i32 s6, s3, 1
	s_sub_co_i32 s4, s5, s4
	s_delay_alu instid0(SALU_CYCLE_1)
	s_sub_co_i32 s7, s4, s2
	s_cmp_ge_u32 s4, s2
	s_cselect_b32 s3, s6, s3
	s_cselect_b32 s4, s7, s4
	s_wait_alu 0xfffe
	s_add_co_i32 s6, s3, 1
	s_cmp_ge_u32 s4, s2
	s_cselect_b32 s2, s6, s3
	s_abs_i32 s3, s29
	s_abs_i32 s8, s23
	s_wait_alu 0xfffe
	s_cvt_f32_u32 s4, s3
	s_sub_co_i32 s6, 0, s3
	s_lshl_b32 s5, s5, 1
	s_mul_i32 s7, s2, s23
	v_rcp_iflag_f32_e32 v1, s4
	s_sub_co_i32 s33, s5, s7
	s_xor_b32 s5, s23, s29
	s_wait_alu 0xfffe
	s_ashr_i32 s24, s5, 31
	s_delay_alu instid0(TRANS32_DEP_1) | instskip(SKIP_2) | instid1(SALU_CYCLE_2)
	v_readfirstlane_b32 s4, v1
	s_mul_f32 s4, s4, 0x4f7ffffe
	s_wait_alu 0xfffe
	s_cvt_u32_f32 s4, s4
	s_wait_alu 0xfffe
	s_delay_alu instid0(SALU_CYCLE_2) | instskip(NEXT) | instid1(SALU_CYCLE_1)
	s_mul_i32 s6, s6, s4
	s_mul_hi_u32 s6, s4, s6
	s_delay_alu instid0(SALU_CYCLE_1) | instskip(SKIP_4) | instid1(SALU_CYCLE_1)
	s_add_co_i32 s4, s4, s6
	s_wait_alu 0xfffe
	s_mul_hi_u32 s4, s8, s4
	s_wait_alu 0xfffe
	s_mul_i32 s6, s4, s3
	s_sub_co_i32 s5, s8, s6
	s_add_co_i32 s6, s4, 1
	s_wait_alu 0xfffe
	s_sub_co_i32 s7, s5, s3
	s_cmp_ge_u32 s5, s3
	s_cselect_b32 s4, s6, s4
	s_cselect_b32 s5, s7, s5
	s_wait_alu 0xfffe
	s_add_co_i32 s6, s4, 1
	s_cmp_ge_u32 s5, s3
	s_cselect_b32 s3, s6, s4
	s_load_b512 s[4:19], s[0:1], 0x0
	s_xor_b32 s3, s3, s24
	s_wait_alu 0xfffe
	s_sub_co_i32 s38, s3, s24
	s_delay_alu instid0(SALU_CYCLE_1) | instskip(NEXT) | instid1(SALU_CYCLE_1)
	s_abs_i32 s29, s38
	s_cvt_f32_u32 s3, s29
	s_wait_alu 0xfffe
	s_delay_alu instid0(SALU_CYCLE_2) | instskip(SKIP_2) | instid1(TRANS32_DEP_1)
	v_rcp_iflag_f32_e32 v1, s3
	s_wait_kmcnt 0x0
	s_cmp_eq_u64 s[10:11], 0
	v_readfirstlane_b32 s24, v1
	s_cbranch_scc1 .LBB49_2
; %bb.1:
	s_abs_i32 s3, s36
	s_wait_alu 0xfffe
	s_cvt_f32_u32 s25, s3
	s_sub_co_i32 s26, 0, s3
	s_delay_alu instid0(SALU_CYCLE_2) | instskip(NEXT) | instid1(TRANS32_DEP_1)
	v_rcp_iflag_f32_e32 v1, s25
	v_readfirstlane_b32 s25, v1
	s_mul_f32 s25, s25, 0x4f7ffffe
	s_wait_alu 0xfffe
	s_delay_alu instid0(SALU_CYCLE_2) | instskip(SKIP_1) | instid1(SALU_CYCLE_2)
	s_cvt_u32_f32 s25, s25
	s_wait_alu 0xfffe
	s_mul_i32 s26, s26, s25
	s_delay_alu instid0(SALU_CYCLE_1)
	s_mul_hi_u32 s30, s25, s26
	s_load_b64 s[26:27], s[0:1], 0xc8
	s_add_co_i32 s25, s25, s30
	s_wait_alu 0xfffe
	s_mul_hi_u32 s25, s2, s25
	s_wait_alu 0xfffe
	s_mul_i32 s25, s25, s3
	s_wait_alu 0xfffe
	s_sub_co_i32 s25, s2, s25
	s_wait_alu 0xfffe
	s_sub_co_i32 s30, s25, s3
	s_cmp_ge_u32 s25, s3
	s_cselect_b32 s25, s30, s25
	s_wait_alu 0xfffe
	s_sub_co_i32 s30, s25, s3
	s_cmp_ge_u32 s25, s3
	s_cselect_b32 s30, s30, s25
	s_delay_alu instid0(SALU_CYCLE_1) | instskip(SKIP_2) | instid1(SALU_CYCLE_1)
	s_ashr_i32 s31, s30, 31
	s_wait_kmcnt 0x0
	s_mul_u64 s[26:27], s[26:27], s[30:31]
	s_add_nc_u64 s[30:31], s[10:11], s[26:27]
.LBB49_2:
	v_lshrrev_b32_e32 v1, 10, v0
	s_load_b96 s[40:42], s[0:1], 0x70
	v_bfe_u32 v21, v0, 10, 1
	s_delay_alu instid0(VALU_DEP_2) | instskip(NEXT) | instid1(VALU_DEP_1)
	v_bfe_u32 v1, v1, 1, 9
	v_add_nc_u32_e32 v1, ttmp9, v1
	s_delay_alu instid0(VALU_DEP_1) | instskip(SKIP_3) | instid1(VALU_DEP_1)
	v_mul_hi_u32 v2, s20, v1
	s_wait_kmcnt 0x0
	s_mul_i32 s10, s33, s41
	s_mov_b32 s20, s41
	v_add_nc_u32_e32 v2, v1, v2
	s_delay_alu instid0(VALU_DEP_1)
	v_lshrrev_b32_e32 v2, s21, v2
	s_ashr_i32 s21, s41, 31
	s_ashr_i32 s41, s40, 31
	s_wait_alu 0xfffe
	s_lshr_b32 s3, s21, 2
	s_lshr_b64 s[26:27], s[40:41], 2
	v_mul_lo_u32 v2, v2, s22
	s_lshr_b32 s11, s41, 2
	s_wait_alu 0xfffe
	v_mul_lo_u32 v7, s3, v21
	s_load_b32 s3, s[0:1], 0x40
	s_delay_alu instid0(VALU_DEP_2) | instskip(NEXT) | instid1(VALU_DEP_1)
	v_sub_nc_u32_e32 v3, v1, v2
	v_mad_co_u64_u32 v[4:5], null, s26, v3, 0
	s_lshr_b64 s[26:27], s[20:21], 2
	s_mul_i32 s20, s2, s42
	s_wait_alu 0xfffe
	s_ashr_i32 s21, s20, 31
	s_wait_alu 0xfffe
	s_add_nc_u64 s[4:5], s[4:5], s[20:21]
	v_mov_b32_e32 v2, v5
	s_delay_alu instid0(VALU_DEP_1)
	v_mad_co_u64_u32 v[5:6], null, s11, v3, v[2:3]
	v_mul_lo_u32 v6, s26, v21
	s_ashr_i32 s11, s10, 31
	v_and_b32_e32 v2, 0x3ff, v0
	s_wait_alu 0xfffe
	s_add_nc_u64 s[4:5], s[4:5], s[10:11]
	s_cmp_eq_u64 s[14:15], 0
	s_delay_alu instid0(VALU_DEP_3) | instskip(SKIP_3) | instid1(VALU_DEP_1)
	v_lshlrev_b64_e32 v[4:5], 2, v[4:5]
	v_lshlrev_b32_e32 v8, 4, v2
	v_lshlrev_b64_e32 v[6:7], 2, v[6:7]
	s_wait_alu 0xfffe
	v_add_co_u32 v6, vcc_lo, s4, v6
	s_delay_alu instid0(VALU_DEP_1) | instskip(NEXT) | instid1(VALU_DEP_2)
	v_add_co_ci_u32_e64 v7, null, s5, v7, vcc_lo
	v_add_co_u32 v4, vcc_lo, v6, v4
	s_wait_alu 0xfffd
	s_delay_alu instid0(VALU_DEP_2) | instskip(NEXT) | instid1(VALU_DEP_2)
	v_add_co_ci_u32_e64 v5, null, v7, v5, vcc_lo
	v_add_co_u32 v4, vcc_lo, v4, v8
	s_wait_alu 0xfffd
	s_delay_alu instid0(VALU_DEP_2)
	v_add_co_ci_u32_e64 v5, null, 0, v5, vcc_lo
	global_load_b128 v[4:7], v[4:5], off
	s_wait_loadcnt 0x0
	s_wait_kmcnt 0x0
	v_fma_mixlo_f16 v5, s3, v5, 0
	v_fma_mixlo_f16 v8, s3, v4, 0
	v_bfe_u32 v4, v0, 10, 10
	v_fma_mixlo_f16 v6, s3, v6, 0
	v_fma_mixlo_f16 v7, s3, v7, 0
	v_lshlrev_b32_e32 v5, 16, v5
	v_and_b32_e32 v8, 0xffff, v8
	v_lshlrev_b32_e32 v0, 3, v2
	v_lshl_add_u32 v23, v4, 8, 0x1200
	v_lshlrev_b32_e32 v7, 16, v7
	v_and_b32_e32 v6, 0xffff, v6
	v_or_b32_e32 v5, v5, v8
	s_delay_alu instid0(VALU_DEP_4) | instskip(NEXT) | instid1(VALU_DEP_3)
	v_add_nc_u32_e32 v8, v23, v0
	v_or3_b32 v6, v7, v6, 0
	s_delay_alu instid0(VALU_DEP_3)
	v_or3_b32 v5, 0, 0, v5
	ds_store_b64 v8, v[5:6]
	s_wait_dscnt 0x0
	s_barrier_signal -1
	s_barrier_wait -1
	global_inv scope:SCOPE_SE
	s_cbranch_scc1 .LBB49_4
; %bb.3:
	s_load_b32 s3, s[0:1], 0xd0
	s_mov_b32 s5, 0
	s_wait_kmcnt 0x0
	s_mul_i32 s3, s3, s2
	s_wait_alu 0xfffe
	s_add_co_i32 s4, s3, ttmp9
	s_wait_alu 0xfffe
	s_lshl_b64 s[4:5], s[4:5], 2
	s_wait_alu 0xfffe
	s_add_nc_u64 s[4:5], s[14:15], s[4:5]
	s_load_b32 s28, s[4:5], 0x0
.LBB49_4:
	s_and_b32 s4, ttmp7, 0xffff
	v_mbcnt_lo_u32_b32 v24, -1, 0
	s_wait_alu 0xfffe
	s_lshl_b32 s10, s4, 5
	s_wait_kmcnt 0x0
	s_wait_alu 0xfffe
	s_cmp_lt_i32 s10, s28
	s_cbranch_scc1 .LBB49_7
; %bb.5:
	v_mbcnt_lo_u32_b32 v5, -1, 0
	v_mov_b32_e32 v25, 32
	s_delay_alu instid0(VALU_DEP_2)
	v_xor_b32_e32 v30, 16, v5
	v_xor_b32_e32 v29, 8, v5
	;; [unrolled: 1-line block ×5, first 2 shown]
	v_lshlrev_b32_e32 v22, 2, v2
	s_mov_b32 s3, 0
	s_cbranch_execz .LBB49_8
; %bb.6:
	v_dual_mov_b32 v43, 0 :: v_dual_mov_b32 v20, 0xfeffffff
	v_mov_b32_e32 v47, 0
	v_mov_b32_e32 v31, 0
	s_branch .LBB49_11
.LBB49_7:
                                        ; implicit-def: $vgpr5
                                        ; implicit-def: $vgpr25
                                        ; implicit-def: $vgpr30
                                        ; implicit-def: $vgpr29
                                        ; implicit-def: $vgpr28
                                        ; implicit-def: $vgpr27
                                        ; implicit-def: $vgpr26
	v_lshlrev_b32_e32 v22, 2, v2
	s_mov_b32 s3, 0
.LBB49_8:
	s_mul_f32 s5, s24, 0x4f7ffffe
	s_clause 0x1
	s_load_b128 s[24:27], s[0:1], 0x98
	s_load_b64 s[20:21], s[0:1], 0x8c
	s_sub_co_i32 s11, 0, s29
	s_ashr_i32 s40, s38, 31
	s_cvt_u32_f32 s5, s5
	s_load_b64 s[38:39], s[0:1], 0xa8
	s_abs_i32 s34, s33
	s_mov_b32 s15, s35
	s_mul_i32 s11, s11, s5
	s_ashr_i32 s36, s33, 31
	s_wait_alu 0xfffe
	s_mul_hi_u32 s11, s5, s11
	v_lshrrev_b32_e32 v5, 3, v2
	s_wait_alu 0xfffe
	s_add_co_i32 s14, s5, s11
	s_ashr_i32 s5, s37, 1
	s_mul_u64 s[14:15], s[34:35], s[14:15]
	s_xor_b32 s11, s36, s40
	s_mul_i32 s35, s15, s29
	s_add_co_i32 s36, s15, 1
	s_sub_co_i32 s34, s34, s35
	v_lshl_add_u32 v6, v4, 2, v5
	s_wait_kmcnt 0x0
	s_ashr_i32 s14, s26, 2
	s_ashr_i32 s20, s20, 2
	s_sub_co_i32 s35, s34, s29
	s_cmp_ge_u32 s34, s29
	v_dual_mov_b32 v20, 0xfeffffff :: v_dual_and_b32 v11, 28, v22
	s_cselect_b32 s15, s36, s15
	s_cselect_b32 s34, s35, s34
	s_add_co_i32 s35, s15, 1
	s_cmp_ge_u32 s34, s29
	s_wait_alu 0xfffe
	v_mul_lo_u32 v5, s20, v6
	s_cselect_b32 s15, s35, s15
	s_mul_u64 s[24:25], s[24:25], s[2:3]
	s_mul_u64 s[34:35], s[38:39], s[2:3]
	s_xor_b32 s3, s15, s11
	v_lshrrev_b32_e32 v8, 4, v2
	v_lshlrev_b32_e32 v7, 2, v11
	s_wait_alu 0xfffe
	s_sub_co_i32 s3, s3, s11
	s_add_nc_u64 s[6:7], s[6:7], s[24:25]
	s_add_nc_u64 s[8:9], s[8:9], s[34:35]
	s_wait_alu 0xfffe
	s_mul_i32 s24, s3, s21
	s_mul_i32 s34, s3, s27
	s_lshl_b32 s3, s20, 3
	v_lshl_add_u32 v13, v4, 1, v8
	v_mad_u32_u24 v32, 0x90, v6, v7
	s_wait_alu 0xfffe
	v_add_nc_u32_e32 v7, s3, v5
	v_and_b32_e32 v43, 60, v22
	v_ashrrev_i32_e32 v6, 31, v5
	v_mul_lo_u32 v12, s14, v13
	v_mov_b32_e32 v25, 32
	v_add_nc_u32_e32 v9, s3, v7
	v_lshlrev_b32_e32 v17, 2, v43
	v_lshlrev_b32_e32 v45, 2, v43
	v_mov_b32_e32 v43, 0
	v_ashrrev_i32_e32 v8, 31, v7
	v_add_nc_u32_e32 v14, s3, v9
	s_and_b32 s3, s26, -4
	v_ashrrev_i32_e32 v10, 31, v9
	s_wait_alu 0xfffe
	v_add_nc_u32_e32 v16, s3, v12
	v_lshl_or_b32 v38, v13, 8, v17
	v_ashrrev_i32_e32 v15, 31, v14
	v_ashrrev_i32_e32 v13, 31, v12
	v_lshl_add_u32 v37, v4, 6, 0x1400
	v_add_nc_u32_e32 v18, s3, v16
	v_ashrrev_i32_e32 v17, 31, v16
	v_mad_co_u64_u32 v[3:4], null, v3, s5, v[2:3]
	v_lshlrev_b64_e32 v[4:5], 2, v[5:6]
	s_delay_alu instid0(VALU_DEP_4)
	v_add_nc_u32_e32 v46, s3, v18
	v_ashrrev_i32_e32 v19, 31, v18
	v_lshlrev_b32_e32 v44, 2, v11
	v_lshlrev_b64_e32 v[6:7], 2, v[7:8]
	v_lshlrev_b64_e32 v[8:9], 2, v[9:10]
	v_ashrrev_i32_e32 v47, 31, v46
	v_lshlrev_b64_e32 v[10:11], 2, v[14:15]
	v_lshlrev_b64_e32 v[12:13], 2, v[12:13]
	;; [unrolled: 1-line block ×5, first 2 shown]
	v_dual_mov_b32 v31, 0 :: v_dual_add_nc_u32 v34, 0x900, v32
	v_add_nc_u32_e32 v33, 0x480, v32
	v_add_nc_u32_e32 v35, 0xd80, v32
	v_mul_u32_u24_e32 v36, 0x90, v2
	v_lshl_add_u32 v39, v2, 1, v37
	v_add_nc_u32_e32 v40, 0x400, v38
	v_add_nc_u32_e32 v41, 0x800, v38
	;; [unrolled: 1-line block ×3, first 2 shown]
	v_xor_b32_e32 v30, 16, v24
	v_xor_b32_e32 v29, 8, v24
	;; [unrolled: 1-line block ×5, first 2 shown]
	v_dual_mov_b32 v47, 0 :: v_dual_add_nc_u32 v46, 0x800, v0
	s_ashr_i32 s25, s24, 31
	s_ashr_i32 s35, s34, 31
	s_wait_alu 0xfffe
	s_add_nc_u64 s[6:7], s[6:7], s[24:25]
	s_add_nc_u64 s[8:9], s[8:9], s[34:35]
	s_ashr_i32 s21, s20, 31
	s_ashr_i32 s15, s14, 31
	s_add_nc_u64 s[24:25], s[0:1], 0xd0
.LBB49_9:                               ; =>This Inner Loop Header: Depth=1
	s_ashr_i32 s11, s10, 31
	v_mov_b32_e32 v104, v20
	s_wait_alu 0xfffe
	s_mul_u64 s[26:27], s[10:11], s[20:21]
	s_mul_u64 s[34:35], s[10:11], s[14:15]
	s_wait_alu 0xfffe
	s_lshl_b64 s[26:27], s[26:27], 2
	s_lshl_b64 s[34:35], s[34:35], 2
	s_wait_alu 0xfffe
	s_add_nc_u64 s[26:27], s[6:7], s[26:27]
	s_add_nc_u64 s[34:35], s[8:9], s[34:35]
	s_wait_alu 0xfffe
	v_add_co_u32 v48, vcc_lo, s26, v4
	s_wait_alu 0xfffd
	v_add_co_ci_u32_e64 v49, null, s27, v5, vcc_lo
	v_add_co_u32 v50, vcc_lo, s26, v6
	s_wait_alu 0xfffd
	v_add_co_ci_u32_e64 v51, null, s27, v7, vcc_lo
	;; [unrolled: 3-line block ×8, first 2 shown]
	s_clause 0x3
	global_load_b128 v[49:52], v[65:66], off
	global_load_b128 v[53:56], v[67:68], off
	;; [unrolled: 1-line block ×4, first 2 shown]
	v_mov_b32_e32 v48, 0
	s_or_b32 s26, s10, 16
	s_wait_loadcnt 0x3
	ds_store_b128 v32, v[49:52]
	s_wait_loadcnt 0x2
	ds_store_b128 v33, v[53:56]
	s_wait_loadcnt 0x1
	ds_store_b128 v34, v[57:60]
	s_wait_loadcnt 0x0
	ds_store_b128 v35, v[61:64]
	s_wait_dscnt 0x0
	s_barrier_signal -1
	s_barrier_wait -1
	global_inv scope:SCOPE_SE
	ds_load_b128 v[49:52], v36
	ds_load_b128 v[53:56], v23
	s_wait_dscnt 0x0
	;;#ASMSTART
	v_dot2_f32_f16 v48, v49, v53, v48
	;;#ASMEND
	;;#ASMSTART
	v_dot2_f32_f16 v48, v50, v54, v48
	;;#ASMEND
	;;#ASMSTART
	v_dot2_f32_f16 v48, v51, v55, v48
	;;#ASMEND
	;;#ASMSTART
	v_dot2_f32_f16 v48, v52, v56, v48
	;;#ASMEND
	ds_load_b128 v[49:52], v36 offset:16
	ds_load_b128 v[53:56], v23 offset:16
	s_wait_dscnt 0x0
	;;#ASMSTART
	v_dot2_f32_f16 v48, v49, v53, v48
	;;#ASMEND
	;;#ASMSTART
	v_dot2_f32_f16 v48, v50, v54, v48
	;;#ASMEND
	;;#ASMSTART
	v_dot2_f32_f16 v48, v51, v55, v48
	;;#ASMEND
	;;#ASMSTART
	v_dot2_f32_f16 v48, v52, v56, v48
	;;#ASMEND
	ds_load_b128 v[49:52], v36 offset:32
	ds_load_b128 v[53:56], v23 offset:32
	;; [unrolled: 15-line block ×7, first 2 shown]
	s_wait_dscnt 0x0
	;;#ASMSTART
	v_dot2_f32_f16 v48, v49, v53, v48
	;;#ASMEND
	;;#ASMSTART
	v_dot2_f32_f16 v48, v50, v54, v48
	;;#ASMEND
	;; [unrolled: 3-line block ×4, first 2 shown]
	s_wait_loadcnt 0x0
	s_barrier_signal -1
	s_barrier_wait -1
	global_inv scope:SCOPE_SE
	s_clause 0x3
	global_load_b128 v[49:52], v[65:66], off offset:128
	global_load_b128 v[53:56], v[67:68], off offset:128
	;; [unrolled: 1-line block ×4, first 2 shown]
	v_add_nc_u32_e32 v65, s10, v3
	s_wait_alu 0xfffe
	s_ashr_i32 s27, s26, 31
	s_wait_loadcnt 0x3
	ds_store_b128 v32, v[49:52]
	s_wait_loadcnt 0x2
	ds_store_b128 v33, v[53:56]
	;; [unrolled: 2-line block ×4, first 2 shown]
	s_wait_dscnt 0x0
	s_barrier_signal -1
	s_barrier_wait -1
	global_inv scope:SCOPE_SE
	ds_load_b128 v[49:52], v36
	ds_load_b128 v[53:56], v23 offset:128
	s_wait_dscnt 0x0
	;;#ASMSTART
	v_dot2_f32_f16 v48, v49, v53, v48
	;;#ASMEND
	;;#ASMSTART
	v_dot2_f32_f16 v48, v50, v54, v48
	;;#ASMEND
	;;#ASMSTART
	v_dot2_f32_f16 v48, v51, v55, v48
	;;#ASMEND
	;;#ASMSTART
	v_dot2_f32_f16 v48, v52, v56, v48
	;;#ASMEND
	ds_load_b128 v[49:52], v36 offset:16
	ds_load_b128 v[53:56], v23 offset:144
	s_wait_dscnt 0x0
	;;#ASMSTART
	v_dot2_f32_f16 v48, v49, v53, v48
	;;#ASMEND
	;;#ASMSTART
	v_dot2_f32_f16 v48, v50, v54, v48
	;;#ASMEND
	;;#ASMSTART
	v_dot2_f32_f16 v48, v51, v55, v48
	;;#ASMEND
	;;#ASMSTART
	v_dot2_f32_f16 v48, v52, v56, v48
	;;#ASMEND
	ds_load_b128 v[49:52], v36 offset:32
	;; [unrolled: 15-line block ×7, first 2 shown]
	ds_load_b128 v[53:56], v23 offset:240
	v_ashrrev_i32_e32 v66, 31, v65
	s_wait_dscnt 0x0
	;;#ASMSTART
	v_dot2_f32_f16 v48, v49, v53, v48
	;;#ASMEND
	s_delay_alu instid0(VALU_DEP_1)
	v_lshlrev_b64_e32 v[65:66], 1, v[65:66]
	;;#ASMSTART
	v_dot2_f32_f16 v48, v50, v54, v48
	;;#ASMEND
	;;#ASMSTART
	v_dot2_f32_f16 v48, v51, v55, v48
	;;#ASMEND
	;; [unrolled: 3-line block ×3, first 2 shown]
	s_wait_alu 0xfffe
	s_mul_u64 s[26:27], s[26:27], s[14:15]
	v_mov_b32_e32 v106, v47
	v_add_co_u32 v65, vcc_lo, s30, v65
	s_wait_alu 0xfffd
	v_add_co_ci_u32_e64 v66, null, s31, v66, vcc_lo
	v_cmp_gt_i32_e32 vcc_lo, 32, v30
	s_wait_alu 0xfffe
	s_lshl_b64 s[26:27], s[26:27], 2
	global_load_u16 v65, v[65:66], off
	s_wait_loadcnt 0x0
	s_wait_alu 0xfffd
	v_cndmask_b32_e32 v20, v24, v30, vcc_lo
	v_cmp_gt_i32_e32 vcc_lo, 32, v29
	s_barrier_signal -1
	s_barrier_wait -1
	global_inv scope:SCOPE_SE
	s_wait_alu 0xfffe
	s_add_nc_u64 s[26:27], s[8:9], s[26:27]
	s_wait_alu 0xfffd
	v_cndmask_b32_e32 v49, v24, v29, vcc_lo
	v_cmp_gt_i32_e32 vcc_lo, 32, v28
	v_cvt_f32_f16_e32 v65, v65
	s_delay_alu instid0(VALU_DEP_1) | instskip(NEXT) | instid1(VALU_DEP_1)
	v_add_f32_e32 v48, v48, v65
	v_add_f32_e32 v65, 0x40051340, v48
	s_wait_alu 0xfffd
	v_cndmask_b32_e32 v50, v24, v28, vcc_lo
	v_cmp_gt_i32_e32 vcc_lo, 32, v27
	s_delay_alu instid0(VALU_DEP_2)
	v_lshlrev_b32_e32 v67, 2, v50
	s_wait_alu 0xfffd
	v_cndmask_b32_e32 v51, v24, v27, vcc_lo
	v_cmp_gt_i32_e32 vcc_lo, 32, v26
	v_max_num_f32_e32 v70, v104, v104
	s_wait_alu 0xfffd
	s_delay_alu instid0(VALU_DEP_1) | instskip(NEXT) | instid1(VALU_DEP_1)
	v_dual_cndmask_b32 v52, v24, v26 :: v_dual_max_num_f32 v65, v70, v65
	v_lshlrev_b32_e32 v69, 2, v52
	v_lshlrev_b32_e32 v20, 2, v20
	;; [unrolled: 1-line block ×3, first 2 shown]
	v_add_co_u32 v49, vcc_lo, s34, v12
	s_wait_alu 0xfffd
	v_add_co_ci_u32_e64 v50, null, s35, v13, vcc_lo
	ds_bpermute_b32 v20, v20, v65
	s_wait_dscnt 0x0
	v_max_num_f32_e32 v20, v20, v20
	s_delay_alu instid0(VALU_DEP_1) | instskip(SKIP_3) | instid1(VALU_DEP_1)
	v_max_num_f32_e32 v20, v65, v20
	ds_bpermute_b32 v65, v66, v20
	s_wait_dscnt 0x0
	v_max_num_f32_e32 v65, v65, v65
	v_max_num_f32_e32 v20, v20, v65
	ds_bpermute_b32 v65, v67, v20
	v_lshlrev_b32_e32 v68, 2, v51
	v_add_co_u32 v51, vcc_lo, s34, v14
	s_wait_alu 0xfffd
	v_add_co_ci_u32_e64 v52, null, s35, v15, vcc_lo
	v_add_co_u32 v55, vcc_lo, s34, v16
	s_wait_alu 0xfffd
	v_add_co_ci_u32_e64 v56, null, s35, v17, vcc_lo
	;; [unrolled: 3-line block ×7, first 2 shown]
	s_clause 0x3
	global_load_b128 v[49:52], v[49:50], off
	global_load_b128 v[53:56], v[53:54], off
	;; [unrolled: 1-line block ×4, first 2 shown]
	s_wait_dscnt 0x0
	v_max_num_f32_e32 v65, v65, v65
	s_wait_alu 0xfffe
	v_add_co_u32 v71, vcc_lo, s26, v12
	s_wait_alu 0xfffd
	v_add_co_ci_u32_e64 v72, null, s27, v13, vcc_lo
	v_max_num_f32_e32 v20, v20, v65
	v_add_co_u32 v73, vcc_lo, s26, v14
	s_wait_alu 0xfffd
	v_add_co_ci_u32_e64 v74, null, s27, v15, vcc_lo
	ds_bpermute_b32 v65, v68, v20
	v_add_co_u32 v75, vcc_lo, s26, v16
	s_wait_alu 0xfffd
	v_add_co_ci_u32_e64 v76, null, s27, v17, vcc_lo
	v_add_co_u32 v77, vcc_lo, s26, v18
	s_wait_alu 0xfffd
	v_add_co_ci_u32_e64 v78, null, s27, v19, vcc_lo
	;; [unrolled: 3-line block ×5, first 2 shown]
	s_wait_dscnt 0x0
	v_max_num_f32_e32 v65, v65, v65
	v_add_co_u32 v100, vcc_lo, v77, v45
	s_wait_alu 0xfffd
	v_add_co_ci_u32_e64 v101, null, 0, v78, vcc_lo
	s_delay_alu instid0(VALU_DEP_3) | instskip(SKIP_3) | instid1(VALU_DEP_1)
	v_max_num_f32_e32 v20, v20, v65
	ds_bpermute_b32 v65, v69, v20
	s_wait_dscnt 0x0
	v_max_num_f32_e32 v65, v65, v65
	v_max_num_f32_e32 v20, v20, v65
	s_delay_alu instid0(VALU_DEP_1) | instskip(NEXT) | instid1(VALU_DEP_1)
	v_sub_f32_e32 v48, v48, v20
	v_mul_f32_e32 v65, 0x3fb8aa3b, v48
	v_cmp_ngt_f32_e32 vcc_lo, 0xc2ce8ed0, v48
	s_delay_alu instid0(VALU_DEP_2) | instskip(SKIP_1) | instid1(VALU_DEP_1)
	v_fma_f32 v66, 0x3fb8aa3b, v48, -v65
	v_rndne_f32_e32 v67, v65
	v_dual_fmac_f32 v66, 0x32a5705f, v48 :: v_dual_sub_f32 v65, v65, v67
	v_cvt_i32_f32_e32 v67, v67
	s_delay_alu instid0(VALU_DEP_2) | instskip(NEXT) | instid1(VALU_DEP_1)
	v_add_f32_e32 v65, v65, v66
	v_exp_f32_e32 v65, v65
	s_delay_alu instid0(TRANS32_DEP_1) | instskip(SKIP_1) | instid1(VALU_DEP_1)
	v_ldexp_f32 v65, v65, v67
	s_wait_alu 0xfffd
	v_cndmask_b32_e32 v65, 0, v65, vcc_lo
	v_cmp_nlt_f32_e32 vcc_lo, 0x42b17218, v48
	s_wait_alu 0xfffd
	s_delay_alu instid0(VALU_DEP_2) | instskip(NEXT) | instid1(VALU_DEP_1)
	v_cndmask_b32_e32 v105, 0x7f800000, v65, vcc_lo
	v_cvt_f16_f32_e32 v48, v105
	ds_store_b16 v39, v48
	s_wait_loadcnt 0x3
	ds_store_b128 v38, v[49:52]
	s_wait_loadcnt 0x2
	ds_store_b128 v40, v[53:56]
	;; [unrolled: 2-line block ×4, first 2 shown]
	s_wait_dscnt 0x0
	s_barrier_signal -1
	s_barrier_wait -1
	global_inv scope:SCOPE_SE
	ds_load_2addr_b64 v[48:51], v0 offset1:32
	ds_load_b128 v[52:55], v37
	ds_load_b128 v[56:59], v37 offset:16
	ds_load_2addr_b64 v[60:63], v0 offset0:64 offset1:96
	ds_load_2addr_b64 v[64:67], v0 offset0:128 offset1:160
	;; [unrolled: 1-line block ×3, first 2 shown]
	ds_load_2addr_b64 v[72:75], v46 offset1:32
	ds_load_2addr_b64 v[76:79], v46 offset0:64 offset1:96
	ds_load_2addr_b64 v[80:83], v46 offset0:128 offset1:160
	;; [unrolled: 1-line block ×3, first 2 shown]
	s_wait_loadcnt_dscnt 0x0
	s_barrier_signal -1
	s_barrier_wait -1
	global_inv scope:SCOPE_SE
	s_clause 0x3
	global_load_b128 v[88:91], v[88:89], off
	global_load_b128 v[92:95], v[92:93], off
	;; [unrolled: 1-line block ×4, first 2 shown]
	v_sub_f32_e32 v47, v104, v20
	s_wait_loadcnt 0x3
	ds_store_b128 v38, v[88:91]
	s_wait_loadcnt 0x2
	ds_store_b128 v40, v[92:95]
	;; [unrolled: 2-line block ×4, first 2 shown]
	v_lshrrev_b32_e32 v109, 16, v54
	v_and_b32_e32 v54, 0xffff, v54
	v_mul_f32_e32 v104, 0x3fb8aa3b, v47
	v_lshrrev_b32_e32 v112, 16, v57
	v_and_b32_e32 v57, 0xffff, v57
	v_cmp_ngt_f32_e32 vcc_lo, 0xc2ce8ed0, v47
	v_lshrrev_b32_e32 v110, 16, v55
	v_fma_f32 v107, 0x3fb8aa3b, v47, -v104
	v_rndne_f32_e32 v108, v104
	v_and_b32_e32 v55, 0xffff, v55
	v_mul_u32_u24_e32 v54, 0x10001, v54
	v_mul_u32_u24_e32 v109, 0x10001, v109
	s_delay_alu instid0(VALU_DEP_4)
	v_dual_fmac_f32 v107, 0x32a5705f, v47 :: v_dual_sub_f32 v104, v104, v108
	v_cvt_i32_f32_e32 v108, v108
	v_mul_u32_u24_e32 v55, 0x10001, v55
	v_lshrrev_b32_e32 v111, 16, v56
	v_and_b32_e32 v56, 0xffff, v56
	v_add_f32_e32 v104, v104, v107
	v_lshrrev_b32_e32 v107, 16, v52
	v_and_b32_e32 v52, 0xffff, v52
	v_mul_u32_u24_e32 v110, 0x10001, v110
	v_mul_u32_u24_e32 v56, 0x10001, v56
	v_exp_f32_e32 v104, v104
	v_mul_u32_u24_e32 v107, 0x10001, v107
	v_mul_u32_u24_e32 v52, 0x10001, v52
	;; [unrolled: 1-line block ×4, first 2 shown]
	v_lshrrev_b32_e32 v113, 16, v58
	v_mul_u32_u24_e32 v112, 0x10001, v112
	v_pk_mul_f16 v48, v48, v52
	v_pk_mul_f16 v49, v49, v52
	v_lshrrev_b32_e32 v114, 16, v59
	v_ldexp_f32 v104, v104, v108
	v_lshrrev_b32_e32 v108, 16, v53
	v_and_b32_e32 v53, 0xffff, v53
	v_and_b32_e32 v59, 0xffff, v59
	v_mul_u32_u24_e32 v113, 0x10001, v113
	s_wait_alu 0xfffd
	v_cndmask_b32_e32 v104, 0, v104, vcc_lo
	v_cmp_nlt_f32_e32 vcc_lo, 0x42b17218, v47
	v_mul_u32_u24_e32 v53, 0x10001, v53
	v_mul_u32_u24_e32 v108, 0x10001, v108
	;; [unrolled: 1-line block ×4, first 2 shown]
	s_wait_alu 0xfffd
	v_cndmask_b32_e32 v104, 0x7f800000, v104, vcc_lo
	v_and_b32_e32 v58, 0xffff, v58
	s_wait_dscnt 0x0
	s_barrier_signal -1
	s_barrier_wait -1
	v_cvt_f16_f32_e32 v47, v104
	v_mul_u32_u24_e32 v58, 0x10001, v58
	global_inv scope:SCOPE_SE
	v_and_b32_e32 v47, 0xffff, v47
	s_delay_alu instid0(VALU_DEP_1) | instskip(NEXT) | instid1(VALU_DEP_1)
	v_mul_u32_u24_e32 v47, 0x10001, v47
	v_pk_fma_f16 v31, v31, v47, v48
	v_pk_fma_f16 v43, v43, v47, v49
	s_delay_alu instid0(VALU_DEP_2) | instskip(NEXT) | instid1(VALU_DEP_2)
	v_pk_fma_f16 v31, v50, v107, v31
	v_pk_fma_f16 v43, v51, v107, v43
	s_delay_alu instid0(VALU_DEP_2) | instskip(NEXT) | instid1(VALU_DEP_2)
	;; [unrolled: 3-line block ×14, first 2 shown]
	v_pk_fma_f16 v31, v84, v59, v31
	v_pk_fma_f16 v43, v85, v59, v43
	s_delay_alu instid0(VALU_DEP_2)
	v_pk_fma_f16 v31, v86, v114, v31
	ds_load_b128 v[47:50], v37 offset:32
	ds_load_2addr_b64 v[51:54], v0 offset1:32
	ds_load_b128 v[55:58], v37 offset:48
	ds_load_2addr_b64 v[59:62], v0 offset0:64 offset1:96
	ds_load_2addr_b64 v[63:66], v0 offset0:128 offset1:160
	;; [unrolled: 1-line block ×3, first 2 shown]
	ds_load_2addr_b64 v[71:74], v46 offset1:32
	ds_load_2addr_b64 v[75:78], v46 offset0:64 offset1:96
	ds_load_2addr_b64 v[79:82], v46 offset0:128 offset1:160
	;; [unrolled: 1-line block ×3, first 2 shown]
	v_pk_fma_f16 v43, v87, v114, v43
	s_wait_loadcnt_dscnt 0x0
	s_barrier_signal -1
	s_barrier_wait -1
	global_inv scope:SCOPE_SE
	s_load_b32 s3, s[24:25], 0x4
	v_lshrrev_b32_e32 v87, 16, v47
	v_and_b32_e32 v47, 0xffff, v47
	v_lshrrev_b32_e32 v88, 16, v48
	v_and_b32_e32 v48, 0xffff, v48
	v_lshrrev_b32_e32 v89, 16, v49
	v_mul_u32_u24_e32 v87, 0x10001, v87
	v_mul_u32_u24_e32 v47, 0x10001, v47
	v_and_b32_e32 v49, 0xffff, v49
	v_mul_u32_u24_e32 v48, 0x10001, v48
	v_mul_u32_u24_e32 v88, 0x10001, v88
	v_lshrrev_b32_e32 v90, 16, v50
	v_pk_fma_f16 v31, v51, v47, v31
	v_pk_fma_f16 v43, v52, v47, v43
	v_mul_u32_u24_e32 v49, 0x10001, v49
	v_and_b32_e32 v50, 0xffff, v50
	v_mul_u32_u24_e32 v89, 0x10001, v89
	v_pk_fma_f16 v31, v53, v87, v31
	v_pk_fma_f16 v43, v54, v87, v43
	v_lshrrev_b32_e32 v91, 16, v55
	v_mul_u32_u24_e32 v50, 0x10001, v50
	v_and_b32_e32 v55, 0xffff, v55
	v_pk_fma_f16 v31, v59, v48, v31
	v_pk_fma_f16 v43, v60, v48, v43
	v_mul_u32_u24_e32 v90, 0x10001, v90
	v_lshrrev_b32_e32 v92, 16, v56
	v_mul_u32_u24_e32 v55, 0x10001, v55
	v_pk_fma_f16 v31, v61, v88, v31
	v_pk_fma_f16 v43, v62, v88, v43
	v_and_b32_e32 v56, 0xffff, v56
	v_mul_u32_u24_e32 v91, 0x10001, v91
	v_lshrrev_b32_e32 v93, 16, v57
	v_pk_fma_f16 v31, v63, v49, v31
	v_pk_fma_f16 v43, v64, v49, v43
	v_mul_u32_u24_e32 v56, 0x10001, v56
	v_and_b32_e32 v57, 0xffff, v57
	v_mul_u32_u24_e32 v92, 0x10001, v92
	v_pk_fma_f16 v31, v65, v89, v31
	v_pk_fma_f16 v43, v66, v89, v43
	v_lshrrev_b32_e32 v94, 16, v58
	v_mul_u32_u24_e32 v57, 0x10001, v57
	v_and_b32_e32 v58, 0xffff, v58
	v_pk_fma_f16 v31, v67, v50, v31
	v_pk_fma_f16 v43, v68, v50, v43
	v_mul_u32_u24_e32 v93, 0x10001, v93
	v_mov_b32_e32 v47, v105
	v_mul_u32_u24_e32 v58, 0x10001, v58
	v_pk_fma_f16 v31, v69, v90, v31
	v_pk_fma_f16 v43, v70, v90, v43
	v_mul_u32_u24_e32 v48, 0x10001, v94
	s_wait_kmcnt 0x0
	s_lshl_b32 s3, s3, 5
	v_fmac_f32_e32 v47, v106, v104
	v_pk_fma_f16 v31, v71, v55, v31
	v_pk_fma_f16 v43, v72, v55, v43
	s_wait_alu 0xfffe
	s_add_co_i32 s10, s3, s10
	s_wait_alu 0xfffe
	s_cmp_ge_i32 s10, s28
	v_pk_fma_f16 v31, v73, v91, v31
	v_pk_fma_f16 v43, v74, v91, v43
	s_delay_alu instid0(VALU_DEP_2) | instskip(NEXT) | instid1(VALU_DEP_2)
	v_pk_fma_f16 v31, v75, v56, v31
	v_pk_fma_f16 v43, v76, v56, v43
	s_delay_alu instid0(VALU_DEP_2) | instskip(NEXT) | instid1(VALU_DEP_2)
	;; [unrolled: 3-line block ×6, first 2 shown]
	v_pk_fma_f16 v31, v85, v48, v31
	v_pk_fma_f16 v43, v86, v48, v43
	s_cbranch_scc0 .LBB49_9
; %bb.10:
	v_mov_b32_e32 v5, v24
.LBB49_11:
	v_cmp_lt_i32_e32 vcc_lo, v30, v25
	s_cmp_lg_u64 s[12:13], 0
	s_cselect_b32 s3, -1, 0
	s_cmp_eq_u32 s4, 0
	s_wait_alu 0xfffd
	v_cndmask_b32_e32 v0, v5, v30, vcc_lo
	v_cmp_lt_i32_e32 vcc_lo, v29, v25
	s_cselect_b32 s5, -1, 0
	s_wait_alu 0xfffe
	s_and_b32 s3, s5, s3
	s_wait_alu 0xfffd
	v_cndmask_b32_e32 v3, v5, v29, vcc_lo
	v_cmp_lt_i32_e32 vcc_lo, v28, v25
	s_delay_alu instid0(VALU_DEP_2)
	v_lshlrev_b32_e32 v3, 2, v3
	v_lshlrev_b32_e32 v0, 2, v0
	s_wait_alu 0xfffd
	v_cndmask_b32_e32 v4, v5, v28, vcc_lo
	v_cmp_lt_i32_e32 vcc_lo, v27, v25
	ds_bpermute_b32 v0, v0, v47
	v_lshlrev_b32_e32 v4, 2, v4
	s_wait_dscnt 0x0
	v_add_f32_e32 v0, v47, v0
	ds_bpermute_b32 v3, v3, v0
	s_wait_dscnt 0x0
	v_add_f32_e32 v0, v0, v3
	ds_bpermute_b32 v3, v4, v0
	s_wait_alu 0xfffd
	v_cndmask_b32_e32 v4, v5, v27, vcc_lo
	v_cmp_lt_i32_e32 vcc_lo, v26, v25
	s_delay_alu instid0(VALU_DEP_2)
	v_lshlrev_b32_e32 v4, 2, v4
	s_wait_dscnt 0x0
	v_add_f32_e32 v0, v0, v3
	ds_bpermute_b32 v3, v4, v0
	s_wait_alu 0xfffd
	v_cndmask_b32_e32 v4, v5, v26, vcc_lo
	s_wait_alu 0xfffe
	s_and_b32 vcc_lo, exec_lo, s3
	s_delay_alu instid0(VALU_DEP_1)
	v_lshlrev_b32_e32 v4, 2, v4
	s_wait_dscnt 0x0
	v_dual_add_f32 v0, v0, v3 :: v_dual_add_nc_u32 v3, s33, v21
	ds_bpermute_b32 v4, v4, v0
	s_wait_dscnt 0x0
	v_add_f32_e32 v21, v0, v4
	s_wait_alu 0xfffe
	s_cbranch_vccz .LBB49_13
; %bb.12:
	v_ashrrev_i32_e32 v4, 31, v3
	s_delay_alu instid0(VALU_DEP_1) | instskip(NEXT) | instid1(VALU_DEP_1)
	v_lshlrev_b64_e32 v[4:5], 2, v[3:4]
	v_add_co_u32 v4, vcc_lo, s12, v4
	s_wait_alu 0xfffd
	s_delay_alu instid0(VALU_DEP_2) | instskip(SKIP_4) | instid1(VALU_DEP_1)
	v_add_co_ci_u32_e64 v5, null, s13, v5, vcc_lo
	global_load_b32 v0, v[4:5], off
	v_max_num_f32_e32 v4, v20, v20
	s_wait_loadcnt 0x0
	v_max_num_f32_e32 v5, v0, v0
	v_max_num_f32_e32 v4, v4, v5
	s_delay_alu instid0(VALU_DEP_1) | instskip(NEXT) | instid1(VALU_DEP_1)
	v_sub_f32_e32 v0, v0, v4
	v_mul_f32_e32 v9, 0x3fb8aa3b, v0
	v_sub_f32_e32 v5, v20, v4
	v_mov_b32_e32 v20, v4
	s_delay_alu instid0(VALU_DEP_3) | instskip(NEXT) | instid1(VALU_DEP_3)
	v_rndne_f32_e32 v11, v9
	v_mul_f32_e32 v6, 0x3fb8aa3b, v5
	v_fma_f32 v10, 0x3fb8aa3b, v0, -v9
	v_cmp_ngt_f32_e32 vcc_lo, 0xc2ce8ed0, v5
	s_delay_alu instid0(VALU_DEP_3) | instskip(SKIP_1) | instid1(VALU_DEP_2)
	v_fma_f32 v7, 0x3fb8aa3b, v5, -v6
	v_rndne_f32_e32 v8, v6
	v_dual_fmac_f32 v10, 0x32a5705f, v0 :: v_dual_fmac_f32 v7, 0x32a5705f, v5
	s_delay_alu instid0(VALU_DEP_2) | instskip(SKIP_1) | instid1(VALU_DEP_2)
	v_sub_f32_e32 v6, v6, v8
	v_cvt_i32_f32_e32 v8, v8
	v_add_f32_e32 v6, v6, v7
	v_sub_f32_e32 v7, v9, v11
	s_delay_alu instid0(VALU_DEP_2) | instskip(NEXT) | instid1(VALU_DEP_1)
	v_exp_f32_e32 v6, v6
	v_add_f32_e32 v7, v7, v10
	s_delay_alu instid0(VALU_DEP_1) | instskip(NEXT) | instid1(TRANS32_DEP_2)
	v_exp_f32_e32 v7, v7
	v_ldexp_f32 v6, v6, v8
	v_cvt_i32_f32_e32 v8, v11
	s_wait_alu 0xfffd
	s_delay_alu instid0(VALU_DEP_2)
	v_cndmask_b32_e32 v6, 0, v6, vcc_lo
	v_cmp_nlt_f32_e32 vcc_lo, 0x42b17218, v5
	s_delay_alu instid0(TRANS32_DEP_1) | instid1(VALU_DEP_3)
	v_ldexp_f32 v7, v7, v8
	s_wait_alu 0xfffd
	s_delay_alu instid0(VALU_DEP_3) | instskip(SKIP_3) | instid1(VALU_DEP_3)
	v_cndmask_b32_e32 v5, 0x7f800000, v6, vcc_lo
	v_cmp_ngt_f32_e32 vcc_lo, 0xc2ce8ed0, v0
	s_wait_alu 0xfffd
	v_cndmask_b32_e32 v6, 0, v7, vcc_lo
	v_cvt_f16_f32_e32 v7, v5
	v_cmp_nlt_f32_e32 vcc_lo, 0x42b17218, v0
	s_wait_alu 0xfffd
	s_delay_alu instid0(VALU_DEP_3) | instskip(NEXT) | instid1(VALU_DEP_3)
	v_cndmask_b32_e32 v0, 0x7f800000, v6, vcc_lo
	v_and_b32_e32 v6, 0xffff, v7
	s_delay_alu instid0(VALU_DEP_2) | instskip(NEXT) | instid1(VALU_DEP_2)
	v_fmac_f32_e32 v0, v21, v5
	v_mul_u32_u24_e32 v5, 0x10001, v6
	s_delay_alu instid0(VALU_DEP_2) | instskip(NEXT) | instid1(VALU_DEP_2)
	v_mov_b32_e32 v21, v0
	v_pk_mul_f16 v31, v31, v5
	v_pk_mul_f16 v43, v43, v5
.LBB49_13:
	s_delay_alu instid0(VALU_DEP_1) | instskip(SKIP_4) | instid1(TRANS32_DEP_1)
	v_div_scale_f32 v4, null, v21, v21, 1.0
	v_div_scale_f32 v6, vcc_lo, 1.0, v21, 1.0
	s_load_b32 s0, s[0:1], 0xd4
	v_rcp_f32_e32 v5, v4
	v_cvt_f32_f16_e32 v9, v43
	v_fma_f32 v0, -v4, v5, 1.0
	s_delay_alu instid0(VALU_DEP_1) | instskip(SKIP_3) | instid1(VALU_DEP_2)
	v_fmac_f32_e32 v5, v0, v5
	v_mad_co_u64_u32 v[0:1], null, s2, s22, v[1:2]
	s_wait_kmcnt 0x0
	s_cmp_lg_u32 s0, 1
	v_mul_f32_e32 v7, v6, v5
	s_cselect_b32 s1, -1, 0
	s_delay_alu instid0(VALU_DEP_2) | instskip(NEXT) | instid1(VALU_DEP_2)
	v_mad_co_u64_u32 v[0:1], null, v0, s23, v[3:4]
	v_fma_f32 v8, -v4, v7, v6
	s_delay_alu instid0(VALU_DEP_1) | instskip(NEXT) | instid1(VALU_DEP_3)
	v_fmac_f32_e32 v7, v8, v5
	v_mad_co_u64_u32 v[0:1], null, s0, v0, s[4:5]
	s_delay_alu instid0(VALU_DEP_2) | instskip(SKIP_2) | instid1(VALU_DEP_3)
	v_fma_f32 v3, -v4, v7, v6
	v_lshrrev_b32_e32 v6, 16, v43
	v_cvt_f32_f16_e32 v4, v31
	v_div_fmas_f32 v1, v3, v5, v7
	v_cmp_eq_u32_e32 vcc_lo, 0, v2
	v_lshrrev_b32_e32 v5, 16, v31
	v_lshl_add_u32 v2, v0, 7, v22
	v_cvt_f32_f16_e32 v10, v6
	v_div_fixup_f32 v1, v1, v21, 1.0
	s_delay_alu instid0(VALU_DEP_4) | instskip(SKIP_1) | instid1(VALU_DEP_2)
	v_cvt_f32_f16_e32 v8, v5
	s_wait_alu 0xfffe
	v_cndmask_b32_e64 v7, v1, 1.0, s1
	v_mov_b32_e32 v3, 0
	s_delay_alu instid0(VALU_DEP_2) | instskip(SKIP_1) | instid1(VALU_DEP_3)
	v_mul_f32_e32 v1, v7, v4
	v_mul_f32_e32 v4, v7, v10
	v_lshlrev_b64_e32 v[5:6], 2, v[2:3]
	v_mul_f32_e32 v2, v7, v8
	v_mul_f32_e32 v3, v7, v9
	s_delay_alu instid0(VALU_DEP_3) | instskip(SKIP_1) | instid1(VALU_DEP_4)
	v_add_co_u32 v5, s0, s16, v5
	s_wait_alu 0xf1ff
	v_add_co_ci_u32_e64 v6, null, s17, v6, s0
	s_and_b32 s0, vcc_lo, s1
	global_store_b128 v[5:6], v[1:4], off
	s_wait_alu 0xfffe
	s_and_saveexec_b32 s1, s0
	s_cbranch_execz .LBB49_15
; %bb.14:
	v_ashrrev_i32_e32 v1, 31, v0
	s_delay_alu instid0(VALU_DEP_1) | instskip(NEXT) | instid1(VALU_DEP_1)
	v_lshlrev_b64_e32 v[0:1], 3, v[0:1]
	v_add_co_u32 v0, vcc_lo, s18, v0
	s_wait_alu 0xfffd
	s_delay_alu instid0(VALU_DEP_2)
	v_add_co_ci_u32_e64 v1, null, s19, v1, vcc_lo
	global_store_b64 v[0:1], v[20:21], off
.LBB49_15:
	s_nop 0
	s_sendmsg sendmsg(MSG_DEALLOC_VGPRS)
	s_endpgm
	.section	.rodata,"a",@progbits
	.p2align	6, 0x0
	.amdhsa_kernel _ZL15flash_attn_tileILi128ELi128ELi1ELi2ELb0EEvPKcS1_S1_S1_S1_PKiPfP15HIP_vector_typeIfLj2EEffffjfiS5_IjLj3EEiiiiiiiiiiiliiliiiiil
		.amdhsa_group_segment_fixed_size 5248
		.amdhsa_private_segment_fixed_size 0
		.amdhsa_kernarg_size 464
		.amdhsa_user_sgpr_count 2
		.amdhsa_user_sgpr_dispatch_ptr 0
		.amdhsa_user_sgpr_queue_ptr 0
		.amdhsa_user_sgpr_kernarg_segment_ptr 1
		.amdhsa_user_sgpr_dispatch_id 0
		.amdhsa_user_sgpr_private_segment_size 0
		.amdhsa_wavefront_size32 1
		.amdhsa_uses_dynamic_stack 0
		.amdhsa_enable_private_segment 0
		.amdhsa_system_sgpr_workgroup_id_x 1
		.amdhsa_system_sgpr_workgroup_id_y 1
		.amdhsa_system_sgpr_workgroup_id_z 1
		.amdhsa_system_sgpr_workgroup_info 0
		.amdhsa_system_vgpr_workitem_id 1
		.amdhsa_next_free_vgpr 115
		.amdhsa_next_free_sgpr 43
		.amdhsa_reserve_vcc 1
		.amdhsa_float_round_mode_32 0
		.amdhsa_float_round_mode_16_64 0
		.amdhsa_float_denorm_mode_32 3
		.amdhsa_float_denorm_mode_16_64 3
		.amdhsa_fp16_overflow 0
		.amdhsa_workgroup_processor_mode 1
		.amdhsa_memory_ordered 1
		.amdhsa_forward_progress 1
		.amdhsa_inst_pref_size 47
		.amdhsa_round_robin_scheduling 0
		.amdhsa_exception_fp_ieee_invalid_op 0
		.amdhsa_exception_fp_denorm_src 0
		.amdhsa_exception_fp_ieee_div_zero 0
		.amdhsa_exception_fp_ieee_overflow 0
		.amdhsa_exception_fp_ieee_underflow 0
		.amdhsa_exception_fp_ieee_inexact 0
		.amdhsa_exception_int_div_zero 0
	.end_amdhsa_kernel
	.section	.text._ZL15flash_attn_tileILi128ELi128ELi1ELi2ELb0EEvPKcS1_S1_S1_S1_PKiPfP15HIP_vector_typeIfLj2EEffffjfiS5_IjLj3EEiiiiiiiiiiiliiliiiiil,"axG",@progbits,_ZL15flash_attn_tileILi128ELi128ELi1ELi2ELb0EEvPKcS1_S1_S1_S1_PKiPfP15HIP_vector_typeIfLj2EEffffjfiS5_IjLj3EEiiiiiiiiiiiliiliiiiil,comdat
.Lfunc_end49:
	.size	_ZL15flash_attn_tileILi128ELi128ELi1ELi2ELb0EEvPKcS1_S1_S1_S1_PKiPfP15HIP_vector_typeIfLj2EEffffjfiS5_IjLj3EEiiiiiiiiiiiliiliiiiil, .Lfunc_end49-_ZL15flash_attn_tileILi128ELi128ELi1ELi2ELb0EEvPKcS1_S1_S1_S1_PKiPfP15HIP_vector_typeIfLj2EEffffjfiS5_IjLj3EEiiiiiiiiiiiliiliiiiil
                                        ; -- End function
	.set _ZL15flash_attn_tileILi128ELi128ELi1ELi2ELb0EEvPKcS1_S1_S1_S1_PKiPfP15HIP_vector_typeIfLj2EEffffjfiS5_IjLj3EEiiiiiiiiiiiliiliiiiil.num_vgpr, 115
	.set _ZL15flash_attn_tileILi128ELi128ELi1ELi2ELb0EEvPKcS1_S1_S1_S1_PKiPfP15HIP_vector_typeIfLj2EEffffjfiS5_IjLj3EEiiiiiiiiiiiliiliiiiil.num_agpr, 0
	.set _ZL15flash_attn_tileILi128ELi128ELi1ELi2ELb0EEvPKcS1_S1_S1_S1_PKiPfP15HIP_vector_typeIfLj2EEffffjfiS5_IjLj3EEiiiiiiiiiiiliiliiiiil.numbered_sgpr, 43
	.set _ZL15flash_attn_tileILi128ELi128ELi1ELi2ELb0EEvPKcS1_S1_S1_S1_PKiPfP15HIP_vector_typeIfLj2EEffffjfiS5_IjLj3EEiiiiiiiiiiiliiliiiiil.num_named_barrier, 0
	.set _ZL15flash_attn_tileILi128ELi128ELi1ELi2ELb0EEvPKcS1_S1_S1_S1_PKiPfP15HIP_vector_typeIfLj2EEffffjfiS5_IjLj3EEiiiiiiiiiiiliiliiiiil.private_seg_size, 0
	.set _ZL15flash_attn_tileILi128ELi128ELi1ELi2ELb0EEvPKcS1_S1_S1_S1_PKiPfP15HIP_vector_typeIfLj2EEffffjfiS5_IjLj3EEiiiiiiiiiiiliiliiiiil.uses_vcc, 1
	.set _ZL15flash_attn_tileILi128ELi128ELi1ELi2ELb0EEvPKcS1_S1_S1_S1_PKiPfP15HIP_vector_typeIfLj2EEffffjfiS5_IjLj3EEiiiiiiiiiiiliiliiiiil.uses_flat_scratch, 0
	.set _ZL15flash_attn_tileILi128ELi128ELi1ELi2ELb0EEvPKcS1_S1_S1_S1_PKiPfP15HIP_vector_typeIfLj2EEffffjfiS5_IjLj3EEiiiiiiiiiiiliiliiiiil.has_dyn_sized_stack, 0
	.set _ZL15flash_attn_tileILi128ELi128ELi1ELi2ELb0EEvPKcS1_S1_S1_S1_PKiPfP15HIP_vector_typeIfLj2EEffffjfiS5_IjLj3EEiiiiiiiiiiiliiliiiiil.has_recursion, 0
	.set _ZL15flash_attn_tileILi128ELi128ELi1ELi2ELb0EEvPKcS1_S1_S1_S1_PKiPfP15HIP_vector_typeIfLj2EEffffjfiS5_IjLj3EEiiiiiiiiiiiliiliiiiil.has_indirect_call, 0
	.section	.AMDGPU.csdata,"",@progbits
; Kernel info:
; codeLenInByte = 5916
; TotalNumSgprs: 45
; NumVgprs: 115
; ScratchSize: 0
; MemoryBound: 0
; FloatMode: 240
; IeeeMode: 1
; LDSByteSize: 5248 bytes/workgroup (compile time only)
; SGPRBlocks: 0
; VGPRBlocks: 14
; NumSGPRsForWavesPerEU: 45
; NumVGPRsForWavesPerEU: 115
; Occupancy: 12
; WaveLimiterHint : 1
; COMPUTE_PGM_RSRC2:SCRATCH_EN: 0
; COMPUTE_PGM_RSRC2:USER_SGPR: 2
; COMPUTE_PGM_RSRC2:TRAP_HANDLER: 0
; COMPUTE_PGM_RSRC2:TGID_X_EN: 1
; COMPUTE_PGM_RSRC2:TGID_Y_EN: 1
; COMPUTE_PGM_RSRC2:TGID_Z_EN: 1
; COMPUTE_PGM_RSRC2:TIDIG_COMP_CNT: 1
	.section	.text._ZL33flash_attn_stream_k_fixup_uniformILi128ELi1ELi2EEvPfPK15HIP_vector_typeIfLj2EEiiiiiiS1_IjLj3EES5_S5_,"axG",@progbits,_ZL33flash_attn_stream_k_fixup_uniformILi128ELi1ELi2EEvPfPK15HIP_vector_typeIfLj2EEiiiiiiS1_IjLj3EES5_S5_,comdat
	.globl	_ZL33flash_attn_stream_k_fixup_uniformILi128ELi1ELi2EEvPfPK15HIP_vector_typeIfLj2EEiiiiiiS1_IjLj3EES5_S5_ ; -- Begin function _ZL33flash_attn_stream_k_fixup_uniformILi128ELi1ELi2EEvPfPK15HIP_vector_typeIfLj2EEiiiiiiS1_IjLj3EES5_S5_
	.p2align	8
	.type	_ZL33flash_attn_stream_k_fixup_uniformILi128ELi1ELi2EEvPfPK15HIP_vector_typeIfLj2EEiiiiiiS1_IjLj3EES5_S5_,@function
_ZL33flash_attn_stream_k_fixup_uniformILi128ELi1ELi2EEvPfPK15HIP_vector_typeIfLj2EEiiiiiiS1_IjLj3EES5_S5_: ; @_ZL33flash_attn_stream_k_fixup_uniformILi128ELi1ELi2EEvPfPK15HIP_vector_typeIfLj2EEiiiiiiS1_IjLj3EES5_S5_
; %bb.0:
	s_clause 0x1
	s_load_b256 s[4:11], s[0:1], 0x1c
	s_load_b128 s[16:19], s[0:1], 0x3c
	s_wait_kmcnt 0x0
	s_mul_hi_u32 s2, s7, ttmp9
	s_delay_alu instid0(SALU_CYCLE_1) | instskip(NEXT) | instid1(SALU_CYCLE_1)
	s_add_co_i32 s2, ttmp9, s2
	s_lshr_b32 s12, s2, s8
	s_delay_alu instid0(SALU_CYCLE_1) | instskip(SKIP_2) | instid1(SALU_CYCLE_1)
	s_mul_i32 s2, s12, s9
	s_load_b64 s[8:9], s[0:1], 0x10
	s_sub_co_i32 s2, ttmp9, s2
	s_mul_hi_u32 s3, s2, s10
	s_and_b32 s10, ttmp7, 0xffff
	s_add_co_i32 s3, s2, s3
	s_delay_alu instid0(SALU_CYCLE_1) | instskip(NEXT) | instid1(SALU_CYCLE_1)
	s_lshr_b32 s11, s3, s11
	s_mul_i32 s3, s11, s16
	s_delay_alu instid0(SALU_CYCLE_1) | instskip(NEXT) | instid1(SALU_CYCLE_1)
	s_sub_co_i32 s2, s2, s3
	s_mul_hi_u32 s3, s2, s17
	s_delay_alu instid0(SALU_CYCLE_1) | instskip(NEXT) | instid1(SALU_CYCLE_1)
	s_add_co_i32 s3, s2, s3
	s_lshr_b32 s3, s3, s18
	s_delay_alu instid0(SALU_CYCLE_1)
	s_mul_i32 s7, s3, s19
	s_lshl_b32 s14, s3, 1
	s_sub_co_i32 s13, s2, s7
	s_lshr_b32 s7, ttmp7, 16
	s_add_co_i32 s13, s13, s10
	s_wait_kmcnt 0x0
	s_cmp_lt_i32 s13, s8
	s_cselect_b32 s2, -1, 0
	s_add_co_i32 s14, s14, s7
	s_delay_alu instid0(SALU_CYCLE_1) | instskip(SKIP_1) | instid1(SALU_CYCLE_1)
	s_cmp_lt_i32 s14, s5
	s_cselect_b32 s3, -1, 0
	s_and_b32 s2, s2, s3
	s_delay_alu instid0(SALU_CYCLE_1)
	s_and_not1_b32 vcc_lo, exec_lo, s2
	s_cbranch_vccnz .LBB50_6
; %bb.1:
	s_mul_i32 s12, s12, s8
	s_mul_i32 s11, s11, s5
	s_add_co_i32 s5, s13, s12
	s_load_b128 s[0:3], s[0:1], 0x0
	s_add_co_i32 s8, s14, s11
	s_mul_i32 s5, s5, s9
	s_delay_alu instid0(SALU_CYCLE_1) | instskip(NEXT) | instid1(SALU_CYCLE_1)
	s_add_co_i32 s8, s8, s5
	v_lshl_or_b32 v1, s8, 7, v0
	s_mul_i32 s8, s6, ttmp9
	s_wait_alu 0xfffe
	s_add_co_i32 s9, s8, s6
	s_delay_alu instid0(VALU_DEP_1) | instskip(SKIP_2) | instid1(VALU_DEP_1)
	v_ashrrev_i32_e32 v2, 31, v1
	s_wait_alu 0xfffe
	s_add_co_i32 s5, s9, -2
	v_lshlrev_b64_e32 v[1:2], 2, v[1:2]
	s_wait_kmcnt 0x0
	s_delay_alu instid0(VALU_DEP_1) | instskip(NEXT) | instid1(VALU_DEP_1)
	v_add_co_u32 v1, vcc_lo, s0, v1
	v_add_co_ci_u32_e64 v2, null, s1, v2, vcc_lo
	s_add_co_i32 s0, s10, s9
	s_wait_alu 0xfffe
	s_lshl_b32 s0, s0, 1
	global_load_b32 v5, v[1:2], off
	s_wait_alu 0xfffe
	s_add_co_i32 s0, s0, s7
	s_wait_alu 0xfffe
	s_add_co_i32 s0, s0, -2
	s_wait_alu 0xfffe
	s_ashr_i32 s1, s0, 31
	s_wait_alu 0xfffe
	s_lshl_b64 s[0:1], s[0:1], 3
	s_cmp_lt_i32 s5, s8
	s_wait_alu 0xfffe
	s_add_nc_u64 s[0:1], s[2:3], s[0:1]
	s_load_b32 s11, s[0:1], 0x4
	s_cbranch_scc1 .LBB50_4
; %bb.2:
	s_load_b32 s0, s[0:1], 0x0
	s_add_co_i32 s1, ttmp9, 1
	s_lshl_b32 s5, s7, 7
	s_wait_alu 0xfffe
	s_mul_i32 s1, s6, s1
	s_lshl_b32 s6, s10, 8
	s_wait_alu 0xfffe
	s_lshl_b32 s1, s1, 8
	s_add_co_i32 s5, s5, s6
	s_lshl_b32 s12, s4, 3
	s_wait_alu 0xfffe
	s_add_co_i32 s5, s5, s1
	s_add_co_i32 s1, s10, s4
	v_or_b32_e32 v0, s5, v0
	s_wait_alu 0xfffe
	s_add_co_i32 s1, s1, s9
	s_ashr_i32 s13, s12, 31
	s_wait_alu 0xfffe
	s_lshl_b32 s1, s1, 1
	s_wait_kmcnt 0x0
	v_dual_mov_b32 v6, s11 :: v_dual_add_nc_u32 v3, 0xfffffe00, v0
	s_lshl_b64 s[4:5], s[12:13], 2
	s_wait_alu 0xfffe
	s_add_co_i32 s6, s7, s1
	s_add_nc_u64 s[4:5], s[2:3], s[4:5]
	s_add_co_i32 s1, s9, -1
	s_add_co_i32 s6, s6, -4
.LBB50_3:                               ; =>This Inner Loop Header: Depth=1
	v_ashrrev_i32_e32 v4, 31, v3
	s_ashr_i32 s7, s6, 31
	v_mov_b32_e32 v10, v6
	s_lshl_b64 s[10:11], s[6:7], 3
	s_wait_loadcnt 0x0
	v_mov_b32_e32 v9, v5
	v_lshlrev_b64_e32 v[7:8], 2, v[3:4]
	s_wait_alu 0xfffe
	s_add_nc_u64 s[10:11], s[2:3], s[10:11]
	v_max_num_f32_e64 v4, s0, s0
	s_load_b64 s[10:11], s[10:11], 0x0
	v_add_nc_u32_e32 v3, 0xffffff00, v3
	v_add_co_u32 v7, vcc_lo, s4, v7
	s_wait_alu 0xfffd
	v_add_co_ci_u32_e64 v8, null, s5, v8, vcc_lo
	v_readfirstlane_b32 s7, v4
	global_load_b32 v0, v[7:8], off
	s_wait_kmcnt 0x0
	v_max_num_f32_e64 v4, s10, s10
	s_delay_alu instid0(VALU_DEP_1) | instskip(SKIP_1) | instid1(SALU_CYCLE_3)
	v_readfirstlane_b32 s9, v4
	s_max_num_f32 s7, s7, s9
	s_sub_f32 s0, s0, s7
	s_sub_f32 s9, s10, s7
	s_wait_alu 0xfffe
	s_delay_alu instid0(SALU_CYCLE_1) | instskip(NEXT) | instid1(SALU_CYCLE_1)
	s_mul_f32 s10, s0, 0x3fb8aa3b
	s_mul_f32 s12, s9, 0x3fb8aa3b
	s_wait_alu 0xfffe
	s_delay_alu instid0(SALU_CYCLE_1)
	s_xor_b32 s13, s10, 0x80000000
	s_rndne_f32 s14, s10
	s_fmamk_f32 s13, s0, 0x3fb8aa3b, s13
	s_cmp_nlt_f32 s0, 0xc2ce8ed0
	s_rndne_f32 s15, s12
	s_wait_alu 0xfffe
	s_sub_f32 s10, s10, s14
	s_fmamk_f32 s13, s0, 0x32a5705f, s13
	s_cvt_i32_f32 s14, s14
	s_cselect_b32 vcc_lo, -1, 0
	s_cmp_ngt_f32 s0, 0x42b17218
	s_wait_alu 0xfffe
	s_add_f32 s10, s10, s13
	s_sub_f32 s13, s12, s15
	s_wait_alu 0xfffe
	s_delay_alu instid0(SALU_CYCLE_1) | instskip(SKIP_1) | instid1(TRANS32_DEP_1)
	v_s_exp_f32 s10, s10
	s_wait_alu 0xf1ff
	v_ldexp_f32 v4, s10, s14
	s_cvt_i32_f32 s10, s15
	s_delay_alu instid0(VALU_DEP_1) | instskip(SKIP_3) | instid1(VALU_DEP_1)
	v_cndmask_b32_e32 v4, 0, v4, vcc_lo
	s_cselect_b32 vcc_lo, -1, 0
	s_cmp_ge_f32 s0, 0xc1a00000
	s_wait_alu 0xfffe
	v_cndmask_b32_e32 v4, 0x7f800000, v4, vcc_lo
	s_cselect_b32 vcc_lo, -1, 0
	s_xor_b32 s0, s12, 0x80000000
	s_cmp_nlt_f32 s9, 0xc2ce8ed0
	s_wait_alu 0xfffe
	s_fmamk_f32 s0, s9, 0x3fb8aa3b, s0
	s_wait_alu 0xfffe
	s_delay_alu instid0(SALU_CYCLE_2) | instskip(SKIP_1) | instid1(SALU_CYCLE_2)
	s_fmamk_f32 s0, s9, 0x32a5705f, s0
	s_wait_alu 0xfffe
	s_add_f32 s0, s13, s0
	s_wait_alu 0xfffe
	s_delay_alu instid0(SALU_CYCLE_2) | instskip(SKIP_1) | instid1(TRANS32_DEP_1)
	v_s_exp_f32 s0, s0
	s_wait_alu 0xf1ff
	v_ldexp_f32 v7, s0, s10
	s_cselect_b32 s0, -1, 0
	s_cmp_ngt_f32 s9, 0x42b17218
	s_wait_alu 0xfffe
	s_delay_alu instid0(VALU_DEP_1) | instskip(SKIP_3) | instid1(VALU_DEP_1)
	v_cndmask_b32_e64 v7, 0, v7, s0
	s_cselect_b32 s0, -1, 0
	s_cmp_ge_f32 s9, 0xc1a00000
	s_wait_alu 0xfffe
	v_cndmask_b32_e64 v7, 0x7f800000, v7, s0
	s_cselect_b32 s0, -1, 0
	s_add_co_i32 s1, s1, -1
	s_add_co_i32 s6, s6, -2
	s_wait_alu 0xfffe
	s_cmp_le_i32 s1, s8
	v_cndmask_b32_e64 v7, 0, v7, s0
	s_mov_b32 s0, s7
	s_wait_loadcnt 0x0
	s_delay_alu instid0(VALU_DEP_1) | instskip(NEXT) | instid1(VALU_DEP_1)
	v_dual_mul_f32 v5, v0, v7 :: v_dual_cndmask_b32 v4, 0, v4
	v_dual_mul_f32 v8, s11, v7 :: v_dual_fmac_f32 v5, v9, v4
	s_delay_alu instid0(VALU_DEP_1) | instskip(NEXT) | instid1(VALU_DEP_1)
	v_mov_b32_e32 v6, v8
	v_fmac_f32_e32 v6, v10, v4
	s_cbranch_scc0 .LBB50_3
	s_branch .LBB50_5
.LBB50_4:
	s_wait_kmcnt 0x0
	v_mov_b32_e32 v6, s11
.LBB50_5:
	s_wait_loadcnt 0x0
	s_delay_alu instid0(VALU_DEP_1) | instskip(NEXT) | instid1(VALU_DEP_1)
	v_div_scale_f32 v0, null, v6, v6, v5
	v_rcp_f32_e32 v3, v0
	s_delay_alu instid0(TRANS32_DEP_1) | instskip(NEXT) | instid1(VALU_DEP_1)
	v_fma_f32 v4, -v0, v3, 1.0
	v_fmac_f32_e32 v3, v4, v3
	v_div_scale_f32 v4, vcc_lo, v5, v6, v5
	s_delay_alu instid0(VALU_DEP_1) | instskip(NEXT) | instid1(VALU_DEP_1)
	v_mul_f32_e32 v7, v4, v3
	v_fma_f32 v8, -v0, v7, v4
	s_delay_alu instid0(VALU_DEP_1) | instskip(NEXT) | instid1(VALU_DEP_1)
	v_fmac_f32_e32 v7, v8, v3
	v_fma_f32 v0, -v0, v7, v4
	s_wait_alu 0xfffd
	s_delay_alu instid0(VALU_DEP_1) | instskip(NEXT) | instid1(VALU_DEP_1)
	v_div_fmas_f32 v0, v0, v3, v7
	v_div_fixup_f32 v0, v0, v6, v5
	global_store_b32 v[1:2], v0, off
.LBB50_6:
	s_endpgm
	.section	.rodata,"a",@progbits
	.p2align	6, 0x0
	.amdhsa_kernel _ZL33flash_attn_stream_k_fixup_uniformILi128ELi1ELi2EEvPfPK15HIP_vector_typeIfLj2EEiiiiiiS1_IjLj3EES5_S5_
		.amdhsa_group_segment_fixed_size 0
		.amdhsa_private_segment_fixed_size 0
		.amdhsa_kernarg_size 76
		.amdhsa_user_sgpr_count 2
		.amdhsa_user_sgpr_dispatch_ptr 0
		.amdhsa_user_sgpr_queue_ptr 0
		.amdhsa_user_sgpr_kernarg_segment_ptr 1
		.amdhsa_user_sgpr_dispatch_id 0
		.amdhsa_user_sgpr_private_segment_size 0
		.amdhsa_wavefront_size32 1
		.amdhsa_uses_dynamic_stack 0
		.amdhsa_enable_private_segment 0
		.amdhsa_system_sgpr_workgroup_id_x 1
		.amdhsa_system_sgpr_workgroup_id_y 1
		.amdhsa_system_sgpr_workgroup_id_z 1
		.amdhsa_system_sgpr_workgroup_info 0
		.amdhsa_system_vgpr_workitem_id 0
		.amdhsa_next_free_vgpr 11
		.amdhsa_next_free_sgpr 20
		.amdhsa_reserve_vcc 1
		.amdhsa_float_round_mode_32 0
		.amdhsa_float_round_mode_16_64 0
		.amdhsa_float_denorm_mode_32 3
		.amdhsa_float_denorm_mode_16_64 3
		.amdhsa_fp16_overflow 0
		.amdhsa_workgroup_processor_mode 1
		.amdhsa_memory_ordered 1
		.amdhsa_forward_progress 1
		.amdhsa_inst_pref_size 9
		.amdhsa_round_robin_scheduling 0
		.amdhsa_exception_fp_ieee_invalid_op 0
		.amdhsa_exception_fp_denorm_src 0
		.amdhsa_exception_fp_ieee_div_zero 0
		.amdhsa_exception_fp_ieee_overflow 0
		.amdhsa_exception_fp_ieee_underflow 0
		.amdhsa_exception_fp_ieee_inexact 0
		.amdhsa_exception_int_div_zero 0
	.end_amdhsa_kernel
	.section	.text._ZL33flash_attn_stream_k_fixup_uniformILi128ELi1ELi2EEvPfPK15HIP_vector_typeIfLj2EEiiiiiiS1_IjLj3EES5_S5_,"axG",@progbits,_ZL33flash_attn_stream_k_fixup_uniformILi128ELi1ELi2EEvPfPK15HIP_vector_typeIfLj2EEiiiiiiS1_IjLj3EES5_S5_,comdat
.Lfunc_end50:
	.size	_ZL33flash_attn_stream_k_fixup_uniformILi128ELi1ELi2EEvPfPK15HIP_vector_typeIfLj2EEiiiiiiS1_IjLj3EES5_S5_, .Lfunc_end50-_ZL33flash_attn_stream_k_fixup_uniformILi128ELi1ELi2EEvPfPK15HIP_vector_typeIfLj2EEiiiiiiS1_IjLj3EES5_S5_
                                        ; -- End function
	.set _ZL33flash_attn_stream_k_fixup_uniformILi128ELi1ELi2EEvPfPK15HIP_vector_typeIfLj2EEiiiiiiS1_IjLj3EES5_S5_.num_vgpr, 11
	.set _ZL33flash_attn_stream_k_fixup_uniformILi128ELi1ELi2EEvPfPK15HIP_vector_typeIfLj2EEiiiiiiS1_IjLj3EES5_S5_.num_agpr, 0
	.set _ZL33flash_attn_stream_k_fixup_uniformILi128ELi1ELi2EEvPfPK15HIP_vector_typeIfLj2EEiiiiiiS1_IjLj3EES5_S5_.numbered_sgpr, 20
	.set _ZL33flash_attn_stream_k_fixup_uniformILi128ELi1ELi2EEvPfPK15HIP_vector_typeIfLj2EEiiiiiiS1_IjLj3EES5_S5_.num_named_barrier, 0
	.set _ZL33flash_attn_stream_k_fixup_uniformILi128ELi1ELi2EEvPfPK15HIP_vector_typeIfLj2EEiiiiiiS1_IjLj3EES5_S5_.private_seg_size, 0
	.set _ZL33flash_attn_stream_k_fixup_uniformILi128ELi1ELi2EEvPfPK15HIP_vector_typeIfLj2EEiiiiiiS1_IjLj3EES5_S5_.uses_vcc, 1
	.set _ZL33flash_attn_stream_k_fixup_uniformILi128ELi1ELi2EEvPfPK15HIP_vector_typeIfLj2EEiiiiiiS1_IjLj3EES5_S5_.uses_flat_scratch, 0
	.set _ZL33flash_attn_stream_k_fixup_uniformILi128ELi1ELi2EEvPfPK15HIP_vector_typeIfLj2EEiiiiiiS1_IjLj3EES5_S5_.has_dyn_sized_stack, 0
	.set _ZL33flash_attn_stream_k_fixup_uniformILi128ELi1ELi2EEvPfPK15HIP_vector_typeIfLj2EEiiiiiiS1_IjLj3EES5_S5_.has_recursion, 0
	.set _ZL33flash_attn_stream_k_fixup_uniformILi128ELi1ELi2EEvPfPK15HIP_vector_typeIfLj2EEiiiiiiS1_IjLj3EES5_S5_.has_indirect_call, 0
	.section	.AMDGPU.csdata,"",@progbits
; Kernel info:
; codeLenInByte = 1120
; TotalNumSgprs: 22
; NumVgprs: 11
; ScratchSize: 0
; MemoryBound: 0
; FloatMode: 240
; IeeeMode: 1
; LDSByteSize: 0 bytes/workgroup (compile time only)
; SGPRBlocks: 0
; VGPRBlocks: 1
; NumSGPRsForWavesPerEU: 22
; NumVGPRsForWavesPerEU: 11
; Occupancy: 16
; WaveLimiterHint : 0
; COMPUTE_PGM_RSRC2:SCRATCH_EN: 0
; COMPUTE_PGM_RSRC2:USER_SGPR: 2
; COMPUTE_PGM_RSRC2:TRAP_HANDLER: 0
; COMPUTE_PGM_RSRC2:TGID_X_EN: 1
; COMPUTE_PGM_RSRC2:TGID_Y_EN: 1
; COMPUTE_PGM_RSRC2:TGID_Z_EN: 1
; COMPUTE_PGM_RSRC2:TIDIG_COMP_CNT: 0
	.section	.text._ZL33flash_attn_stream_k_fixup_generalILi128ELi1ELi2EEvPfPK15HIP_vector_typeIfLj2EEiiiiS1_IjLj3EES5_S5_S5_,"axG",@progbits,_ZL33flash_attn_stream_k_fixup_generalILi128ELi1ELi2EEvPfPK15HIP_vector_typeIfLj2EEiiiiS1_IjLj3EES5_S5_S5_,comdat
	.globl	_ZL33flash_attn_stream_k_fixup_generalILi128ELi1ELi2EEvPfPK15HIP_vector_typeIfLj2EEiiiiS1_IjLj3EES5_S5_S5_ ; -- Begin function _ZL33flash_attn_stream_k_fixup_generalILi128ELi1ELi2EEvPfPK15HIP_vector_typeIfLj2EEiiiiS1_IjLj3EES5_S5_S5_
	.p2align	8
	.type	_ZL33flash_attn_stream_k_fixup_generalILi128ELi1ELi2EEvPfPK15HIP_vector_typeIfLj2EEiiiiS1_IjLj3EES5_S5_S5_,@function
_ZL33flash_attn_stream_k_fixup_generalILi128ELi1ELi2EEvPfPK15HIP_vector_typeIfLj2EEiiiiS1_IjLj3EES5_S5_S5_: ; @_ZL33flash_attn_stream_k_fixup_generalILi128ELi1ELi2EEvPfPK15HIP_vector_typeIfLj2EEiiiiS1_IjLj3EES5_S5_S5_
; %bb.0:
	s_clause 0x1
	s_load_b128 s[4:7], s[0:1], 0x10
	s_load_b32 s16, s[0:1], 0x50
	s_mov_b32 s2, ttmp9
	s_ashr_i32 s3, ttmp9, 31
	s_mov_b32 s17, 0
	s_delay_alu instid0(SALU_CYCLE_1) | instskip(SKIP_3) | instid1(SALU_CYCLE_1)
	s_mov_b32 s8, s17
	s_wait_kmcnt 0x0
	s_ashr_i32 s19, s7, 31
	s_mov_b32 s18, s7
	s_mul_u64 s[2:3], s[18:19], s[2:3]
	s_delay_alu instid0(SALU_CYCLE_1) | instskip(NEXT) | instid1(SALU_CYCLE_1)
	s_mov_b32 s9, s3
	s_cmp_lg_u64 s[8:9], 0
	s_cbranch_scc0 .LBB51_21
; %bb.1:
	s_add_nc_u64 s[8:9], s[16:17], 0
	s_mov_b32 s15, s17
	s_xor_b64 s[8:9], s[8:9], 0
	s_mov_b32 s23, s17
	s_cvt_f32_u32 s7, s8
	s_cvt_f32_u32 s10, s9
	s_sub_nc_u64 s[12:13], 0, s[8:9]
	s_delay_alu instid0(SALU_CYCLE_2) | instskip(NEXT) | instid1(SALU_CYCLE_3)
	s_fmamk_f32 s7, s10, 0x4f800000, s7
	v_s_rcp_f32 s7, s7
	s_delay_alu instid0(TRANS32_DEP_1) | instskip(SKIP_1) | instid1(SALU_CYCLE_2)
	s_mul_f32 s7, s7, 0x5f7ffffc
	s_wait_alu 0xfffe
	s_mul_f32 s10, s7, 0x2f800000
	s_delay_alu instid0(SALU_CYCLE_3) | instskip(NEXT) | instid1(SALU_CYCLE_3)
	s_trunc_f32 s10, s10
	s_fmamk_f32 s7, s10, 0xcf800000, s7
	s_cvt_u32_f32 s11, s10
	s_wait_alu 0xfffe
	s_delay_alu instid0(SALU_CYCLE_1) | instskip(NEXT) | instid1(SALU_CYCLE_3)
	s_cvt_u32_f32 s10, s7
	s_mul_u64 s[20:21], s[12:13], s[10:11]
	s_delay_alu instid0(SALU_CYCLE_1)
	s_mul_hi_u32 s25, s10, s21
	s_mul_i32 s24, s10, s21
	s_mul_hi_u32 s14, s10, s20
	s_mul_i32 s22, s11, s20
	s_add_nc_u64 s[14:15], s[14:15], s[24:25]
	s_mul_hi_u32 s7, s11, s20
	s_mul_hi_u32 s26, s11, s21
	s_add_co_u32 s14, s14, s22
	s_wait_alu 0xfffe
	s_add_co_ci_u32 s22, s15, s7
	s_mul_i32 s20, s11, s21
	s_add_co_ci_u32 s21, s26, 0
	s_delay_alu instid0(SALU_CYCLE_1)
	s_add_nc_u64 s[14:15], s[22:23], s[20:21]
	s_mov_b32 s21, s17
	s_add_co_u32 s10, s10, s14
	s_cselect_b32 s7, -1, 0
	s_wait_alu 0xfffe
	s_cmp_lg_u32 s7, 0
	s_add_co_ci_u32 s11, s11, s15
	s_mov_b32 s15, s17
	s_mul_u64 s[12:13], s[12:13], s[10:11]
	s_delay_alu instid0(SALU_CYCLE_1)
	s_mul_hi_u32 s23, s10, s13
	s_mul_i32 s22, s10, s13
	s_mul_hi_u32 s14, s10, s12
	s_mul_i32 s20, s11, s12
	s_add_nc_u64 s[14:15], s[14:15], s[22:23]
	s_mul_hi_u32 s7, s11, s12
	s_mul_hi_u32 s24, s11, s13
	s_mul_i32 s12, s11, s13
	s_add_co_u32 s13, s14, s20
	s_wait_alu 0xfffe
	s_add_co_ci_u32 s20, s15, s7
	s_add_co_ci_u32 s13, s24, 0
	s_mov_b32 s15, s17
	s_add_nc_u64 s[12:13], s[20:21], s[12:13]
	s_delay_alu instid0(SALU_CYCLE_1) | instskip(SKIP_1) | instid1(SALU_CYCLE_1)
	s_add_co_u32 s7, s10, s12
	s_cselect_b32 s10, -1, 0
	s_cmp_lg_u32 s10, 0
	s_add_co_ci_u32 s20, s11, s13
	s_ashr_i32 s10, s3, 31
	s_delay_alu instid0(SALU_CYCLE_1) | instskip(NEXT) | instid1(SALU_CYCLE_1)
	s_mov_b32 s11, s10
	s_add_nc_u64 s[12:13], s[2:3], s[10:11]
	s_delay_alu instid0(SALU_CYCLE_1) | instskip(NEXT) | instid1(SALU_CYCLE_1)
	s_xor_b64 s[12:13], s[12:13], s[10:11]
	s_mul_hi_u32 s23, s12, s20
	s_mul_i32 s22, s12, s20
	s_wait_alu 0xfffe
	s_mul_hi_u32 s14, s12, s7
	s_mul_hi_u32 s24, s13, s7
	s_mul_i32 s7, s13, s7
	s_add_nc_u64 s[14:15], s[14:15], s[22:23]
	s_mul_hi_u32 s3, s13, s20
	s_wait_alu 0xfffe
	s_add_co_u32 s7, s14, s7
	s_mul_i32 s22, s13, s20
	s_add_co_ci_u32 s20, s15, s24
	s_add_co_ci_u32 s23, s3, 0
	s_delay_alu instid0(SALU_CYCLE_1) | instskip(NEXT) | instid1(SALU_CYCLE_1)
	s_add_nc_u64 s[14:15], s[20:21], s[22:23]
	s_mul_u64 s[20:21], s[8:9], s[14:15]
	s_delay_alu instid0(SALU_CYCLE_1)
	s_sub_co_u32 s3, s12, s20
	s_cselect_b32 s7, -1, 0
	s_sub_co_i32 s12, s13, s21
	s_wait_alu 0xfffe
	s_cmp_lg_u32 s7, 0
	s_sub_co_ci_u32 s12, s12, s9
	s_sub_co_u32 s20, s3, s8
	s_cselect_b32 s22, -1, 0
	s_delay_alu instid0(SALU_CYCLE_1) | instskip(SKIP_2) | instid1(SALU_CYCLE_1)
	s_cmp_lg_u32 s22, 0
	s_add_nc_u64 s[22:23], s[14:15], 1
	s_sub_co_ci_u32 s12, s12, 0
	s_cmp_ge_u32 s12, s9
	s_cselect_b32 s24, -1, 0
	s_cmp_ge_u32 s20, s8
	s_cselect_b32 s20, -1, 0
	s_cmp_eq_u32 s12, s9
	s_cselect_b32 s12, s20, s24
	s_add_nc_u64 s[24:25], s[14:15], 2
	s_cmp_lg_u32 s12, 0
	s_cselect_b32 s12, s24, s22
	s_cselect_b32 s20, s25, s23
	s_cmp_lg_u32 s7, 0
	s_sub_co_ci_u32 s7, s13, s21
	s_wait_alu 0xfffe
	s_cmp_ge_u32 s7, s9
	s_cselect_b32 s13, -1, 0
	s_cmp_ge_u32 s3, s8
	s_cselect_b32 s3, -1, 0
	s_cmp_eq_u32 s7, s9
	s_cselect_b32 s3, s3, s13
	s_delay_alu instid0(SALU_CYCLE_1) | instskip(SKIP_4) | instid1(SALU_CYCLE_1)
	s_cmp_lg_u32 s3, 0
	s_mov_b32 s3, s17
	s_cselect_b32 s9, s20, s15
	s_cselect_b32 s8, s12, s14
	s_xor_b64 s[10:11], s[10:11], 0
	s_xor_b64 s[8:9], s[8:9], s[10:11]
	s_delay_alu instid0(SALU_CYCLE_1)
	s_sub_nc_u64 s[20:21], s[8:9], s[10:11]
	s_and_not1_b32 vcc_lo, exec_lo, s3
	s_cbranch_vccnz .LBB51_3
.LBB51_2:
	v_cvt_f32_u32_e32 v1, s16
	s_sub_co_i32 s7, 0, s16
	s_delay_alu instid0(VALU_DEP_1) | instskip(NEXT) | instid1(TRANS32_DEP_1)
	v_rcp_iflag_f32_e32 v1, v1
	v_mul_f32_e32 v1, 0x4f7ffffe, v1
	s_delay_alu instid0(VALU_DEP_1) | instskip(NEXT) | instid1(VALU_DEP_1)
	v_cvt_u32_f32_e32 v1, v1
	v_readfirstlane_b32 s3, v1
	s_wait_alu 0xfffe
	s_mul_i32 s7, s7, s3
	s_wait_alu 0xfffe
	s_mul_hi_u32 s7, s3, s7
	s_wait_alu 0xfffe
	s_add_co_i32 s3, s3, s7
	s_delay_alu instid0(SALU_CYCLE_1) | instskip(NEXT) | instid1(SALU_CYCLE_1)
	s_mul_hi_u32 s3, s2, s3
	s_mul_i32 s7, s3, s16
	s_wait_alu 0xfffe
	s_sub_co_i32 s2, s2, s7
	s_add_co_i32 s7, s3, 1
	s_sub_co_i32 s8, s2, s16
	s_cmp_ge_u32 s2, s16
	s_wait_alu 0xfffe
	s_cselect_b32 s3, s7, s3
	s_cselect_b32 s2, s8, s2
	s_add_co_i32 s7, s3, 1
	s_cmp_ge_u32 s2, s16
	s_wait_alu 0xfffe
	s_cselect_b32 s20, s7, s3
.LBB51_3:
	s_add_co_i32 s2, ttmp9, 1
	s_mov_b32 s8, 0
	s_ashr_i32 s3, s2, 31
	s_delay_alu instid0(SALU_CYCLE_1) | instskip(NEXT) | instid1(SALU_CYCLE_1)
	s_mul_u64 s[2:3], s[18:19], s[2:3]
	s_mov_b32 s9, s3
	s_delay_alu instid0(SALU_CYCLE_1)
	s_cmp_lg_u64 s[8:9], 0
	s_cbranch_scc0 .LBB51_22
; %bb.4:
	s_add_nc_u64 s[10:11], s[16:17], 0
	s_mov_b32 s23, s8
	s_xor_b64 s[10:11], s[10:11], 0
	s_mov_b32 s27, s8
	s_cvt_f32_u32 s7, s10
	s_cvt_f32_u32 s9, s11
	s_sub_nc_u64 s[14:15], 0, s[10:11]
	s_wait_alu 0xfffe
	s_delay_alu instid0(SALU_CYCLE_1) | instskip(SKIP_1) | instid1(SALU_CYCLE_2)
	s_fmamk_f32 s7, s9, 0x4f800000, s7
	s_wait_alu 0xfffe
	v_s_rcp_f32 s7, s7
	s_delay_alu instid0(TRANS32_DEP_1) | instskip(SKIP_1) | instid1(SALU_CYCLE_2)
	s_mul_f32 s7, s7, 0x5f7ffffc
	s_wait_alu 0xfffe
	s_mul_f32 s9, s7, 0x2f800000
	s_delay_alu instid0(SALU_CYCLE_3) | instskip(NEXT) | instid1(SALU_CYCLE_3)
	s_trunc_f32 s9, s9
	s_fmamk_f32 s7, s9, 0xcf800000, s7
	s_cvt_u32_f32 s13, s9
	s_wait_alu 0xfffe
	s_delay_alu instid0(SALU_CYCLE_1) | instskip(NEXT) | instid1(SALU_CYCLE_3)
	s_cvt_u32_f32 s12, s7
	s_mul_u64 s[24:25], s[14:15], s[12:13]
	s_delay_alu instid0(SALU_CYCLE_1)
	s_mul_hi_u32 s29, s12, s25
	s_mul_i32 s28, s12, s25
	s_mul_hi_u32 s22, s12, s24
	s_mul_i32 s9, s13, s24
	s_add_nc_u64 s[22:23], s[22:23], s[28:29]
	s_mul_hi_u32 s7, s13, s24
	s_mul_hi_u32 s21, s13, s25
	s_add_co_u32 s9, s22, s9
	s_wait_alu 0xfffe
	s_add_co_ci_u32 s26, s23, s7
	s_mul_i32 s24, s13, s25
	s_add_co_ci_u32 s25, s21, 0
	s_delay_alu instid0(SALU_CYCLE_1)
	s_add_nc_u64 s[22:23], s[26:27], s[24:25]
	s_mov_b32 s25, s8
	s_add_co_u32 s12, s12, s22
	s_cselect_b32 s7, -1, 0
	s_wait_alu 0xfffe
	s_cmp_lg_u32 s7, 0
	s_add_co_ci_u32 s13, s13, s23
	s_mov_b32 s23, s8
	s_mul_u64 s[14:15], s[14:15], s[12:13]
	s_delay_alu instid0(SALU_CYCLE_1)
	s_mul_hi_u32 s27, s12, s15
	s_mul_i32 s26, s12, s15
	s_mul_hi_u32 s22, s12, s14
	s_mul_i32 s9, s13, s14
	s_add_nc_u64 s[22:23], s[22:23], s[26:27]
	s_mul_hi_u32 s7, s13, s14
	s_mul_hi_u32 s21, s13, s15
	s_add_co_u32 s9, s22, s9
	s_wait_alu 0xfffe
	s_add_co_ci_u32 s24, s23, s7
	s_mul_i32 s14, s13, s15
	s_add_co_ci_u32 s15, s21, 0
	s_mov_b32 s23, s8
	s_add_nc_u64 s[14:15], s[24:25], s[14:15]
	s_delay_alu instid0(SALU_CYCLE_1) | instskip(SKIP_1) | instid1(SALU_CYCLE_1)
	s_add_co_u32 s7, s12, s14
	s_cselect_b32 s9, -1, 0
	s_cmp_lg_u32 s9, 0
	s_add_co_ci_u32 s9, s13, s15
	s_ashr_i32 s12, s3, 31
	s_delay_alu instid0(SALU_CYCLE_1) | instskip(NEXT) | instid1(SALU_CYCLE_1)
	s_mov_b32 s13, s12
	s_add_nc_u64 s[14:15], s[2:3], s[12:13]
	s_delay_alu instid0(SALU_CYCLE_1) | instskip(NEXT) | instid1(SALU_CYCLE_1)
	s_xor_b64 s[14:15], s[14:15], s[12:13]
	s_mul_hi_u32 s27, s14, s9
	s_mul_i32 s26, s14, s9
	s_wait_alu 0xfffe
	s_mul_hi_u32 s22, s14, s7
	s_mul_hi_u32 s21, s15, s7
	s_mul_i32 s7, s15, s7
	s_add_nc_u64 s[22:23], s[22:23], s[26:27]
	s_mul_hi_u32 s3, s15, s9
	s_wait_alu 0xfffe
	s_add_co_u32 s7, s22, s7
	s_add_co_ci_u32 s24, s23, s21
	s_mul_i32 s26, s15, s9
	s_add_co_ci_u32 s27, s3, 0
	s_delay_alu instid0(SALU_CYCLE_1) | instskip(NEXT) | instid1(SALU_CYCLE_1)
	s_add_nc_u64 s[22:23], s[24:25], s[26:27]
	s_mul_u64 s[24:25], s[10:11], s[22:23]
	s_add_nc_u64 s[26:27], s[22:23], 1
	s_sub_co_u32 s3, s14, s24
	s_cselect_b32 s7, -1, 0
	s_sub_co_i32 s9, s15, s25
	s_wait_alu 0xfffe
	s_cmp_lg_u32 s7, 0
	s_add_nc_u64 s[28:29], s[22:23], 2
	s_sub_co_ci_u32 s9, s9, s11
	s_sub_co_u32 s14, s3, s10
	s_cselect_b32 s21, -1, 0
	s_delay_alu instid0(SALU_CYCLE_1) | instskip(SKIP_1) | instid1(SALU_CYCLE_1)
	s_cmp_lg_u32 s21, 0
	s_sub_co_ci_u32 s9, s9, 0
	s_cmp_ge_u32 s9, s11
	s_cselect_b32 s21, -1, 0
	s_cmp_ge_u32 s14, s10
	s_cselect_b32 s14, -1, 0
	s_cmp_eq_u32 s9, s11
	s_cselect_b32 s9, s14, s21
	s_delay_alu instid0(SALU_CYCLE_1)
	s_cmp_lg_u32 s9, 0
	s_cselect_b32 s9, s28, s26
	s_cselect_b32 s14, s29, s27
	s_cmp_lg_u32 s7, 0
	s_sub_co_ci_u32 s7, s15, s25
	s_wait_alu 0xfffe
	s_cmp_ge_u32 s7, s11
	s_cselect_b32 s15, -1, 0
	s_cmp_ge_u32 s3, s10
	s_cselect_b32 s3, -1, 0
	s_cmp_eq_u32 s7, s11
	s_cselect_b32 s3, s3, s15
	s_delay_alu instid0(SALU_CYCLE_1) | instskip(SKIP_3) | instid1(SALU_CYCLE_1)
	s_cmp_lg_u32 s3, 0
	s_cselect_b32 s11, s14, s23
	s_cselect_b32 s10, s9, s22
	s_xor_b64 s[12:13], s[12:13], 0
	s_xor_b64 s[10:11], s[10:11], s[12:13]
	s_delay_alu instid0(SALU_CYCLE_1)
	s_sub_nc_u64 s[10:11], s[10:11], s[12:13]
	s_load_b96 s[12:14], s[0:1], 0x44
	s_and_not1_b32 vcc_lo, exec_lo, s8
	s_cbranch_vccnz .LBB51_6
.LBB51_5:
	v_cvt_f32_u32_e32 v1, s16
	s_sub_co_i32 s7, 0, s16
	s_delay_alu instid0(VALU_DEP_1) | instskip(NEXT) | instid1(TRANS32_DEP_1)
	v_rcp_iflag_f32_e32 v1, v1
	v_mul_f32_e32 v1, 0x4f7ffffe, v1
	s_delay_alu instid0(VALU_DEP_1) | instskip(NEXT) | instid1(VALU_DEP_1)
	v_cvt_u32_f32_e32 v1, v1
	v_readfirstlane_b32 s3, v1
	s_wait_alu 0xfffe
	s_mul_i32 s7, s7, s3
	s_wait_alu 0xfffe
	s_mul_hi_u32 s7, s3, s7
	s_wait_alu 0xfffe
	s_add_co_i32 s3, s3, s7
	s_delay_alu instid0(SALU_CYCLE_1) | instskip(NEXT) | instid1(SALU_CYCLE_1)
	s_mul_hi_u32 s3, s2, s3
	s_mul_i32 s7, s3, s16
	s_wait_alu 0xfffe
	s_sub_co_i32 s2, s2, s7
	s_add_co_i32 s7, s3, 1
	s_sub_co_i32 s8, s2, s16
	s_cmp_ge_u32 s2, s16
	s_wait_alu 0xfffe
	s_cselect_b32 s3, s7, s3
	s_cselect_b32 s2, s8, s2
	s_add_co_i32 s7, s3, 1
	s_cmp_ge_u32 s2, s16
	s_wait_alu 0xfffe
	s_cselect_b32 s10, s7, s3
.LBB51_6:
	s_mov_b32 s21, 0
	s_wait_kmcnt 0x0
	s_mov_b32 s22, s12
	s_mov_b32 s23, s21
	s_cmp_eq_u32 s20, s10
	s_mul_u64 s[2:3], s[20:21], s[22:23]
	s_cselect_b32 s7, -1, 0
	s_add_co_i32 s2, s3, s20
	s_mov_b32 s11, s21
	s_lshr_b32 s12, s2, s13
	s_mul_u64 s[2:3], s[10:11], s[22:23]
	s_mul_i32 s2, s12, s14
	s_delay_alu instid0(SALU_CYCLE_1) | instskip(SKIP_2) | instid1(SALU_CYCLE_1)
	s_cmp_eq_u32 s2, s20
	s_cselect_b32 s2, -1, 0
	s_add_co_i32 s3, s3, s10
	s_lshr_b32 s3, s3, s13
	s_delay_alu instid0(SALU_CYCLE_1)
	s_cmp_eq_u32 s12, s3
	s_mul_i32 s3, s3, s14
	s_cselect_b32 s8, -1, 0
	s_cmp_lg_u32 s3, s10
	s_cselect_b32 s3, -1, 0
	s_wait_alu 0xfffe
	s_or_b32 s2, s7, s2
	s_and_b32 s3, s8, s3
	s_delay_alu instid0(SALU_CYCLE_1) | instskip(NEXT) | instid1(SALU_CYCLE_1)
	s_or_b32 s2, s2, s3
	s_and_b32 vcc_lo, exec_lo, s2
	s_cbranch_vccnz .LBB51_24
; %bb.7:
	s_load_b256 s[24:31], s[0:1], 0x20
	s_mov_b32 s3, s21
	s_load_b32 s7, s[0:1], 0x40
	s_and_b32 s15, ttmp7, 0xffff
	s_wait_kmcnt 0x0
	s_mov_b32 s2, s24
	s_delay_alu instid0(SALU_CYCLE_1) | instskip(NEXT) | instid1(SALU_CYCLE_1)
	s_mul_u64 s[2:3], s[20:21], s[2:3]
	s_add_co_i32 s2, s3, s20
	s_delay_alu instid0(SALU_CYCLE_1) | instskip(NEXT) | instid1(SALU_CYCLE_1)
	s_lshr_b32 s2, s2, s25
	s_mul_i32 s3, s2, s26
	s_delay_alu instid0(SALU_CYCLE_1) | instskip(NEXT) | instid1(SALU_CYCLE_1)
	s_sub_co_i32 s8, s20, s3
	s_mul_hi_u32 s3, s8, s27
	s_delay_alu instid0(SALU_CYCLE_1) | instskip(NEXT) | instid1(SALU_CYCLE_1)
	s_add_co_i32 s3, s8, s3
	s_lshr_b32 s3, s3, s28
	s_delay_alu instid0(SALU_CYCLE_1) | instskip(NEXT) | instid1(SALU_CYCLE_1)
	s_mul_i32 s9, s3, s29
	s_sub_co_i32 s8, s8, s9
	s_delay_alu instid0(SALU_CYCLE_1) | instskip(NEXT) | instid1(SALU_CYCLE_1)
	s_mul_hi_u32 s9, s8, s30
	s_add_co_i32 s9, s8, s9
	s_delay_alu instid0(SALU_CYCLE_1)
	s_lshr_b32 s24, s9, s31
	s_mov_b32 s9, s21
	s_mul_i32 s7, s24, s7
	s_lshr_b32 s21, ttmp7, 16
	s_wait_alu 0xfffe
	s_sub_co_i32 s8, s8, s7
	s_lshl_b32 s24, s24, 1
	s_mul_u64 s[10:11], s[8:9], s[22:23]
	s_delay_alu instid0(SALU_CYCLE_1)
	s_add_co_i32 s7, s8, s11
	s_wait_alu 0xfffe
	s_lshr_b32 s7, s7, s13
	s_wait_alu 0xfffe
	s_add_co_i32 s7, s7, s15
	s_wait_alu 0xfffe
	s_cmp_lt_i32 s7, s4
	s_cselect_b32 s8, -1, 0
	s_add_co_i32 s24, s24, s21
	s_delay_alu instid0(SALU_CYCLE_1) | instskip(SKIP_1) | instid1(SALU_CYCLE_1)
	s_cmp_lt_i32 s24, s6
	s_cselect_b32 s9, -1, 0
	s_and_b32 s8, s8, s9
	s_delay_alu instid0(SALU_CYCLE_1)
	s_and_not1_b32 vcc_lo, exec_lo, s8
	s_cbranch_vccnz .LBB51_24
; %bb.8:
	s_mul_i32 s2, s2, s4
	s_load_b128 s[8:11], s[0:1], 0x0
	s_mul_i32 s3, s3, s6
	s_add_co_i32 s0, s7, s2
	s_add_co_i32 s1, s24, s3
	s_mul_i32 s0, s0, s5
	v_cvt_f32_u32_e32 v4, s16
	s_add_co_i32 s1, s1, s0
	s_add_co_i32 s34, ttmp9, -1
	v_lshl_or_b32 v1, s1, 7, v0
	s_add_nc_u64 s[0:1], s[16:17], 0
	v_rcp_iflag_f32_e32 v4, v4
	s_wait_alu 0xfffe
	s_xor_b64 s[6:7], s[0:1], 0
	s_add_co_i32 s0, s15, ttmp9
	v_ashrrev_i32_e32 v2, 31, v1
	s_wait_alu 0xfffe
	s_cvt_f32_u32 s1, s6
	s_cvt_f32_u32 s2, s7
	s_lshl_b32 s0, s0, 1
	v_lshl_or_b32 v0, s21, 7, v0
	v_lshlrev_b64_e32 v[1:2], 2, v[1:2]
	s_wait_alu 0xfffe
	s_add_co_i32 s0, s0, s21
	s_fmamk_f32 s2, s2, 0x4f800000, s1
	s_wait_alu 0xfffe
	s_ashr_i32 s1, s0, 31
	s_sub_nc_u64 s[30:31], 0, s[6:7]
	s_wait_alu 0xfffe
	s_lshl_b64 s[0:1], s[0:1], 3
	s_wait_kmcnt 0x0
	v_add_co_u32 v1, vcc_lo, s8, v1
	s_delay_alu instid0(VALU_DEP_1)
	v_add_co_ci_u32_e64 v2, null, s9, v2, vcc_lo
	v_s_rcp_f32 s2, s2
	s_wait_alu 0xfffe
	s_add_nc_u64 s[0:1], s[10:11], s[0:1]
	s_mov_b32 s8, 0
	global_load_b32 v3, v[1:2], off
	s_load_b64 s[26:27], s[0:1], 0x0
	v_mul_f32_e32 v4, 0x4f7ffffe, v4
	s_lshl_b32 s0, s16, 3
	s_mul_f32 s2, s2, 0x5f7ffffc
	s_wait_alu 0xfffe
	s_delay_alu instid0(SALU_CYCLE_2) | instskip(SKIP_1) | instid1(SALU_CYCLE_2)
	s_mul_f32 s1, s2, 0x2f800000
	s_wait_alu 0xfffe
	s_trunc_f32 s3, s1
	s_mov_b32 s1, s8
	s_wait_alu 0xfffe
	s_lshl_b64 s[0:1], s[0:1], 2
	s_fmamk_f32 s2, s3, 0xcf800000, s2
	s_cvt_u32_f32 s29, s3
	s_wait_alu 0xfffe
	s_add_nc_u64 s[24:25], s[10:11], s[0:1]
	s_cvt_u32_f32 s28, s2
	s_wait_kmcnt 0x0
	v_mov_b32_e32 v5, s27
	v_cvt_u32_f32_e32 v4, v4
.LBB51_9:                               ; =>This Inner Loop Header: Depth=1
	s_wait_alu 0xfffe
	s_ashr_i32 s35, s34, 31
	s_mov_b32 s2, -1
	s_wait_alu 0xfffe
	s_mul_u64 s[0:1], s[34:35], s[18:19]
                                        ; implicit-def: $sgpr38_sgpr39
	s_wait_alu 0xfffe
	s_mov_b32 s9, s1
	s_wait_alu 0xfffe
	s_cmp_lg_u64 s[8:9], 0
	s_cbranch_scc0 .LBB51_11
; %bb.10:                               ;   in Loop: Header=BB51_9 Depth=1
	s_mul_u64 s[2:3], s[30:31], s[28:29]
	s_mov_b32 s37, s8
	s_wait_alu 0xfffe
	s_mul_hi_u32 s5, s28, s3
	s_mul_i32 s4, s28, s3
	s_mul_hi_u32 s36, s28, s2
	s_mul_hi_u32 s9, s29, s2
	s_wait_alu 0xfffe
	s_add_nc_u64 s[4:5], s[36:37], s[4:5]
	s_mul_i32 s2, s29, s2
	s_mul_hi_u32 s17, s29, s3
	s_wait_alu 0xfffe
	s_add_co_u32 s2, s4, s2
	s_add_co_ci_u32 s2, s5, s9
	s_add_co_ci_u32 s5, s17, 0
	s_mul_i32 s4, s29, s3
	s_mov_b32 s3, s8
	s_mov_b32 s39, s8
	s_wait_alu 0xfffe
	s_add_nc_u64 s[2:3], s[2:3], s[4:5]
	s_wait_alu 0xfffe
	s_add_co_u32 s2, s28, s2
	s_cselect_b32 s4, -1, 0
	s_wait_alu 0xfffe
	s_cmp_lg_u32 s4, 0
	s_add_co_ci_u32 s3, s29, s3
	s_wait_alu 0xfffe
	s_mul_u64 s[4:5], s[30:31], s[2:3]
	s_wait_alu 0xfffe
	s_mul_hi_u32 s37, s2, s5
	s_mul_i32 s36, s2, s5
	s_mul_hi_u32 s38, s2, s4
	s_mul_hi_u32 s9, s3, s4
	s_mul_i32 s4, s3, s4
	s_wait_alu 0xfffe
	s_add_nc_u64 s[36:37], s[38:39], s[36:37]
	s_mul_hi_u32 s17, s3, s5
	s_wait_alu 0xfffe
	s_add_co_u32 s4, s36, s4
	s_add_co_ci_u32 s4, s37, s9
	s_add_co_ci_u32 s37, s17, 0
	s_mul_i32 s36, s3, s5
	s_mov_b32 s5, s8
	s_wait_alu 0xfffe
	s_add_nc_u64 s[4:5], s[4:5], s[36:37]
	s_mov_b32 s37, s8
	s_wait_alu 0xfffe
	s_add_co_u32 s9, s2, s4
	s_cselect_b32 s2, -1, 0
	s_wait_alu 0xfffe
	s_cmp_lg_u32 s2, 0
	s_add_co_ci_u32 s17, s3, s5
	s_ashr_i32 s2, s1, 31
	s_wait_alu 0xfffe
	s_mov_b32 s3, s2
	s_wait_alu 0xfffe
	s_add_nc_u64 s[4:5], s[0:1], s[2:3]
	s_wait_alu 0xfffe
	s_xor_b64 s[4:5], s[4:5], s[2:3]
	s_wait_alu 0xfffe
	s_mul_hi_u32 s39, s4, s17
	s_mul_i32 s38, s4, s17
	s_mul_hi_u32 s36, s4, s9
	s_mul_i32 s27, s5, s9
	s_wait_alu 0xfffe
	s_add_nc_u64 s[36:37], s[36:37], s[38:39]
	s_mul_hi_u32 s9, s5, s9
	s_mul_hi_u32 s1, s5, s17
	s_wait_alu 0xfffe
	s_add_co_u32 s27, s36, s27
	s_add_co_ci_u32 s36, s37, s9
	s_add_co_ci_u32 s39, s1, 0
	s_mul_i32 s38, s5, s17
	s_mov_b32 s37, s8
	s_wait_alu 0xfffe
	s_add_nc_u64 s[36:37], s[36:37], s[38:39]
	s_wait_alu 0xfffe
	s_mul_u64 s[38:39], s[6:7], s[36:37]
	s_add_nc_u64 s[40:41], s[36:37], 1
	s_wait_alu 0xfffe
	s_sub_co_u32 s1, s4, s38
	s_cselect_b32 s4, -1, 0
	s_sub_co_i32 s9, s5, s39
	s_wait_alu 0xfffe
	s_cmp_lg_u32 s4, 0
	s_add_nc_u64 s[42:43], s[36:37], 2
	s_sub_co_ci_u32 s9, s9, s7
	s_sub_co_u32 s17, s1, s6
	s_cselect_b32 s27, -1, 0
	s_wait_alu 0xfffe
	s_cmp_lg_u32 s27, 0
	s_sub_co_ci_u32 s9, s9, 0
	s_wait_alu 0xfffe
	s_cmp_ge_u32 s9, s7
	s_cselect_b32 s27, -1, 0
	s_cmp_ge_u32 s17, s6
	s_cselect_b32 s17, -1, 0
	s_cmp_eq_u32 s9, s7
	s_wait_alu 0xfffe
	s_cselect_b32 s9, s17, s27
	s_wait_alu 0xfffe
	s_cmp_lg_u32 s9, 0
	s_cselect_b32 s9, s42, s40
	s_cselect_b32 s17, s43, s41
	s_cmp_lg_u32 s4, 0
	s_sub_co_ci_u32 s4, s5, s39
	s_wait_alu 0xfffe
	s_cmp_ge_u32 s4, s7
	s_cselect_b32 s5, -1, 0
	s_cmp_ge_u32 s1, s6
	s_cselect_b32 s1, -1, 0
	s_cmp_eq_u32 s4, s7
	s_wait_alu 0xfffe
	s_cselect_b32 s1, s1, s5
	s_wait_alu 0xfffe
	s_cmp_lg_u32 s1, 0
	s_cselect_b32 s5, s17, s37
	s_cselect_b32 s4, s9, s36
	s_xor_b64 s[2:3], s[2:3], 0
	s_wait_alu 0xfffe
	s_xor_b64 s[4:5], s[4:5], s[2:3]
	s_wait_alu 0xfffe
	s_sub_nc_u64 s[38:39], s[4:5], s[2:3]
	s_mov_b32 s2, 0
.LBB51_11:                              ;   in Loop: Header=BB51_9 Depth=1
	s_wait_alu 0xfffe
	s_and_not1_b32 vcc_lo, exec_lo, s2
	s_wait_alu 0xfffe
	s_cbranch_vccnz .LBB51_13
; %bb.12:                               ;   in Loop: Header=BB51_9 Depth=1
	v_readfirstlane_b32 s1, v4
	s_sub_co_i32 s2, 0, s16
	s_wait_alu 0xfffe
	s_mul_i32 s2, s2, s1
	s_wait_alu 0xfffe
	s_mul_hi_u32 s2, s1, s2
	s_wait_alu 0xfffe
	s_add_co_i32 s1, s1, s2
	s_wait_alu 0xfffe
	s_mul_hi_u32 s1, s0, s1
	s_wait_alu 0xfffe
	s_mul_i32 s2, s1, s16
	s_wait_alu 0xfffe
	s_sub_co_i32 s0, s0, s2
	s_add_co_i32 s2, s1, 1
	s_wait_alu 0xfffe
	s_sub_co_i32 s3, s0, s16
	s_cmp_ge_u32 s0, s16
	s_cselect_b32 s1, s2, s1
	s_wait_alu 0xfffe
	s_cselect_b32 s0, s3, s0
	s_add_co_i32 s2, s1, 1
	s_wait_alu 0xfffe
	s_cmp_ge_u32 s0, s16
	s_cselect_b32 s38, s2, s1
.LBB51_13:                              ;   in Loop: Header=BB51_9 Depth=1
	v_readfirstlane_b32 s9, v0
	s_wait_alu 0xfffe
	s_cmp_lg_u32 s20, s38
	s_mov_b32 s0, -1
                                        ; implicit-def: $sgpr27
                                        ; implicit-def: $vgpr6
                                        ; implicit-def: $vgpr7
                                        ; implicit-def: $sgpr17
                                        ; implicit-def: $sgpr33
	s_cbranch_scc1 .LBB51_16
; %bb.14:                               ;   in Loop: Header=BB51_9 Depth=1
	s_wait_alu 0xfffe
	s_and_not1_b32 vcc_lo, exec_lo, s0
	s_wait_alu 0xfffe
	s_cbranch_vccz .LBB51_19
.LBB51_15:                              ;   in Loop: Header=BB51_9 Depth=1
	s_and_not1_b32 vcc_lo, exec_lo, s27
	s_wait_alu 0xfffe
	s_cbranch_vccnz .LBB51_20
	s_branch .LBB51_23
.LBB51_16:                              ;   in Loop: Header=BB51_9 Depth=1
	s_add_co_i32 s40, s34, s15
	s_mov_b32 s1, s8
	s_wait_alu 0xfffe
	s_add_co_i32 s0, s40, s16
	v_max_num_f32_e64 v6, s26, s26
	s_wait_alu 0xfffe
	s_lshl_b32 s0, s0, 1
	s_mov_b32 s39, s8
	s_wait_alu 0xfffe
	s_add_co_i32 s0, s0, s21
	s_mul_u64 s[42:43], s[38:39], s[22:23]
	s_wait_alu 0xfffe
	s_lshl_b64 s[0:1], s[0:1], 3
	s_mov_b32 s33, s20
	s_wait_alu 0xfffe
	s_add_nc_u64 s[0:1], s[10:11], s[0:1]
	s_load_b64 s[36:37], s[0:1], 0x0
	v_readfirstlane_b32 s0, v6
	s_wait_kmcnt 0x0
	v_max_num_f32_e64 v7, s36, s36
	s_delay_alu instid0(VALU_DEP_1) | instskip(SKIP_2) | instid1(SALU_CYCLE_2)
	v_readfirstlane_b32 s1, v7
	s_max_num_f32 s9, s0, s1
	s_wait_alu 0xfffe
	s_sub_f32 s35, s26, s9
	s_sub_f32 s36, s36, s9
	s_wait_alu 0xfffe
	s_delay_alu instid0(SALU_CYCLE_1)
	s_cmp_nlt_f32 s35, 0xc2ce8ed0
	s_cselect_b32 s0, -1, 0
	s_cmp_ngt_f32 s35, 0x42b17218
	s_cselect_b32 s1, -1, 0
	s_cmp_ge_f32 s35, 0xc1a00000
	s_cselect_b32 s2, -1, 0
	s_cmp_nlt_f32 s36, 0xc2ce8ed0
	s_cselect_b32 s3, -1, 0
	s_cmp_ngt_f32 s36, 0x42b17218
	s_cselect_b32 s4, -1, 0
	s_cmp_ge_f32 s36, 0xc1a00000
	s_cselect_b32 s5, -1, 0
	s_add_co_i32 s17, s43, s38
	s_wait_alu 0xfffe
	s_lshr_b32 s17, s17, s13
	s_wait_alu 0xfffe
	s_mul_i32 s27, s17, s14
	s_wait_alu 0xfffe
	s_cmp_eq_u32 s27, s38
	s_cselect_b32 s27, -1, 0
	s_cmp_lt_u32 s17, s12
	s_cselect_b32 s17, -1, 0
	s_wait_alu 0xfffe
	s_or_b32 s17, s17, s27
	s_mov_b32 s27, -1
	s_wait_alu 0xfffe
	s_and_b32 vcc_lo, exec_lo, s17
	s_mov_b32 s17, s34
	s_wait_alu 0xfffe
	s_cbranch_vccnz .LBB51_18
; %bb.17:                               ;   in Loop: Header=BB51_9 Depth=1
	s_add_co_i32 s17, s34, -1
	s_mov_b32 s27, 0
	s_mov_b32 s33, s38
.LBB51_18:                              ;   in Loop: Header=BB51_9 Depth=1
	v_lshl_add_u32 v6, s40, 8, v0
	s_mul_f32 s38, s36, 0x3fb8aa3b
	s_mul_f32 s39, s35, 0x3fb8aa3b
	s_wait_alu 0xfffe
	s_delay_alu instid0(SALU_CYCLE_1)
	s_xor_b32 s40, s38, 0x80000000
	v_ashrrev_i32_e32 v7, 31, v6
	s_rndne_f32 s41, s38
	s_wait_alu 0xfffe
	s_fmamk_f32 s40, s36, 0x3fb8aa3b, s40
	s_xor_b32 s42, s39, 0x80000000
	s_rndne_f32 s43, s39
	v_lshlrev_b64_e32 v[6:7], 2, v[6:7]
	s_sub_f32 s38, s38, s41
	s_wait_alu 0xfffe
	s_fmamk_f32 s36, s36, 0x32a5705f, s40
	s_fmamk_f32 s40, s35, 0x3fb8aa3b, s42
	s_sub_f32 s39, s39, s43
	v_add_co_u32 v6, vcc_lo, s24, v6
	s_wait_alu 0xfffd
	v_add_co_ci_u32_e64 v7, null, s25, v7, vcc_lo
	s_wait_alu 0xfffe
	s_add_f32 s36, s38, s36
	s_fmamk_f32 s35, s35, 0x32a5705f, s40
	s_cvt_i32_f32 s38, s41
	global_load_b32 v6, v[6:7], off
	s_wait_alu 0xfffe
	v_s_exp_f32 s36, s36
	s_add_f32 s35, s39, s35
	s_wait_alu 0xfffe
	s_delay_alu instid0(SALU_CYCLE_2) | instskip(NEXT) | instid1(TRANS32_DEP_2)
	v_s_exp_f32 s35, s35
	v_ldexp_f32 v7, s36, s38
	s_cvt_i32_f32 s36, s43
	s_wait_alu 0xf1fe
	s_delay_alu instid0(TRANS32_DEP_1) | instid1(SALU_CYCLE_2)
	v_ldexp_f32 v8, s35, s36
	s_delay_alu instid0(VALU_DEP_2) | instskip(NEXT) | instid1(VALU_DEP_2)
	v_cndmask_b32_e64 v7, 0, v7, s3
	v_cndmask_b32_e64 v8, 0, v8, s0
	s_delay_alu instid0(VALU_DEP_2) | instskip(NEXT) | instid1(VALU_DEP_2)
	v_cndmask_b32_e64 v7, 0x7f800000, v7, s4
	v_cndmask_b32_e64 v8, 0x7f800000, v8, s1
	;; [unrolled: 3-line block ×3, first 2 shown]
	s_wait_loadcnt 0x0
	s_delay_alu instid0(VALU_DEP_2) | instskip(SKIP_1) | instid1(VALU_DEP_1)
	v_mul_f32_e32 v6, v6, v7
	v_mul_f32_e32 v7, s37, v7
	v_fmac_f32_e32 v7, v5, v8
	s_delay_alu instid0(VALU_DEP_3)
	v_fmac_f32_e32 v6, v3, v8
	s_cbranch_execnz .LBB51_15
.LBB51_19:                              ;   in Loop: Header=BB51_9 Depth=1
	s_wait_loadcnt 0x0
	v_dual_mov_b32 v7, v5 :: v_dual_mov_b32 v6, v3
	s_add_co_i32 s17, s34, -1
	s_mov_b32 s33, s20
	s_mov_b32 s9, s26
	s_cbranch_execz .LBB51_23
.LBB51_20:                              ;   in Loop: Header=BB51_9 Depth=1
	v_mov_b32_e32 v5, v7
	s_wait_loadcnt 0x0
	v_mov_b32_e32 v3, v6
	s_mov_b32 s20, s33
	s_wait_alu 0xfffe
	s_mov_b32 s34, s17
	s_mov_b32 s26, s9
	s_branch .LBB51_9
.LBB51_21:
                                        ; implicit-def: $sgpr20_sgpr21
	s_branch .LBB51_2
.LBB51_22:
                                        ; implicit-def: $sgpr10_sgpr11
	s_load_b96 s[12:14], s[0:1], 0x44
	s_branch .LBB51_5
.LBB51_23:
	v_div_scale_f32 v0, null, v7, v7, v6
	s_wait_loadcnt 0x0
	s_delay_alu instid0(VALU_DEP_1) | instskip(NEXT) | instid1(TRANS32_DEP_1)
	v_rcp_f32_e32 v3, v0
	v_fma_f32 v4, -v0, v3, 1.0
	s_delay_alu instid0(VALU_DEP_1) | instskip(SKIP_1) | instid1(VALU_DEP_1)
	v_fmac_f32_e32 v3, v4, v3
	v_div_scale_f32 v4, vcc_lo, v6, v7, v6
	v_mul_f32_e32 v5, v4, v3
	s_delay_alu instid0(VALU_DEP_1) | instskip(NEXT) | instid1(VALU_DEP_1)
	v_fma_f32 v8, -v0, v5, v4
	v_fmac_f32_e32 v5, v8, v3
	s_delay_alu instid0(VALU_DEP_1) | instskip(SKIP_1) | instid1(VALU_DEP_1)
	v_fma_f32 v0, -v0, v5, v4
	s_wait_alu 0xfffd
	v_div_fmas_f32 v0, v0, v3, v5
	s_delay_alu instid0(VALU_DEP_1)
	v_div_fixup_f32 v0, v0, v7, v6
	global_store_b32 v[1:2], v0, off
.LBB51_24:
	s_endpgm
	.section	.rodata,"a",@progbits
	.p2align	6, 0x0
	.amdhsa_kernel _ZL33flash_attn_stream_k_fixup_generalILi128ELi1ELi2EEvPfPK15HIP_vector_typeIfLj2EEiiiiS1_IjLj3EES5_S5_S5_
		.amdhsa_group_segment_fixed_size 0
		.amdhsa_private_segment_fixed_size 0
		.amdhsa_kernarg_size 336
		.amdhsa_user_sgpr_count 2
		.amdhsa_user_sgpr_dispatch_ptr 0
		.amdhsa_user_sgpr_queue_ptr 0
		.amdhsa_user_sgpr_kernarg_segment_ptr 1
		.amdhsa_user_sgpr_dispatch_id 0
		.amdhsa_user_sgpr_private_segment_size 0
		.amdhsa_wavefront_size32 1
		.amdhsa_uses_dynamic_stack 0
		.amdhsa_enable_private_segment 0
		.amdhsa_system_sgpr_workgroup_id_x 1
		.amdhsa_system_sgpr_workgroup_id_y 1
		.amdhsa_system_sgpr_workgroup_id_z 1
		.amdhsa_system_sgpr_workgroup_info 0
		.amdhsa_system_vgpr_workitem_id 0
		.amdhsa_next_free_vgpr 9
		.amdhsa_next_free_sgpr 44
		.amdhsa_reserve_vcc 1
		.amdhsa_float_round_mode_32 0
		.amdhsa_float_round_mode_16_64 0
		.amdhsa_float_denorm_mode_32 3
		.amdhsa_float_denorm_mode_16_64 3
		.amdhsa_fp16_overflow 0
		.amdhsa_workgroup_processor_mode 1
		.amdhsa_memory_ordered 1
		.amdhsa_forward_progress 1
		.amdhsa_inst_pref_size 28
		.amdhsa_round_robin_scheduling 0
		.amdhsa_exception_fp_ieee_invalid_op 0
		.amdhsa_exception_fp_denorm_src 0
		.amdhsa_exception_fp_ieee_div_zero 0
		.amdhsa_exception_fp_ieee_overflow 0
		.amdhsa_exception_fp_ieee_underflow 0
		.amdhsa_exception_fp_ieee_inexact 0
		.amdhsa_exception_int_div_zero 0
	.end_amdhsa_kernel
	.section	.text._ZL33flash_attn_stream_k_fixup_generalILi128ELi1ELi2EEvPfPK15HIP_vector_typeIfLj2EEiiiiS1_IjLj3EES5_S5_S5_,"axG",@progbits,_ZL33flash_attn_stream_k_fixup_generalILi128ELi1ELi2EEvPfPK15HIP_vector_typeIfLj2EEiiiiS1_IjLj3EES5_S5_S5_,comdat
.Lfunc_end51:
	.size	_ZL33flash_attn_stream_k_fixup_generalILi128ELi1ELi2EEvPfPK15HIP_vector_typeIfLj2EEiiiiS1_IjLj3EES5_S5_S5_, .Lfunc_end51-_ZL33flash_attn_stream_k_fixup_generalILi128ELi1ELi2EEvPfPK15HIP_vector_typeIfLj2EEiiiiS1_IjLj3EES5_S5_S5_
                                        ; -- End function
	.set _ZL33flash_attn_stream_k_fixup_generalILi128ELi1ELi2EEvPfPK15HIP_vector_typeIfLj2EEiiiiS1_IjLj3EES5_S5_S5_.num_vgpr, 9
	.set _ZL33flash_attn_stream_k_fixup_generalILi128ELi1ELi2EEvPfPK15HIP_vector_typeIfLj2EEiiiiS1_IjLj3EES5_S5_S5_.num_agpr, 0
	.set _ZL33flash_attn_stream_k_fixup_generalILi128ELi1ELi2EEvPfPK15HIP_vector_typeIfLj2EEiiiiS1_IjLj3EES5_S5_S5_.numbered_sgpr, 44
	.set _ZL33flash_attn_stream_k_fixup_generalILi128ELi1ELi2EEvPfPK15HIP_vector_typeIfLj2EEiiiiS1_IjLj3EES5_S5_S5_.num_named_barrier, 0
	.set _ZL33flash_attn_stream_k_fixup_generalILi128ELi1ELi2EEvPfPK15HIP_vector_typeIfLj2EEiiiiS1_IjLj3EES5_S5_S5_.private_seg_size, 0
	.set _ZL33flash_attn_stream_k_fixup_generalILi128ELi1ELi2EEvPfPK15HIP_vector_typeIfLj2EEiiiiS1_IjLj3EES5_S5_S5_.uses_vcc, 1
	.set _ZL33flash_attn_stream_k_fixup_generalILi128ELi1ELi2EEvPfPK15HIP_vector_typeIfLj2EEiiiiS1_IjLj3EES5_S5_S5_.uses_flat_scratch, 0
	.set _ZL33flash_attn_stream_k_fixup_generalILi128ELi1ELi2EEvPfPK15HIP_vector_typeIfLj2EEiiiiS1_IjLj3EES5_S5_S5_.has_dyn_sized_stack, 0
	.set _ZL33flash_attn_stream_k_fixup_generalILi128ELi1ELi2EEvPfPK15HIP_vector_typeIfLj2EEiiiiS1_IjLj3EES5_S5_S5_.has_recursion, 0
	.set _ZL33flash_attn_stream_k_fixup_generalILi128ELi1ELi2EEvPfPK15HIP_vector_typeIfLj2EEiiiiS1_IjLj3EES5_S5_S5_.has_indirect_call, 0
	.section	.AMDGPU.csdata,"",@progbits
; Kernel info:
; codeLenInByte = 3556
; TotalNumSgprs: 46
; NumVgprs: 9
; ScratchSize: 0
; MemoryBound: 0
; FloatMode: 240
; IeeeMode: 1
; LDSByteSize: 0 bytes/workgroup (compile time only)
; SGPRBlocks: 0
; VGPRBlocks: 1
; NumSGPRsForWavesPerEU: 46
; NumVGPRsForWavesPerEU: 9
; Occupancy: 16
; WaveLimiterHint : 0
; COMPUTE_PGM_RSRC2:SCRATCH_EN: 0
; COMPUTE_PGM_RSRC2:USER_SGPR: 2
; COMPUTE_PGM_RSRC2:TRAP_HANDLER: 0
; COMPUTE_PGM_RSRC2:TGID_X_EN: 1
; COMPUTE_PGM_RSRC2:TGID_Y_EN: 1
; COMPUTE_PGM_RSRC2:TGID_Z_EN: 1
; COMPUTE_PGM_RSRC2:TIDIG_COMP_CNT: 0
	.section	.text._ZL15flash_attn_tileILi128ELi128ELi64ELi1ELb0EEvPKcS1_S1_S1_S1_PKiPfP15HIP_vector_typeIfLj2EEffffjfiS5_IjLj3EEiiiiiiiiiiiliiliiiiil,"axG",@progbits,_ZL15flash_attn_tileILi128ELi128ELi64ELi1ELb0EEvPKcS1_S1_S1_S1_PKiPfP15HIP_vector_typeIfLj2EEffffjfiS5_IjLj3EEiiiiiiiiiiiliiliiiiil,comdat
	.globl	_ZL15flash_attn_tileILi128ELi128ELi64ELi1ELb0EEvPKcS1_S1_S1_S1_PKiPfP15HIP_vector_typeIfLj2EEffffjfiS5_IjLj3EEiiiiiiiiiiiliiliiiiil ; -- Begin function _ZL15flash_attn_tileILi128ELi128ELi64ELi1ELb0EEvPKcS1_S1_S1_S1_PKiPfP15HIP_vector_typeIfLj2EEffffjfiS5_IjLj3EEiiiiiiiiiiiliiliiiiil
	.p2align	8
	.type	_ZL15flash_attn_tileILi128ELi128ELi64ELi1ELb0EEvPKcS1_S1_S1_S1_PKiPfP15HIP_vector_typeIfLj2EEffffjfiS5_IjLj3EEiiiiiiiiiiiliiliiiiil,@function
_ZL15flash_attn_tileILi128ELi128ELi64ELi1ELb0EEvPKcS1_S1_S1_S1_PKiPfP15HIP_vector_typeIfLj2EEffffjfiS5_IjLj3EEiiiiiiiiiiiliiliiiiil: ; @_ZL15flash_attn_tileILi128ELi128ELi64ELi1ELb0EEvPKcS1_S1_S1_S1_PKiPfP15HIP_vector_typeIfLj2EEffffjfiS5_IjLj3EEiiiiiiiiiiiliiliiiiil
; %bb.0:
	s_clause 0x1
	s_load_b128 s[24:27], s[0:1], 0x5c
	s_load_b64 s[2:3], s[0:1], 0x80
	s_lshr_b32 s6, ttmp7, 16
	s_load_b64 s[30:31], s[0:1], 0xb8
	s_mov_b32 s39, 0
	s_mov_b64 s[40:41], 0
	s_wait_kmcnt 0x0
	s_cvt_f32_u32 s4, s27
	s_sub_co_i32 s5, 0, s27
	s_delay_alu instid0(SALU_CYCLE_2) | instskip(NEXT) | instid1(TRANS32_DEP_1)
	v_rcp_iflag_f32_e32 v1, s4
	v_readfirstlane_b32 s4, v1
	s_mul_f32 s4, s4, 0x4f7ffffe
	s_wait_alu 0xfffe
	s_delay_alu instid0(SALU_CYCLE_2) | instskip(SKIP_1) | instid1(SALU_CYCLE_2)
	s_cvt_u32_f32 s4, s4
	s_wait_alu 0xfffe
	s_mul_i32 s5, s5, s4
	s_wait_alu 0xfffe
	s_mul_hi_u32 s5, s4, s5
	s_wait_alu 0xfffe
	s_add_co_i32 s4, s4, s5
	s_wait_alu 0xfffe
	s_mul_hi_u32 s4, s6, s4
	s_wait_alu 0xfffe
	s_mul_i32 s5, s4, s27
	s_add_co_i32 s7, s4, 1
	s_wait_alu 0xfffe
	s_sub_co_i32 s5, s6, s5
	s_wait_alu 0xfffe
	s_sub_co_i32 s8, s5, s27
	s_cmp_ge_u32 s5, s27
	s_cselect_b32 s4, s7, s4
	s_cselect_b32 s5, s8, s5
	s_wait_alu 0xfffe
	s_add_co_i32 s7, s4, 1
	s_cmp_ge_u32 s5, s27
	s_cselect_b32 s36, s7, s4
	s_abs_i32 s4, s3
	s_abs_i32 s9, s27
	s_wait_alu 0xfffe
	s_cvt_f32_u32 s5, s4
	s_sub_co_i32 s7, 0, s4
	s_mul_i32 s8, s36, s27
	s_xor_b32 s3, s27, s3
	s_wait_alu 0xfffe
	v_rcp_iflag_f32_e32 v1, s5
	s_sub_co_i32 s34, s6, s8
	s_ashr_i32 s3, s3, 31
	s_delay_alu instid0(TRANS32_DEP_1) | instskip(SKIP_2) | instid1(SALU_CYCLE_2)
	v_readfirstlane_b32 s5, v1
	s_mul_f32 s5, s5, 0x4f7ffffe
	s_wait_alu 0xfffe
	s_cvt_u32_f32 s5, s5
	s_wait_alu 0xfffe
	s_delay_alu instid0(SALU_CYCLE_2) | instskip(NEXT) | instid1(SALU_CYCLE_1)
	s_mul_i32 s7, s7, s5
	s_mul_hi_u32 s7, s5, s7
	s_delay_alu instid0(SALU_CYCLE_1)
	s_add_co_i32 s5, s5, s7
	s_wait_alu 0xfffe
	s_mul_hi_u32 s5, s9, s5
	s_wait_alu 0xfffe
	s_mul_i32 s6, s5, s4
	s_add_co_i32 s7, s5, 1
	s_sub_co_i32 s6, s9, s6
	s_delay_alu instid0(SALU_CYCLE_1)
	s_sub_co_i32 s8, s6, s4
	s_cmp_ge_u32 s6, s4
	s_cselect_b32 s5, s7, s5
	s_cselect_b32 s6, s8, s6
	s_wait_alu 0xfffe
	s_add_co_i32 s7, s5, 1
	s_cmp_ge_u32 s6, s4
	s_load_b512 s[8:23], s[0:1], 0x0
	s_cselect_b32 s4, s7, s5
	s_abs_i32 s38, s34
	s_wait_alu 0xfffe
	s_xor_b32 s4, s4, s3
	s_wait_alu 0xfffe
	s_sub_co_i32 s37, s4, s3
	s_delay_alu instid0(SALU_CYCLE_1) | instskip(NEXT) | instid1(SALU_CYCLE_1)
	s_abs_i32 s3, s37
	s_cvt_f32_u32 s4, s3
	s_sub_co_i32 s5, 0, s3
	s_wait_alu 0xfffe
	s_delay_alu instid0(SALU_CYCLE_1) | instskip(NEXT) | instid1(TRANS32_DEP_1)
	v_rcp_iflag_f32_e32 v1, s4
	v_readfirstlane_b32 s4, v1
	s_mul_f32 s4, s4, 0x4f7ffffe
	s_wait_alu 0xfffe
	s_delay_alu instid0(SALU_CYCLE_2) | instskip(SKIP_1) | instid1(SALU_CYCLE_2)
	s_cvt_u32_f32 s4, s4
	s_wait_alu 0xfffe
	s_mul_i32 s5, s5, s4
	s_wait_alu 0xfffe
	s_mul_hi_u32 s5, s4, s5
	s_wait_alu 0xfffe
	s_add_co_i32 s42, s4, s5
	s_wait_kmcnt 0x0
	s_cmp_eq_u64 s[14:15], 0
	s_cbranch_scc1 .LBB52_2
; %bb.1:
	s_abs_i32 s6, s30
	s_delay_alu instid0(SALU_CYCLE_1) | instskip(SKIP_1) | instid1(SALU_CYCLE_2)
	s_cvt_f32_u32 s4, s6
	s_wait_alu 0xfffe
	v_rcp_iflag_f32_e32 v1, s4
	s_delay_alu instid0(TRANS32_DEP_1) | instskip(SKIP_2) | instid1(SALU_CYCLE_2)
	v_readfirstlane_b32 s4, v1
	s_mul_f32 s4, s4, 0x4f7ffffe
	s_wait_alu 0xfffe
	s_cvt_u32_f32 s7, s4
	s_sub_co_i32 s4, 0, s6
	s_wait_alu 0xfffe
	s_delay_alu instid0(SALU_CYCLE_1) | instskip(SKIP_4) | instid1(SALU_CYCLE_1)
	s_mul_i32 s4, s4, s7
	s_wait_alu 0xfffe
	s_mul_hi_u32 s28, s7, s4
	s_load_b64 s[4:5], s[0:1], 0xc8
	s_add_co_i32 s7, s7, s28
	s_mul_hi_u32 s7, s36, s7
	s_delay_alu instid0(SALU_CYCLE_1) | instskip(NEXT) | instid1(SALU_CYCLE_1)
	s_mul_i32 s7, s7, s6
	s_sub_co_i32 s7, s36, s7
	s_delay_alu instid0(SALU_CYCLE_1) | instskip(SKIP_2) | instid1(SALU_CYCLE_1)
	s_sub_co_i32 s28, s7, s6
	s_cmp_ge_u32 s7, s6
	s_cselect_b32 s7, s28, s7
	s_sub_co_i32 s28, s7, s6
	s_cmp_ge_u32 s7, s6
	s_cselect_b32 s6, s28, s7
	s_delay_alu instid0(SALU_CYCLE_1)
	s_ashr_i32 s7, s6, 31
	s_wait_kmcnt 0x0
	s_mul_u64 s[4:5], s[4:5], s[6:7]
	s_wait_alu 0xfffe
	s_add_nc_u64 s[40:41], s[14:15], s[4:5]
.LBB52_2:
	s_clause 0x1
	s_load_b128 s[4:7], s[0:1], 0x40
	s_load_b32 s14, s[0:1], 0x50
	v_mov_b32_e32 v51, 1.0
	s_mov_b32 s43, s39
	s_wait_kmcnt 0x0
	s_cmp_le_f32 s5, 0
	s_cbranch_scc1 .LBB52_4
; %bb.3:
	v_sub_co_u32 v1, s5, s34, s14
	s_and_b32 s15, s5, exec_lo
	s_cselect_b32 s7, s6, s7
	v_readfirstlane_b32 s14, v1
	s_lshl_b32 s6, s14, 1
	s_add_co_i32 s14, s34, 1
	s_or_b32 s6, s6, 1
	s_and_b32 s5, s5, exec_lo
	s_wait_alu 0xfffe
	s_cselect_b32 s5, s14, s6
	s_cmp_neq_f32 s7, 1.0
	s_wait_alu 0xfffe
	s_cvt_f32_i32 s5, s5
	s_wait_alu 0xfffe
	s_delay_alu instid0(SALU_CYCLE_2) | instskip(NEXT) | instid1(SALU_CYCLE_1)
	s_cselect_b32 s6, s5, 1.0
	s_cmp_neq_f32 s6, 0
	s_cselect_b32 s5, s7, 1.0
	s_wait_alu 0xfffe
	v_frexp_mant_f32_e64 v1, |s5|
	s_delay_alu instid0(VALU_DEP_1)
	v_readfirstlane_b32 s7, v1
	v_cvt_f64_f32_e64 v[1:2], |s5|
	s_cmp_lt_f32 s7, 0x3f2aaaab
	s_cselect_b32 s14, -1, 0
	s_wait_alu 0xfffe
	s_and_b32 s15, s14, exec_lo
	s_cselect_b32 s15, 2.0, 1.0
	s_wait_alu 0xfffe
	s_mul_f32 s7, s7, s15
	s_delay_alu instid0(SALU_CYCLE_3) | instskip(SKIP_2) | instid1(SALU_CYCLE_1)
	s_add_f32 s15, s7, 1.0
	s_add_f32 s29, s7, -1.0
	s_wait_alu 0xfffe
	v_s_rcp_f32 s28, s15
	s_add_f32 s35, s15, -1.0
	s_wait_alu 0xfffe
	s_delay_alu instid0(SALU_CYCLE_2) | instskip(NEXT) | instid1(TRANS32_DEP_1)
	s_sub_f32 s7, s7, s35
	s_mul_f32 s30, s29, s28
	s_delay_alu instid0(SALU_CYCLE_3) | instskip(NEXT) | instid1(SALU_CYCLE_3)
	s_mul_f32 s33, s15, s30
	s_xor_b32 s44, s33, 0x80000000
	s_delay_alu instid0(VALU_DEP_1) | instskip(SKIP_1) | instid1(SALU_CYCLE_3)
	v_frexp_exp_i32_f64_e32 v1, v[1:2]
	s_fmac_f32 s44, s30, s15
	s_fmac_f32 s44, s30, s7
	s_delay_alu instid0(SALU_CYCLE_3) | instskip(NEXT) | instid1(SALU_CYCLE_3)
	s_add_f32 s7, s33, s44
	s_sub_f32 s15, s29, s7
	s_sub_f32 s33, s7, s33
	s_wait_alu 0xfffe
	s_delay_alu instid0(SALU_CYCLE_1) | instskip(NEXT) | instid1(SALU_CYCLE_1)
	s_sub_f32 s29, s29, s15
	s_sub_f32 s33, s33, s44
	s_delay_alu instid0(SALU_CYCLE_2) | instskip(NEXT) | instid1(SALU_CYCLE_3)
	s_sub_f32 s7, s29, s7
	s_add_f32 s7, s33, s7
	s_mov_b32 s33, 0x3e76c4e1
	s_delay_alu instid0(SALU_CYCLE_2) | instskip(NEXT) | instid1(SALU_CYCLE_3)
	s_add_f32 s7, s15, s7
	s_mul_f32 s7, s28, s7
	s_delay_alu instid0(SALU_CYCLE_3) | instskip(SKIP_1) | instid1(SALU_CYCLE_2)
	s_add_f32 s15, s30, s7
	s_wait_alu 0xfffe
	s_sub_f32 s28, s15, s30
	s_mul_f32 s29, s15, s15
	s_delay_alu instid0(SALU_CYCLE_2) | instskip(NEXT) | instid1(SALU_CYCLE_2)
	s_sub_f32 s7, s7, s28
	s_xor_b32 s28, s29, 0x80000000
	s_delay_alu instid0(SALU_CYCLE_1) | instskip(NEXT) | instid1(SALU_CYCLE_1)
	s_fmac_f32 s28, s15, s15
	s_add_f32 s30, s7, s7
	s_delay_alu instid0(SALU_CYCLE_3) | instskip(NEXT) | instid1(SALU_CYCLE_3)
	s_fmac_f32 s28, s15, s30
	s_add_f32 s30, s29, s28
	s_delay_alu instid0(SALU_CYCLE_3) | instskip(SKIP_1) | instid1(SALU_CYCLE_2)
	s_fmaak_f32 s33, s30, s33, 0x3e91f4c4
	s_sub_f32 s29, s30, s29
	s_fmaak_f32 s33, s30, s33, 0x3ecccdef
	s_delay_alu instid0(SALU_CYCLE_2) | instskip(SKIP_1) | instid1(SALU_CYCLE_1)
	s_sub_f32 s28, s28, s29
	s_mul_f32 s29, s15, s30
	s_mul_f32 s35, s30, s33
	s_delay_alu instid0(SALU_CYCLE_2) | instskip(SKIP_1) | instid1(SALU_CYCLE_1)
	s_xor_b32 s45, s29, 0x80000000
	s_wait_alu 0xfffe
	s_xor_b32 s44, s35, 0x80000000
	s_fmac_f32 s45, s30, s15
	s_fmac_f32 s44, s30, s33
	s_delay_alu instid0(SALU_CYCLE_2) | instskip(NEXT) | instid1(SALU_CYCLE_2)
	s_fmac_f32 s45, s30, s7
	s_fmac_f32 s44, s28, s33
	s_delay_alu instid0(SALU_CYCLE_2) | instskip(NEXT) | instid1(SALU_CYCLE_2)
	s_fmac_f32 s45, s28, s15
	s_add_f32 s33, s35, s44
	s_delay_alu instid0(SALU_CYCLE_3) | instskip(SKIP_2) | instid1(SALU_CYCLE_1)
	s_sub_f32 s35, s33, s35
	s_add_f32 s46, s33, 0x3f2aaaaa
	s_wait_alu 0xfffe
	s_sub_f32 s35, s44, s35
	s_delay_alu instid0(SALU_CYCLE_1) | instskip(SKIP_1) | instid1(SALU_CYCLE_1)
	s_add_f32 s44, s46, 0xbf2aaaaa
	s_wait_alu 0xfffe
	s_add_f32 s30, s35, 0x31739010
	s_delay_alu instid0(SALU_CYCLE_1) | instskip(NEXT) | instid1(SALU_CYCLE_3)
	s_sub_f32 s33, s33, s44
	s_add_f32 s28, s30, s33
	s_add_f32 s30, s29, s45
	s_delay_alu instid0(SALU_CYCLE_2) | instskip(NEXT) | instid1(SALU_CYCLE_2)
	s_add_f32 s33, s46, s28
	s_sub_f32 s29, s30, s29
	s_delay_alu instid0(SALU_CYCLE_2) | instskip(SKIP_1) | instid1(SALU_CYCLE_1)
	s_mul_f32 s35, s30, s33
	s_sub_f32 s44, s46, s33
	s_sub_f32 s29, s45, s29
	s_wait_alu 0xfffe
	s_xor_b32 s46, s35, 0x80000000
	s_add_f32 s28, s28, s44
	s_fmac_f32 s46, s30, s33
	v_readfirstlane_b32 s44, v1
	v_ldexp_f32 v1, s15, 1
	s_cmp_lg_u32 s14, 0
	s_fmac_f32 s46, s30, s28
	s_sub_co_ci_u32 s14, s44, 0
	s_delay_alu instid0(VALU_DEP_1) | instskip(NEXT) | instid1(SALU_CYCLE_1)
	v_readfirstlane_b32 s15, v1
	s_fmac_f32 s46, s29, s33
	s_wait_alu 0xfffe
	s_cvt_f32_i32 s14, s14
	v_ldexp_f32 v1, s7, 1
	s_add_f32 s28, s35, s46
	s_wait_alu 0xfffe
	s_mul_f32 s7, s14, 0x3f317218
	s_delay_alu instid0(VALU_DEP_1)
	v_readfirstlane_b32 s33, v1
	s_add_f32 s29, s15, s28
	s_sub_f32 s30, s28, s35
	s_wait_alu 0xfffe
	s_xor_b32 s35, s7, 0x80000000
	s_sub_f32 s15, s29, s15
	s_sub_f32 s30, s46, s30
	s_wait_alu 0xfffe
	s_fmamk_f32 s35, s14, 0x3f317218, s35
	s_sub_f32 s15, s28, s15
	s_add_f32 s28, s33, s30
	s_wait_alu 0xfffe
	s_fmamk_f32 s14, s14, 0xb102e308, s35
	s_delay_alu instid0(SALU_CYCLE_1) | instskip(SKIP_1) | instid1(SALU_CYCLE_1)
	s_add_f32 s15, s28, s15
	s_wait_alu 0xfffe
	s_add_f32 s28, s7, s14
	s_delay_alu instid0(SALU_CYCLE_1) | instskip(NEXT) | instid1(SALU_CYCLE_2)
	s_add_f32 s30, s29, s15
	s_sub_f32 s7, s28, s7
	s_delay_alu instid0(SALU_CYCLE_2)
	s_add_f32 s33, s28, s30
	s_sub_f32 s29, s30, s29
	s_wait_alu 0xfffe
	s_sub_f32 s7, s14, s7
	s_sub_f32 s35, s33, s28
	s_sub_f32 s14, s15, s29
	s_wait_alu 0xfffe
	s_delay_alu instid0(SALU_CYCLE_1) | instskip(SKIP_2) | instid1(SALU_CYCLE_1)
	s_sub_f32 s44, s33, s35
	s_sub_f32 s15, s30, s35
	s_add_f32 s29, s7, s14
	s_sub_f32 s28, s28, s44
	s_wait_alu 0xfffe
	s_delay_alu instid0(SALU_CYCLE_2) | instskip(SKIP_2) | instid1(SALU_CYCLE_1)
	s_add_f32 s15, s15, s28
	s_sub_f32 s28, s29, s7
	s_wait_alu 0xfffe
	s_add_f32 s15, s29, s15
	s_delay_alu instid0(SALU_CYCLE_1) | instskip(SKIP_4) | instid1(SALU_CYCLE_2)
	s_sub_f32 s29, s29, s28
	s_sub_f32 s14, s14, s28
	s_wait_alu 0xfffe
	s_add_f32 s30, s33, s15
	s_sub_f32 s7, s7, s29
	s_sub_f32 s28, s30, s33
	s_wait_alu 0xfffe
	s_delay_alu instid0(SALU_CYCLE_1) | instskip(NEXT) | instid1(SALU_CYCLE_1)
	s_add_f32 s7, s14, s7
	s_sub_f32 s14, s15, s28
	s_wait_alu 0xfffe
	s_delay_alu instid0(SALU_CYCLE_2) | instskip(SKIP_1) | instid1(SALU_CYCLE_2)
	s_add_f32 s7, s7, s14
	s_wait_alu 0xfffe
	s_add_f32 s14, s30, s7
	s_wait_alu 0xfffe
	s_delay_alu instid0(SALU_CYCLE_2) | instskip(SKIP_2) | instid1(SALU_CYCLE_1)
	s_mul_f32 s15, s6, s14
	s_sub_f32 s28, s14, s30
	s_wait_alu 0xfffe
	s_xor_b32 s29, s15, 0x80000000
	s_delay_alu instid0(SALU_CYCLE_1) | instskip(SKIP_2) | instid1(SALU_CYCLE_2)
	s_sub_f32 s7, s7, s28
	s_fmac_f32 s29, s6, s14
	s_wait_alu 0xfffe
	s_fmac_f32 s29, s6, s7
	v_cmp_class_f32_e64 s7, s15, 0x204
	s_delay_alu instid0(SALU_CYCLE_2) | instskip(SKIP_2) | instid1(SALU_CYCLE_1)
	s_add_f32 s14, s15, s29
	s_and_b32 s7, s7, exec_lo
	s_wait_alu 0xfffe
	s_sub_f32 s7, s14, s15
	s_cselect_b32 s14, s15, s14
	s_wait_alu 0xfffe
	s_and_b32 s15, s14, 0x7fffffff
	s_sub_f32 s7, s29, s7
	s_wait_alu 0xfffe
	s_cmp_neq_f32 s15, 0x7f800000
	s_delay_alu instid0(SALU_CYCLE_1)
	s_cselect_b32 s7, s7, 0
	s_cmp_eq_f32 s14, 0x42b17218
	s_cselect_b32 s15, 0x37000000, 0
	s_wait_alu 0xfffe
	s_sub_f32 s14, s14, s15
	s_add_f32 s7, s15, s7
	s_wait_alu 0xfffe
	s_delay_alu instid0(SALU_CYCLE_1) | instskip(NEXT) | instid1(SALU_CYCLE_3)
	s_mul_f32 s28, s14, 0x3fb8aa3b
	s_xor_b32 s29, s28, 0x80000000
	s_rndne_f32 s30, s28
	s_fmamk_f32 s29, s14, 0x3fb8aa3b, s29
	s_cmp_nlt_f32 s14, 0xc2ce8ed0
	s_delay_alu instid0(SALU_CYCLE_1) | instskip(NEXT) | instid1(SALU_CYCLE_1)
	s_sub_f32 s28, s28, s30
	s_fmamk_f32 s29, s14, 0x32a5705f, s29
	s_cselect_b32 vcc_lo, -1, 0
	s_cmp_ngt_f32 s14, 0x42b17218
	s_trunc_f32 s14, s6
	s_add_f32 s28, s28, s29
	s_cvt_i32_f32 s29, s30
	s_delay_alu instid0(SALU_CYCLE_2)
	v_s_exp_f32 s28, s28
	s_wait_alu 0xf1ff
	s_delay_alu instid0(TRANS32_DEP_1) | instid1(SALU_CYCLE_1)
	v_ldexp_f32 v1, s28, s29
	s_mul_f32 s28, s6, 0.5
	s_delay_alu instid0(VALU_DEP_1)
	v_cndmask_b32_e32 v1, 0, v1, vcc_lo
	s_cselect_b32 vcc_lo, -1, 0
	s_wait_alu 0xfffe
	s_cmp_eq_f32 s14, s6
	s_trunc_f32 s29, s28
	v_cndmask_b32_e32 v1, 0x7f800000, v1, vcc_lo
	s_cselect_b32 s30, -1, 0
	s_wait_alu 0xfffe
	s_cmp_neq_f32 s29, s28
	s_delay_alu instid0(VALU_DEP_1)
	v_fma_f32 v2, s7, v1, v1
	v_cmp_class_f32_e64 vcc_lo, v1, 0x204
	s_cselect_b32 s15, -1, 0
	s_wait_alu 0xfffe
	s_and_b32 s7, s30, s15
	s_wait_alu 0xfffd
	v_cndmask_b32_e32 v1, v2, v1, vcc_lo
	s_wait_alu 0xfffe
	s_and_b32 s15, s7, exec_lo
	s_cselect_b32 s15, s5, 1.0
	s_cmp_eq_f32 s14, s6
	v_cmp_class_f32_e64 s14, s5, 0x204
	s_wait_alu 0xfffe
	v_bfi_b32 v1, 0x7fffffff, v1, s15
	s_cselect_b32 vcc_lo, -1, 0
	s_cmp_lt_f32 s5, 0
	s_wait_alu 0xfffe
	s_delay_alu instid0(VALU_DEP_1) | instskip(SKIP_3) | instid1(VALU_DEP_1)
	v_cndmask_b32_e32 v2, 0x7fc00000, v1, vcc_lo
	s_cselect_b32 vcc_lo, -1, 0
	s_cmp_eq_f32 s5, 0
	s_wait_alu 0xfffe
	v_cndmask_b32_e32 v1, v1, v2, vcc_lo
	s_cselect_b32 s15, -1, 0
	s_wait_alu 0xfffe
	s_or_b32 vcc_lo, s15, s14
	s_cmp_lt_f32 s6, 0
	s_cselect_b32 s6, -1, 0
	s_wait_alu 0xfffe
	s_xor_b32 s6, s6, s15
	s_wait_alu 0xfffe
	s_and_b32 s6, s6, exec_lo
	s_cselect_b32 s6, 0, 0x7f800000
	s_and_b32 s7, s7, exec_lo
	s_cselect_b32 s7, s5, 0
	s_cmp_o_f32 s5, s5
	s_wait_alu 0xfffe
	v_mov_b32_e32 v2, s7
	s_delay_alu instid0(VALU_DEP_1) | instskip(NEXT) | instid1(VALU_DEP_1)
	v_bfi_b32 v2, 0x7fffffff, s6, v2
	v_cndmask_b32_e32 v1, v1, v2, vcc_lo
	s_cselect_b32 vcc_lo, -1, 0
	s_wait_alu 0xfffe
	s_delay_alu instid0(VALU_DEP_1)
	v_cndmask_b32_e32 v51, 0x7fc00000, v1, vcc_lo
.LBB52_4:
	v_bfe_u32 v48, v0, 10, 10
	s_lshl_b32 s33, ttmp9, 6
	s_load_b96 s[28:30], s[0:1], 0x70
	s_ashr_i32 s35, s34, 31
	s_delay_alu instid0(VALU_DEP_1) | instskip(SKIP_1) | instid1(VALU_DEP_2)
	v_lshlrev_b32_e32 v24, 3, v48
	v_lshlrev_b32_e32 v64, 11, v48
	v_or_b32_e32 v37, 1, v24
	v_or_b32_e32 v36, 2, v24
	;; [unrolled: 1-line block ×5, first 2 shown]
	v_add_nc_u32_e32 v41, s33, v37
	v_add_nc_u32_e32 v39, s33, v36
	;; [unrolled: 1-line block ×5, first 2 shown]
	v_mul_hi_u32 v2, v41, s24
	v_mul_hi_u32 v3, v39, s24
	;; [unrolled: 1-line block ×3, first 2 shown]
	s_wait_kmcnt 0x0
	s_mul_i32 s14, s34, s29
	s_ashr_i32 s29, s28, 31
	v_mul_hi_u32 v7, v35, s24
	s_wait_alu 0xfffe
	s_lshr_b64 s[44:45], s[28:29], 2
	s_lshr_b32 s5, s29, 2
	v_add_nc_u32_e32 v2, v41, v2
	v_add_nc_u32_e32 v3, v39, v3
	v_add_nc_u32_e32 v8, v38, v4
	s_mul_i32 s6, s36, s30
	s_ashr_i32 s15, s14, 31
	v_lshrrev_b32_e32 v2, s25, v2
	v_lshrrev_b32_e32 v3, s25, v3
	;; [unrolled: 1-line block ×3, first 2 shown]
	v_add_nc_u32_e32 v12, v35, v7
	s_wait_alu 0xfffe
	s_ashr_i32 s7, s6, 31
	v_mul_lo_u32 v5, v2, s26
	v_mul_lo_u32 v3, v3, s26
	s_wait_alu 0xfffe
	s_add_nc_u64 s[6:7], s[8:9], s[6:7]
	v_lshrrev_b32_e32 v12, s25, v12
	s_wait_alu 0xfffe
	s_add_nc_u64 s[6:7], s[6:7], s[14:15]
	v_mul_hi_u32 v11, v32, s24
	v_or_b32_e32 v26, 6, v24
	s_ashr_i32 s15, s37, 31
	v_sub_nc_u32_e32 v9, v41, v5
	v_sub_nc_u32_e32 v10, v39, v3
	v_mul_lo_u32 v12, v12, s26
	v_add_nc_u32_e32 v31, s33, v26
	s_mul_u64 s[8:9], s[38:39], s[42:43]
	v_mad_co_u64_u32 v[3:4], null, s44, v9, 0
	v_add_nc_u32_e32 v25, s33, v24
	v_mad_co_u64_u32 v[5:6], null, s44, v10, 0
	s_mov_b32 s37, 0
	s_cmp_eq_u64 s[18:19], 0
	v_mul_hi_u32 v1, v25, s24
	s_delay_alu instid0(VALU_DEP_1) | instskip(NEXT) | instid1(VALU_DEP_1)
	v_add_nc_u32_e32 v1, v25, v1
	v_lshrrev_b32_e32 v1, s25, v1
	s_delay_alu instid0(VALU_DEP_1) | instskip(NEXT) | instid1(VALU_DEP_1)
	v_mul_lo_u32 v1, v1, s26
	v_sub_nc_u32_e32 v60, v25, v1
	s_delay_alu instid0(VALU_DEP_1) | instskip(NEXT) | instid1(VALU_DEP_1)
	v_mad_co_u64_u32 v[1:2], null, s44, v60, 0
	v_mad_co_u64_u32 v[7:8], null, s5, v60, v[2:3]
	v_mov_b32_e32 v2, v4
	v_mov_b32_e32 v4, v6
	v_mul_lo_u32 v6, v13, s26
	s_delay_alu instid0(VALU_DEP_3) | instskip(NEXT) | instid1(VALU_DEP_3)
	v_mad_co_u64_u32 v[8:9], null, s5, v9, v[2:3]
	v_mad_co_u64_u32 v[9:10], null, s5, v10, v[4:5]
	v_mov_b32_e32 v2, v7
	s_delay_alu instid0(VALU_DEP_4) | instskip(NEXT) | instid1(VALU_DEP_4)
	v_sub_nc_u32_e32 v10, v38, v6
	v_mov_b32_e32 v4, v8
	s_delay_alu instid0(VALU_DEP_3) | instskip(NEXT) | instid1(VALU_DEP_3)
	v_lshlrev_b64_e32 v[1:2], 2, v[1:2]
	v_mad_co_u64_u32 v[13:14], null, s44, v10, 0
	v_and_b32_e32 v40, 0x3ff, v0
	s_delay_alu instid0(VALU_DEP_4) | instskip(SKIP_2) | instid1(VALU_DEP_4)
	v_lshlrev_b64_e32 v[3:4], 2, v[3:4]
	v_mov_b32_e32 v6, v9
	v_mul_hi_u32 v9, v31, s24
	v_lshlrev_b32_e32 v0, 4, v40
	s_wait_alu 0xfffe
	s_delay_alu instid0(VALU_DEP_1) | instskip(SKIP_2) | instid1(VALU_DEP_4)
	v_add_co_u32 v34, s6, s6, v0
	s_wait_alu 0xf1ff
	v_add_co_ci_u32_e64 v49, null, s7, 0, s6
	v_add_nc_u32_e32 v17, v31, v9
	s_delay_alu instid0(VALU_DEP_3) | instskip(SKIP_1) | instid1(VALU_DEP_3)
	v_add_co_u32 v1, vcc_lo, v34, v1
	s_wait_alu 0xfffd
	v_add_co_ci_u32_e64 v2, null, v49, v2, vcc_lo
	v_add_co_u32 v7, vcc_lo, v34, v3
	s_wait_alu 0xfffd
	v_add_co_ci_u32_e64 v8, null, v49, v4, vcc_lo
	v_lshlrev_b64_e32 v[3:4], 2, v[5:6]
	v_add_nc_u32_e32 v6, v32, v11
	v_sub_nc_u32_e32 v11, v35, v12
	v_mov_b32_e32 v5, v14
	s_delay_alu instid0(VALU_DEP_4) | instskip(NEXT) | instid1(VALU_DEP_3)
	v_add_co_u32 v9, vcc_lo, v34, v3
	v_mad_co_u64_u32 v[15:16], null, s44, v11, 0
	v_lshrrev_b32_e32 v12, s25, v6
	s_delay_alu instid0(VALU_DEP_4) | instskip(SKIP_2) | instid1(VALU_DEP_3)
	v_mad_co_u64_u32 v[5:6], null, s5, v10, v[5:6]
	s_wait_alu 0xfffd
	v_add_co_ci_u32_e64 v10, null, v49, v4, vcc_lo
	v_mul_lo_u32 v12, v12, s26
	v_mov_b32_e32 v3, v16
	v_or_b32_e32 v27, 7, v24
	v_mov_b32_e32 v14, v5
	v_lshrrev_b32_e32 v5, s25, v17
	s_delay_alu instid0(VALU_DEP_3) | instskip(SKIP_1) | instid1(VALU_DEP_4)
	v_add_nc_u32_e32 v28, s33, v27
	v_sub_nc_u32_e32 v21, v32, v12
	v_lshlrev_b64_e32 v[13:14], 2, v[13:14]
	s_delay_alu instid0(VALU_DEP_4) | instskip(NEXT) | instid1(VALU_DEP_4)
	v_mul_lo_u32 v19, v5, s26
	v_mul_hi_u32 v6, v28, s24
	s_delay_alu instid0(VALU_DEP_3) | instskip(SKIP_1) | instid1(VALU_DEP_4)
	v_add_co_u32 v13, vcc_lo, v34, v13
	s_wait_alu 0xfffd
	v_add_co_ci_u32_e64 v14, null, v49, v14, vcc_lo
	s_delay_alu instid0(VALU_DEP_4) | instskip(NEXT) | instid1(VALU_DEP_4)
	v_sub_nc_u32_e32 v42, v31, v19
	v_add_nc_u32_e32 v4, v28, v6
	s_delay_alu instid0(VALU_DEP_1) | instskip(NEXT) | instid1(VALU_DEP_1)
	v_lshrrev_b32_e32 v4, s25, v4
	v_mul_lo_u32 v20, v4, s26
	v_mad_co_u64_u32 v[16:17], null, s5, v11, v[3:4]
	v_mad_co_u64_u32 v[17:18], null, s44, v21, 0
	s_clause 0x2
	global_load_b128 v[1:4], v[1:2], off
	global_load_b128 v[5:8], v[7:8], off
	;; [unrolled: 1-line block ×3, first 2 shown]
	v_sub_nc_u32_e32 v44, v28, v20
	v_mad_co_u64_u32 v[19:20], null, s44, v42, 0
	v_lshlrev_b64_e32 v[15:16], 2, v[15:16]
	s_delay_alu instid0(VALU_DEP_2) | instskip(NEXT) | instid1(VALU_DEP_4)
	v_mad_co_u64_u32 v[21:22], null, s5, v21, v[18:19]
	v_mad_co_u64_u32 v[22:23], null, s44, v44, 0
	s_delay_alu instid0(VALU_DEP_1) | instskip(NEXT) | instid1(VALU_DEP_1)
	v_dual_mov_b32 v18, v21 :: v_dual_mov_b32 v21, v23
	v_lshlrev_b64_e32 v[17:18], 2, v[17:18]
	s_delay_alu instid0(VALU_DEP_2) | instskip(NEXT) | instid1(VALU_DEP_4)
	v_mad_co_u64_u32 v[42:43], null, s5, v42, v[20:21]
	v_mad_co_u64_u32 v[43:44], null, s5, v44, v[21:22]
	v_add_co_u32 v44, vcc_lo, v34, v15
	s_wait_alu 0xfffd
	v_add_co_ci_u32_e64 v45, null, v49, v16, vcc_lo
	s_delay_alu instid0(VALU_DEP_4)
	v_mov_b32_e32 v20, v42
	v_add_co_u32 v46, vcc_lo, v34, v17
	v_mov_b32_e32 v23, v43
	s_wait_alu 0xfffd
	v_add_co_ci_u32_e64 v47, null, v49, v18, vcc_lo
	v_lshlrev_b64_e32 v[42:43], 2, v[19:20]
	s_clause 0x2
	global_load_b128 v[13:16], v[13:14], off
	global_load_b128 v[17:20], v[44:45], off
	;; [unrolled: 1-line block ×3, first 2 shown]
	v_lshlrev_b64_e32 v[21:22], 2, v[22:23]
	v_add_co_u32 v42, vcc_lo, v34, v42
	s_wait_alu 0xfffd
	v_add_co_ci_u32_e64 v43, null, v49, v43, vcc_lo
	s_delay_alu instid0(VALU_DEP_3)
	v_add_co_u32 v21, vcc_lo, v34, v21
	s_wait_alu 0xfffd
	v_add_co_ci_u32_e64 v22, null, v49, v22, vcc_lo
	s_clause 0x1
	global_load_b128 v[52:55], v[42:43], off
	global_load_b128 v[56:59], v[21:22], off
	v_lshlrev_b32_e32 v21, 3, v40
	s_delay_alu instid0(VALU_DEP_1)
	v_dual_mov_b32 v43, 0 :: v_dual_add_nc_u32 v22, v21, v64
	v_lshl_add_u32 v23, v37, 8, v21
	v_lshl_add_u32 v34, v36, 8, v21
	;; [unrolled: 1-line block ×7, first 2 shown]
	s_wait_loadcnt 0x7
	v_fma_mixlo_f16 v2, s4, v2, 0
	v_fma_mixlo_f16 v1, s4, v1, 0
	;; [unrolled: 1-line block ×4, first 2 shown]
	s_wait_loadcnt 0x6
	v_fma_mixlo_f16 v5, s4, v5, 0
	v_lshlrev_b32_e32 v2, 16, v2
	v_and_b32_e32 v1, 0xffff, v1
	v_lshlrev_b32_e32 v4, 16, v4
	v_and_b32_e32 v3, 0xffff, v3
	v_fma_mixlo_f16 v6, s4, v6, 0
	v_fma_mixlo_f16 v7, s4, v7, 0
	;; [unrolled: 1-line block ×3, first 2 shown]
	s_wait_loadcnt 0x5
	v_fma_mixlo_f16 v9, s4, v9, 0
	v_fma_mixlo_f16 v10, s4, v10, 0
	;; [unrolled: 1-line block ×4, first 2 shown]
	v_or_b32_e32 v1, v2, v1
	v_or3_b32 v2, v4, v3, 0
	v_lshlrev_b32_e32 v3, 16, v6
	v_and_b32_e32 v4, 0xffff, v5
	v_lshlrev_b32_e32 v5, 16, v8
	v_and_b32_e32 v6, 0xffff, v7
	;; [unrolled: 2-line block ×4, first 2 shown]
	v_or_b32_e32 v3, v3, v4
	v_or3_b32 v4, v5, v6, 0
	v_or_b32_e32 v5, v7, v8
	v_or3_b32 v1, 0, 0, v1
	v_or3_b32 v6, v9, v10, 0
	;; [unrolled: 1-line block ×3, first 2 shown]
	s_delay_alu instid0(VALU_DEP_4)
	v_or3_b32 v5, 0, 0, v5
	s_wait_loadcnt 0x4
	v_fma_mixlo_f16 v13, s4, v13, 0
	v_fma_mixlo_f16 v14, s4, v14, 0
	v_fma_mixlo_f16 v15, s4, v15, 0
	v_fma_mixlo_f16 v16, s4, v16, 0
	s_wait_loadcnt 0x3
	v_fma_mixlo_f16 v17, s4, v17, 0
	v_fma_mixlo_f16 v18, s4, v18, 0
	v_fma_mixlo_f16 v19, s4, v19, 0
	v_fma_mixlo_f16 v20, s4, v20, 0
	;; [unrolled: 5-line block ×3, first 2 shown]
	v_lshlrev_b32_e32 v11, 16, v14
	v_and_b32_e32 v12, 0xffff, v13
	v_lshlrev_b32_e32 v13, 16, v16
	v_and_b32_e32 v14, 0xffff, v15
	s_wait_loadcnt 0x1
	v_fma_mixlo_f16 v52, s4, v52, 0
	v_fma_mixlo_f16 v53, s4, v53, 0
	;; [unrolled: 1-line block ×4, first 2 shown]
	s_wait_loadcnt 0x0
	v_fma_mixlo_f16 v56, s4, v56, 0
	v_fma_mixlo_f16 v57, s4, v57, 0
	v_lshlrev_b32_e32 v15, 16, v18
	v_and_b32_e32 v16, 0xffff, v17
	v_fma_mixlo_f16 v58, s4, v58, 0
	v_fma_mixlo_f16 v59, s4, v59, 0
	v_lshlrev_b32_e32 v17, 16, v20
	v_and_b32_e32 v18, 0xffff, v19
	v_lshlrev_b32_e32 v19, 16, v45
	v_and_b32_e32 v20, 0xffff, v44
	;; [unrolled: 2-line block ×6, first 2 shown]
	v_or_b32_e32 v7, v11, v12
	v_or_b32_e32 v9, v15, v16
	v_lshlrev_b32_e32 v56, 16, v59
	v_and_b32_e32 v57, 0xffff, v58
	v_or3_b32 v8, v13, v14, 0
	v_or_b32_e32 v11, v19, v20
	v_or_b32_e32 v13, v46, v47
	;; [unrolled: 1-line block ×3, first 2 shown]
	v_or3_b32 v7, 0, 0, v7
	v_or3_b32 v10, v17, v18, 0
	;; [unrolled: 1-line block ×9, first 2 shown]
	ds_store_b64 v22, v[1:2]
	ds_store_b64 v23, v[3:4]
	;; [unrolled: 1-line block ×8, first 2 shown]
	s_wait_dscnt 0x0
	s_barrier_signal -1
	s_barrier_wait -1
	global_inv scope:SCOPE_SE
	s_cbranch_scc1 .LBB52_6
; %bb.5:
	s_load_b32 s2, s[0:1], 0xd0
	s_mov_b32 s5, s37
	s_wait_kmcnt 0x0
	s_mul_i32 s2, s2, s36
	s_delay_alu instid0(SALU_CYCLE_1)
	s_add_co_i32 s4, s2, ttmp9
	s_wait_alu 0xfffe
	s_lshl_b64 s[4:5], s[4:5], 2
	s_wait_alu 0xfffe
	s_add_nc_u64 s[4:5], s[18:19], s[4:5]
	s_load_b32 s2, s[4:5], 0x0
.LBB52_6:
	s_clause 0x2
	s_load_b64 s[18:19], s[0:1], 0x8c
	s_load_b128 s[4:7], s[0:1], 0x98
	s_load_b64 s[42:43], s[0:1], 0xa8
	s_mul_i32 s8, s9, s3
	s_ashr_i32 s14, s31, 1
	s_sub_co_i32 s38, s38, s8
	s_xor_b32 s15, s35, s15
	s_add_co_i32 s29, s9, 1
	s_sub_co_i32 s39, s38, s3
	v_lshlrev_b32_e32 v34, 2, v40
	v_lshrrev_b32_e32 v81, 3, v40
	v_or_b32_e32 v62, 1, v25
	v_or_b32_e32 v58, 2, v25
	;; [unrolled: 1-line block ×6, first 2 shown]
	v_and_b32_e32 v80, 28, v34
	v_or_b32_e32 v52, 7, v25
	v_lshrrev_b32_e32 v50, 4, v40
	s_wait_kmcnt 0x0
	s_ashr_i32 s8, s18, 2
	s_ashr_i32 s28, s6, 2
	s_cmp_ge_u32 s38, s3
	s_mul_u64 s[4:5], s[4:5], s[36:37]
	s_wait_alu 0xfffe
	s_cselect_b32 s6, s29, s9
	s_cselect_b32 s9, s39, s38
	s_wait_alu 0xfffe
	s_add_co_i32 s18, s6, 1
	s_cmp_ge_u32 s9, s3
	s_mul_u64 s[30:31], s[42:43], s[36:37]
	s_cselect_b32 s3, s18, s6
	s_add_nc_u64 s[4:5], s[10:11], s[4:5]
	s_xor_b32 s3, s3, s15
	s_add_nc_u64 s[10:11], s[12:13], s[30:31]
	s_sub_co_i32 s6, s3, s15
	s_and_b32 s18, ttmp7, 0xffff
	s_wait_alu 0xfffe
	s_mul_i32 s12, s6, s19
	s_mul_i32 s6, s6, s7
	v_and_b32_e32 v49, 60, v34
	v_mbcnt_lo_u32_b32 v20, -1, 0
	s_sub_co_i32 s3, s2, 64
	s_lshl_b32 s38, s18, 6
	s_ashr_i32 s13, s12, 31
	s_wait_alu 0xfffe
	s_ashr_i32 s7, s6, 31
	s_add_nc_u64 s[4:5], s[4:5], s[12:13]
	s_cmp_ge_i32 s38, s3
	s_wait_alu 0xfffe
	s_add_nc_u64 s[30:31], s[10:11], s[6:7]
	s_cbranch_scc1 .LBB52_43
; %bb.7:
	v_mul_hi_u32 v1, s24, v62
	v_mul_hi_u32 v4, s24, v58
	;; [unrolled: 1-line block ×3, first 2 shown]
	v_mov_b32_e32 v57, 0
	v_mul_hi_u32 v7, s24, v55
	v_mul_hi_u32 v8, s24, v54
	;; [unrolled: 1-line block ×4, first 2 shown]
	v_dual_mov_b32 v68, 0 :: v_dual_add_nc_u32 v5, v62, v1
	v_add_nc_u32_e32 v4, v58, v4
	v_dual_mov_b32 v107, 0xfeffffff :: v_dual_add_nc_u32 v6, v56, v6
	s_delay_alu instid0(VALU_DEP_3) | instskip(SKIP_1) | instid1(VALU_DEP_4)
	v_lshrrev_b32_e32 v5, s25, v5
	v_dual_mov_b32 v72, 0 :: v_dual_add_nc_u32 v7, v55, v7
	v_lshrrev_b32_e32 v9, s25, v4
	s_delay_alu instid0(VALU_DEP_4) | instskip(NEXT) | instid1(VALU_DEP_4)
	v_lshrrev_b32_e32 v6, s25, v6
	v_mul_lo_u32 v5, v5, s26
	s_delay_alu instid0(VALU_DEP_4)
	v_lshrrev_b32_e32 v7, s25, v7
	v_lshl_add_u32 v2, v48, 2, v81
	v_mul_lo_u32 v9, v9, s26
	v_mul_lo_u32 v6, v6, s26
	v_dual_mov_b32 v66, 0 :: v_dual_lshlrev_b32 v3, 2, v80
	v_mul_lo_u32 v7, v7, s26
	v_sub_nc_u32_e32 v5, v62, v5
	v_mul_lo_u32 v1, s8, v2
	s_delay_alu instid0(VALU_DEP_4)
	v_mad_u32_u24 v2, 0x90, v2, v3
	v_sub_nc_u32_e32 v9, v58, v9
	v_sub_nc_u32_e32 v6, v56, v6
	v_mul_lo_u32 v83, v5, s14
	v_dual_mov_b32 v74, 0 :: v_dual_add_nc_u32 v5, v54, v8
	v_dual_mov_b32 v63, 0 :: v_dual_add_nc_u32 v8, v53, v10
	;; [unrolled: 1-line block ×3, first 2 shown]
	s_delay_alu instid0(VALU_DEP_3) | instskip(NEXT) | instid1(VALU_DEP_3)
	v_lshrrev_b32_e32 v5, s25, v5
	v_lshrrev_b32_e32 v8, s25, v8
	v_mul_lo_u32 v84, v9, s14
	s_delay_alu instid0(VALU_DEP_4)
	v_lshrrev_b32_e32 v10, s25, v10
	v_mul_lo_u32 v85, v6, s14
	v_mul_lo_u32 v5, v5, s26
	;; [unrolled: 1-line block ×3, first 2 shown]
	v_sub_nc_u32_e32 v6, v55, v7
	v_mul_lo_u32 v9, v10, s26
	v_lshl_add_u32 v10, v48, 1, v50
	v_lshl_add_u32 v3, s8, 5, v1
	v_dual_mov_b32 v76, 0 :: v_dual_lshlrev_b32 v11, 2, v49
	v_sub_nc_u32_e32 v7, v54, v5
	s_delay_alu instid0(VALU_DEP_4)
	v_mul_lo_u32 v5, s28, v10
	v_sub_nc_u32_e32 v8, v53, v8
	v_sub_nc_u32_e32 v9, v52, v9
	v_dual_mov_b32 v70, 0 :: v_dual_add_nc_u32 v79, 0x4000, v2
	v_mul_lo_u32 v87, v7, s14
	v_dual_mov_b32 v59, 0 :: v_dual_add_nc_u32 v82, 0x5200, v2
	v_lshl_add_u32 v7, s28, 4, v5
	v_ashrrev_i32_e32 v2, 31, v1
	v_ashrrev_i32_e32 v4, 31, v3
	v_mul_lo_u32 v86, v6, s14
	v_mul_lo_u32 v88, v8, s14
	v_ashrrev_i32_e32 v6, 31, v5
	v_ashrrev_i32_e32 v8, 31, v7
	v_lshl_or_b32 v10, v10, 8, v11
	v_lshl_add_u32 v90, v48, 10, 0x6400
	v_mul_lo_u32 v77, v60, s14
	v_mul_lo_u32 v89, v9, s14
	s_movk_i32 s6, 0x4000
	v_lshlrev_b64_e32 v[12:13], 2, v[1:2]
	v_lshlrev_b64_e32 v[14:15], 2, v[3:4]
	;; [unrolled: 1-line block ×4, first 2 shown]
	s_ashr_i32 s9, s8, 31
	s_wait_alu 0xfffe
	v_mad_u32_u24 v78, 0x90, v40, s6
	v_dual_mov_b32 v106, 0 :: v_dual_add_nc_u32 v91, 0x4000, v10
	v_dual_mov_b32 v65, 0 :: v_dual_add_nc_u32 v92, 0x5000, v10
	v_or_b32_e32 v93, 0x4000, v21
	v_dual_mov_b32 v67, 0 :: v_dual_lshlrev_b32 v94, 2, v80
	v_dual_mov_b32 v108, 0xfeffffff :: v_dual_add_nc_u32 v95, v90, v0
	v_dual_mov_b32 v69, 0 :: v_dual_lshlrev_b32 v96, 2, v49
	v_mbcnt_lo_u32_b32 v97, -1, 0
	v_dual_mov_b32 v71, 0 :: v_dual_mov_b32 v104, 0xfeffffff
	v_dual_mov_b32 v73, 0 :: v_dual_mov_b32 v102, 0xfeffffff
	;; [unrolled: 1-line block ×6, first 2 shown]
	v_mov_b32_e32 v7, 0
	v_mov_b32_e32 v103, 0
	;; [unrolled: 1-line block ×4, first 2 shown]
	s_cmp_lg_u64 s[40:41], 0
	s_add_nc_u64 s[6:7], s[0:1], 0xd0
	s_cselect_b32 s10, -1, 0
	s_ashr_i32 s29, s28, 31
.LBB52_8:                               ; =>This Inner Loop Header: Depth=1
	s_ashr_i32 s39, s38, 31
	v_dual_mov_b32 v111, 0 :: v_dual_mov_b32 v22, 0
	s_wait_alu 0xfffe
	s_mul_u64 s[12:13], s[38:39], s[8:9]
	v_dual_mov_b32 v47, 0 :: v_dual_mov_b32 v4, 0
	s_wait_alu 0xfffe
	s_lshl_b64 s[12:13], s[12:13], 2
	v_mov_b32_e32 v45, 0
	s_wait_alu 0xfffe
	s_add_nc_u64 s[12:13], s[4:5], s[12:13]
	v_dual_mov_b32 v43, 0 :: v_dual_mov_b32 v110, 0
	s_wait_alu 0xfffe
	v_add_co_u32 v0, vcc_lo, s12, v12
	s_wait_alu 0xfffd
	v_add_co_ci_u32_e64 v1, null, s13, v13, vcc_lo
	v_add_co_u32 v2, vcc_lo, s12, v14
	s_wait_alu 0xfffd
	v_add_co_ci_u32_e64 v3, null, s13, v15, vcc_lo
	;; [unrolled: 3-line block ×4, first 2 shown]
	s_clause 0x1
	global_load_b128 v[112:115], v[0:1], off
	global_load_b128 v[116:119], v[2:3], off
	v_dual_mov_b32 v23, 0 :: v_dual_mov_b32 v46, 0
	v_dual_mov_b32 v5, 0 :: v_dual_mov_b32 v44, 0
	;; [unrolled: 1-line block ×3, first 2 shown]
	s_and_not1_b32 vcc_lo, exec_lo, s10
	s_wait_loadcnt 0x1
	ds_store_b128 v79, v[112:115]
	s_wait_loadcnt 0x0
	ds_store_b128 v82, v[116:119]
	s_wait_dscnt 0x0
	s_barrier_signal -1
	s_barrier_wait -1
	global_inv scope:SCOPE_SE
	ds_load_b128 v[114:117], v78
	ds_load_b128 v[118:121], v64
	ds_load_b128 v[122:125], v64 offset:256
	ds_load_b128 v[126:129], v64 offset:512
	;; [unrolled: 1-line block ×8, first 2 shown]
	v_dual_mov_b32 v112, 0 :: v_dual_mov_b32 v113, 0
	v_mov_b32_e32 v42, 0
	s_wait_dscnt 0x8
	;;#ASMSTART
	v_dot2_f32_f16 v111, v114, v118, v111
	;;#ASMEND
	;;#ASMSTART
	v_dot2_f32_f16 v111, v115, v119, v111
	;;#ASMEND
	;;#ASMSTART
	v_dot2_f32_f16 v111, v116, v120, v111
	;;#ASMEND
	;;#ASMSTART
	v_dot2_f32_f16 v111, v117, v121, v111
	;;#ASMEND
	s_wait_dscnt 0x7
	;;#ASMSTART
	v_dot2_f32_f16 v47, v114, v122, v47
	;;#ASMEND
	;;#ASMSTART
	v_dot2_f32_f16 v47, v115, v123, v47
	;;#ASMEND
	;;#ASMSTART
	v_dot2_f32_f16 v47, v116, v124, v47
	;;#ASMEND
	;;#ASMSTART
	v_dot2_f32_f16 v47, v117, v125, v47
	;;#ASMEND
	;; [unrolled: 13-line block ×8, first 2 shown]
	;;#ASMSTART
	v_dot2_f32_f16 v113, v134, v118, v113
	;;#ASMEND
	;;#ASMSTART
	v_dot2_f32_f16 v113, v135, v119, v113
	;;#ASMEND
	;; [unrolled: 3-line block ×32, first 2 shown]
	ds_load_b128 v[114:117], v78 offset:16
	ds_load_b128 v[118:121], v64 offset:16
	;; [unrolled: 1-line block ×10, first 2 shown]
	s_wait_dscnt 0x8
	;;#ASMSTART
	v_dot2_f32_f16 v111, v114, v118, v111
	;;#ASMEND
	;;#ASMSTART
	v_dot2_f32_f16 v111, v115, v119, v111
	;;#ASMEND
	;;#ASMSTART
	v_dot2_f32_f16 v111, v116, v120, v111
	;;#ASMEND
	;;#ASMSTART
	v_dot2_f32_f16 v111, v117, v121, v111
	;;#ASMEND
	s_wait_dscnt 0x7
	;;#ASMSTART
	v_dot2_f32_f16 v47, v114, v122, v47
	;;#ASMEND
	;;#ASMSTART
	v_dot2_f32_f16 v47, v115, v123, v47
	;;#ASMEND
	;;#ASMSTART
	v_dot2_f32_f16 v47, v116, v124, v47
	;;#ASMEND
	;;#ASMSTART
	v_dot2_f32_f16 v47, v117, v125, v47
	;;#ASMEND
	;; [unrolled: 13-line block ×8, first 2 shown]
	;;#ASMSTART
	v_dot2_f32_f16 v113, v134, v118, v113
	;;#ASMEND
	;;#ASMSTART
	v_dot2_f32_f16 v113, v135, v119, v113
	;;#ASMEND
	;; [unrolled: 3-line block ×32, first 2 shown]
	ds_load_b128 v[114:117], v78 offset:32
	ds_load_b128 v[118:121], v64 offset:32
	;; [unrolled: 1-line block ×10, first 2 shown]
	s_wait_dscnt 0x8
	;;#ASMSTART
	v_dot2_f32_f16 v111, v114, v118, v111
	;;#ASMEND
	;;#ASMSTART
	v_dot2_f32_f16 v111, v115, v119, v111
	;;#ASMEND
	;;#ASMSTART
	v_dot2_f32_f16 v111, v116, v120, v111
	;;#ASMEND
	;;#ASMSTART
	v_dot2_f32_f16 v111, v117, v121, v111
	;;#ASMEND
	s_wait_dscnt 0x7
	;;#ASMSTART
	v_dot2_f32_f16 v47, v114, v122, v47
	;;#ASMEND
	;;#ASMSTART
	v_dot2_f32_f16 v47, v115, v123, v47
	;;#ASMEND
	;;#ASMSTART
	v_dot2_f32_f16 v47, v116, v124, v47
	;;#ASMEND
	;;#ASMSTART
	v_dot2_f32_f16 v47, v117, v125, v47
	;;#ASMEND
	;; [unrolled: 13-line block ×8, first 2 shown]
	;;#ASMSTART
	v_dot2_f32_f16 v113, v134, v118, v113
	;;#ASMEND
	;;#ASMSTART
	v_dot2_f32_f16 v113, v135, v119, v113
	;;#ASMEND
	;; [unrolled: 3-line block ×32, first 2 shown]
	ds_load_b128 v[114:117], v78 offset:48
	ds_load_b128 v[118:121], v64 offset:48
	;; [unrolled: 1-line block ×10, first 2 shown]
	s_wait_dscnt 0x8
	;;#ASMSTART
	v_dot2_f32_f16 v111, v114, v118, v111
	;;#ASMEND
	;;#ASMSTART
	v_dot2_f32_f16 v111, v115, v119, v111
	;;#ASMEND
	;;#ASMSTART
	v_dot2_f32_f16 v111, v116, v120, v111
	;;#ASMEND
	;;#ASMSTART
	v_dot2_f32_f16 v111, v117, v121, v111
	;;#ASMEND
	s_wait_dscnt 0x7
	;;#ASMSTART
	v_dot2_f32_f16 v47, v114, v122, v47
	;;#ASMEND
	;;#ASMSTART
	v_dot2_f32_f16 v47, v115, v123, v47
	;;#ASMEND
	;;#ASMSTART
	v_dot2_f32_f16 v47, v116, v124, v47
	;;#ASMEND
	;;#ASMSTART
	v_dot2_f32_f16 v47, v117, v125, v47
	;;#ASMEND
	;; [unrolled: 13-line block ×8, first 2 shown]
	;;#ASMSTART
	v_dot2_f32_f16 v113, v134, v118, v113
	;;#ASMEND
	;;#ASMSTART
	v_dot2_f32_f16 v113, v135, v119, v113
	;;#ASMEND
	;; [unrolled: 3-line block ×32, first 2 shown]
	ds_load_b128 v[114:117], v78 offset:64
	ds_load_b128 v[118:121], v64 offset:64
	ds_load_b128 v[122:125], v64 offset:320
	ds_load_b128 v[126:129], v64 offset:576
	ds_load_b128 v[130:133], v64 offset:832
	ds_load_b128 v[134:137], v78 offset:4672
	ds_load_b128 v[138:141], v64 offset:1088
	ds_load_b128 v[142:145], v64 offset:1344
	ds_load_b128 v[146:149], v64 offset:1600
	ds_load_b128 v[150:153], v64 offset:1856
	s_wait_dscnt 0x8
	;;#ASMSTART
	v_dot2_f32_f16 v111, v114, v118, v111
	;;#ASMEND
	;;#ASMSTART
	v_dot2_f32_f16 v111, v115, v119, v111
	;;#ASMEND
	;;#ASMSTART
	v_dot2_f32_f16 v111, v116, v120, v111
	;;#ASMEND
	;;#ASMSTART
	v_dot2_f32_f16 v111, v117, v121, v111
	;;#ASMEND
	s_wait_dscnt 0x7
	;;#ASMSTART
	v_dot2_f32_f16 v47, v114, v122, v47
	;;#ASMEND
	;;#ASMSTART
	v_dot2_f32_f16 v47, v115, v123, v47
	;;#ASMEND
	;;#ASMSTART
	v_dot2_f32_f16 v47, v116, v124, v47
	;;#ASMEND
	;;#ASMSTART
	v_dot2_f32_f16 v47, v117, v125, v47
	;;#ASMEND
	;; [unrolled: 13-line block ×8, first 2 shown]
	;;#ASMSTART
	v_dot2_f32_f16 v113, v134, v118, v113
	;;#ASMEND
	;;#ASMSTART
	v_dot2_f32_f16 v113, v135, v119, v113
	;;#ASMEND
	;; [unrolled: 3-line block ×32, first 2 shown]
	ds_load_b128 v[114:117], v78 offset:80
	ds_load_b128 v[118:121], v64 offset:80
	;; [unrolled: 1-line block ×10, first 2 shown]
	s_wait_dscnt 0x8
	;;#ASMSTART
	v_dot2_f32_f16 v111, v114, v118, v111
	;;#ASMEND
	;;#ASMSTART
	v_dot2_f32_f16 v111, v115, v119, v111
	;;#ASMEND
	;;#ASMSTART
	v_dot2_f32_f16 v111, v116, v120, v111
	;;#ASMEND
	;;#ASMSTART
	v_dot2_f32_f16 v111, v117, v121, v111
	;;#ASMEND
	s_wait_dscnt 0x7
	;;#ASMSTART
	v_dot2_f32_f16 v47, v114, v122, v47
	;;#ASMEND
	;;#ASMSTART
	v_dot2_f32_f16 v47, v115, v123, v47
	;;#ASMEND
	;;#ASMSTART
	v_dot2_f32_f16 v47, v116, v124, v47
	;;#ASMEND
	;;#ASMSTART
	v_dot2_f32_f16 v47, v117, v125, v47
	;;#ASMEND
	;; [unrolled: 13-line block ×8, first 2 shown]
	;;#ASMSTART
	v_dot2_f32_f16 v113, v134, v118, v113
	;;#ASMEND
	;;#ASMSTART
	v_dot2_f32_f16 v113, v135, v119, v113
	;;#ASMEND
	;; [unrolled: 3-line block ×32, first 2 shown]
	ds_load_b128 v[114:117], v78 offset:96
	ds_load_b128 v[118:121], v64 offset:96
	;; [unrolled: 1-line block ×10, first 2 shown]
	s_wait_dscnt 0x8
	;;#ASMSTART
	v_dot2_f32_f16 v111, v114, v118, v111
	;;#ASMEND
	;;#ASMSTART
	v_dot2_f32_f16 v111, v115, v119, v111
	;;#ASMEND
	;;#ASMSTART
	v_dot2_f32_f16 v111, v116, v120, v111
	;;#ASMEND
	;;#ASMSTART
	v_dot2_f32_f16 v111, v117, v121, v111
	;;#ASMEND
	s_wait_dscnt 0x7
	;;#ASMSTART
	v_dot2_f32_f16 v47, v114, v122, v47
	;;#ASMEND
	;;#ASMSTART
	v_dot2_f32_f16 v47, v115, v123, v47
	;;#ASMEND
	;;#ASMSTART
	v_dot2_f32_f16 v47, v116, v124, v47
	;;#ASMEND
	;;#ASMSTART
	v_dot2_f32_f16 v47, v117, v125, v47
	;;#ASMEND
	;; [unrolled: 13-line block ×8, first 2 shown]
	;;#ASMSTART
	v_dot2_f32_f16 v113, v134, v118, v113
	;;#ASMEND
	;;#ASMSTART
	v_dot2_f32_f16 v113, v135, v119, v113
	;;#ASMEND
	;; [unrolled: 3-line block ×32, first 2 shown]
	ds_load_b128 v[114:117], v78 offset:112
	ds_load_b128 v[118:121], v64 offset:112
	;; [unrolled: 1-line block ×10, first 2 shown]
	s_wait_dscnt 0x8
	;;#ASMSTART
	v_dot2_f32_f16 v111, v114, v118, v111
	;;#ASMEND
	;;#ASMSTART
	v_dot2_f32_f16 v111, v115, v119, v111
	;;#ASMEND
	;;#ASMSTART
	v_dot2_f32_f16 v111, v116, v120, v111
	;;#ASMEND
	;;#ASMSTART
	v_dot2_f32_f16 v111, v117, v121, v111
	;;#ASMEND
	s_wait_dscnt 0x7
	;;#ASMSTART
	v_dot2_f32_f16 v47, v114, v122, v47
	;;#ASMEND
	;;#ASMSTART
	v_dot2_f32_f16 v47, v115, v123, v47
	;;#ASMEND
	;;#ASMSTART
	v_dot2_f32_f16 v47, v116, v124, v47
	;;#ASMEND
	;;#ASMSTART
	v_dot2_f32_f16 v47, v117, v125, v47
	;;#ASMEND
	;; [unrolled: 13-line block ×8, first 2 shown]
	;;#ASMSTART
	v_dot2_f32_f16 v113, v134, v118, v113
	;;#ASMEND
	;;#ASMSTART
	v_dot2_f32_f16 v113, v135, v119, v113
	;;#ASMEND
	;; [unrolled: 3-line block ×32, first 2 shown]
	s_wait_loadcnt 0x0
	s_barrier_signal -1
	s_barrier_wait -1
	global_inv scope:SCOPE_SE
	s_clause 0x1
	global_load_b128 v[114:117], v[0:1], off offset:128
	global_load_b128 v[0:3], v[2:3], off offset:128
	s_wait_loadcnt 0x1
	ds_store_b128 v79, v[114:117]
	s_wait_loadcnt 0x0
	ds_store_b128 v82, v[0:3]
	s_wait_dscnt 0x0
	s_barrier_signal -1
	s_barrier_wait -1
	global_inv scope:SCOPE_SE
	ds_load_b128 v[0:3], v78
	ds_load_b128 v[114:117], v64 offset:128
	ds_load_b128 v[118:121], v64 offset:384
	;; [unrolled: 1-line block ×9, first 2 shown]
	s_wait_dscnt 0x8
	;;#ASMSTART
	v_dot2_f32_f16 v111, v0, v114, v111
	;;#ASMEND
	;;#ASMSTART
	v_dot2_f32_f16 v111, v1, v115, v111
	;;#ASMEND
	;;#ASMSTART
	v_dot2_f32_f16 v111, v2, v116, v111
	;;#ASMEND
	;;#ASMSTART
	v_dot2_f32_f16 v111, v3, v117, v111
	;;#ASMEND
	s_wait_dscnt 0x7
	;;#ASMSTART
	v_dot2_f32_f16 v47, v0, v118, v47
	;;#ASMEND
	;;#ASMSTART
	v_dot2_f32_f16 v47, v1, v119, v47
	;;#ASMEND
	;;#ASMSTART
	v_dot2_f32_f16 v47, v2, v120, v47
	;;#ASMEND
	;;#ASMSTART
	v_dot2_f32_f16 v47, v3, v121, v47
	;;#ASMEND
	;; [unrolled: 13-line block ×8, first 2 shown]
	;;#ASMSTART
	v_dot2_f32_f16 v113, v130, v114, v113
	;;#ASMEND
	;;#ASMSTART
	v_dot2_f32_f16 v113, v131, v115, v113
	;;#ASMEND
	;; [unrolled: 3-line block ×32, first 2 shown]
	ds_load_b128 v[0:3], v78 offset:16
	ds_load_b128 v[114:117], v64 offset:144
	;; [unrolled: 1-line block ×10, first 2 shown]
	s_wait_dscnt 0x8
	;;#ASMSTART
	v_dot2_f32_f16 v111, v0, v114, v111
	;;#ASMEND
	;;#ASMSTART
	v_dot2_f32_f16 v111, v1, v115, v111
	;;#ASMEND
	;;#ASMSTART
	v_dot2_f32_f16 v111, v2, v116, v111
	;;#ASMEND
	;;#ASMSTART
	v_dot2_f32_f16 v111, v3, v117, v111
	;;#ASMEND
	s_wait_dscnt 0x7
	;;#ASMSTART
	v_dot2_f32_f16 v47, v0, v118, v47
	;;#ASMEND
	;;#ASMSTART
	v_dot2_f32_f16 v47, v1, v119, v47
	;;#ASMEND
	;;#ASMSTART
	v_dot2_f32_f16 v47, v2, v120, v47
	;;#ASMEND
	;;#ASMSTART
	v_dot2_f32_f16 v47, v3, v121, v47
	;;#ASMEND
	;; [unrolled: 13-line block ×8, first 2 shown]
	;;#ASMSTART
	v_dot2_f32_f16 v113, v130, v114, v113
	;;#ASMEND
	;;#ASMSTART
	v_dot2_f32_f16 v113, v131, v115, v113
	;;#ASMEND
	;; [unrolled: 3-line block ×32, first 2 shown]
	ds_load_b128 v[0:3], v78 offset:32
	ds_load_b128 v[114:117], v64 offset:160
	;; [unrolled: 1-line block ×10, first 2 shown]
	s_wait_dscnt 0x8
	;;#ASMSTART
	v_dot2_f32_f16 v111, v0, v114, v111
	;;#ASMEND
	;;#ASMSTART
	v_dot2_f32_f16 v111, v1, v115, v111
	;;#ASMEND
	;;#ASMSTART
	v_dot2_f32_f16 v111, v2, v116, v111
	;;#ASMEND
	;;#ASMSTART
	v_dot2_f32_f16 v111, v3, v117, v111
	;;#ASMEND
	s_wait_dscnt 0x7
	;;#ASMSTART
	v_dot2_f32_f16 v47, v0, v118, v47
	;;#ASMEND
	;;#ASMSTART
	v_dot2_f32_f16 v47, v1, v119, v47
	;;#ASMEND
	;;#ASMSTART
	v_dot2_f32_f16 v47, v2, v120, v47
	;;#ASMEND
	;;#ASMSTART
	v_dot2_f32_f16 v47, v3, v121, v47
	;;#ASMEND
	;; [unrolled: 13-line block ×8, first 2 shown]
	;;#ASMSTART
	v_dot2_f32_f16 v113, v130, v114, v113
	;;#ASMEND
	;;#ASMSTART
	v_dot2_f32_f16 v113, v131, v115, v113
	;;#ASMEND
	;; [unrolled: 3-line block ×32, first 2 shown]
	ds_load_b128 v[0:3], v78 offset:48
	ds_load_b128 v[114:117], v64 offset:176
	;; [unrolled: 1-line block ×10, first 2 shown]
	s_wait_dscnt 0x8
	;;#ASMSTART
	v_dot2_f32_f16 v111, v0, v114, v111
	;;#ASMEND
	;;#ASMSTART
	v_dot2_f32_f16 v111, v1, v115, v111
	;;#ASMEND
	;;#ASMSTART
	v_dot2_f32_f16 v111, v2, v116, v111
	;;#ASMEND
	;;#ASMSTART
	v_dot2_f32_f16 v111, v3, v117, v111
	;;#ASMEND
	s_wait_dscnt 0x7
	;;#ASMSTART
	v_dot2_f32_f16 v47, v0, v118, v47
	;;#ASMEND
	;;#ASMSTART
	v_dot2_f32_f16 v47, v1, v119, v47
	;;#ASMEND
	;;#ASMSTART
	v_dot2_f32_f16 v47, v2, v120, v47
	;;#ASMEND
	;;#ASMSTART
	v_dot2_f32_f16 v47, v3, v121, v47
	;;#ASMEND
	;; [unrolled: 13-line block ×8, first 2 shown]
	;;#ASMSTART
	v_dot2_f32_f16 v113, v130, v114, v113
	;;#ASMEND
	;;#ASMSTART
	v_dot2_f32_f16 v113, v131, v115, v113
	;;#ASMEND
	;; [unrolled: 3-line block ×32, first 2 shown]
	ds_load_b128 v[0:3], v78 offset:64
	ds_load_b128 v[114:117], v64 offset:192
	;; [unrolled: 1-line block ×10, first 2 shown]
	s_wait_dscnt 0x8
	;;#ASMSTART
	v_dot2_f32_f16 v111, v0, v114, v111
	;;#ASMEND
	;;#ASMSTART
	v_dot2_f32_f16 v111, v1, v115, v111
	;;#ASMEND
	;;#ASMSTART
	v_dot2_f32_f16 v111, v2, v116, v111
	;;#ASMEND
	;;#ASMSTART
	v_dot2_f32_f16 v111, v3, v117, v111
	;;#ASMEND
	s_wait_dscnt 0x7
	;;#ASMSTART
	v_dot2_f32_f16 v47, v0, v118, v47
	;;#ASMEND
	;;#ASMSTART
	v_dot2_f32_f16 v47, v1, v119, v47
	;;#ASMEND
	;;#ASMSTART
	v_dot2_f32_f16 v47, v2, v120, v47
	;;#ASMEND
	;;#ASMSTART
	v_dot2_f32_f16 v47, v3, v121, v47
	;;#ASMEND
	;; [unrolled: 13-line block ×8, first 2 shown]
	;;#ASMSTART
	v_dot2_f32_f16 v113, v130, v114, v113
	;;#ASMEND
	;;#ASMSTART
	v_dot2_f32_f16 v113, v131, v115, v113
	;;#ASMEND
	;; [unrolled: 3-line block ×32, first 2 shown]
	ds_load_b128 v[0:3], v78 offset:80
	ds_load_b128 v[114:117], v64 offset:208
	ds_load_b128 v[118:121], v64 offset:464
	ds_load_b128 v[122:125], v64 offset:720
	ds_load_b128 v[126:129], v64 offset:976
	ds_load_b128 v[130:133], v78 offset:4688
	ds_load_b128 v[134:137], v64 offset:1232
	ds_load_b128 v[138:141], v64 offset:1488
	ds_load_b128 v[142:145], v64 offset:1744
	ds_load_b128 v[146:149], v64 offset:2000
	s_wait_dscnt 0x8
	;;#ASMSTART
	v_dot2_f32_f16 v111, v0, v114, v111
	;;#ASMEND
	;;#ASMSTART
	v_dot2_f32_f16 v111, v1, v115, v111
	;;#ASMEND
	;;#ASMSTART
	v_dot2_f32_f16 v111, v2, v116, v111
	;;#ASMEND
	;;#ASMSTART
	v_dot2_f32_f16 v111, v3, v117, v111
	;;#ASMEND
	s_wait_dscnt 0x7
	;;#ASMSTART
	v_dot2_f32_f16 v47, v0, v118, v47
	;;#ASMEND
	;;#ASMSTART
	v_dot2_f32_f16 v47, v1, v119, v47
	;;#ASMEND
	;;#ASMSTART
	v_dot2_f32_f16 v47, v2, v120, v47
	;;#ASMEND
	;;#ASMSTART
	v_dot2_f32_f16 v47, v3, v121, v47
	;;#ASMEND
	;; [unrolled: 13-line block ×8, first 2 shown]
	;;#ASMSTART
	v_dot2_f32_f16 v113, v130, v114, v113
	;;#ASMEND
	;;#ASMSTART
	v_dot2_f32_f16 v113, v131, v115, v113
	;;#ASMEND
	;; [unrolled: 3-line block ×32, first 2 shown]
	ds_load_b128 v[0:3], v78 offset:96
	ds_load_b128 v[114:117], v64 offset:224
	;; [unrolled: 1-line block ×10, first 2 shown]
	s_wait_dscnt 0x8
	;;#ASMSTART
	v_dot2_f32_f16 v111, v0, v114, v111
	;;#ASMEND
	;;#ASMSTART
	v_dot2_f32_f16 v111, v1, v115, v111
	;;#ASMEND
	;;#ASMSTART
	v_dot2_f32_f16 v111, v2, v116, v111
	;;#ASMEND
	;;#ASMSTART
	v_dot2_f32_f16 v111, v3, v117, v111
	;;#ASMEND
	s_wait_dscnt 0x7
	;;#ASMSTART
	v_dot2_f32_f16 v47, v0, v118, v47
	;;#ASMEND
	;;#ASMSTART
	v_dot2_f32_f16 v47, v1, v119, v47
	;;#ASMEND
	;;#ASMSTART
	v_dot2_f32_f16 v47, v2, v120, v47
	;;#ASMEND
	;;#ASMSTART
	v_dot2_f32_f16 v47, v3, v121, v47
	;;#ASMEND
	;; [unrolled: 13-line block ×8, first 2 shown]
	;;#ASMSTART
	v_dot2_f32_f16 v113, v130, v114, v113
	;;#ASMEND
	;;#ASMSTART
	v_dot2_f32_f16 v113, v131, v115, v113
	;;#ASMEND
	;; [unrolled: 3-line block ×32, first 2 shown]
	ds_load_b128 v[114:117], v78 offset:112
	ds_load_b128 v[118:121], v64 offset:240
	;; [unrolled: 1-line block ×10, first 2 shown]
	s_wait_dscnt 0x8
	;;#ASMSTART
	v_dot2_f32_f16 v111, v114, v118, v111
	;;#ASMEND
	;;#ASMSTART
	v_dot2_f32_f16 v111, v115, v119, v111
	;;#ASMEND
	;;#ASMSTART
	v_dot2_f32_f16 v111, v116, v120, v111
	;;#ASMEND
	;;#ASMSTART
	v_dot2_f32_f16 v111, v117, v121, v111
	;;#ASMEND
	s_wait_dscnt 0x7
	;;#ASMSTART
	v_dot2_f32_f16 v47, v114, v122, v47
	;;#ASMEND
	;;#ASMSTART
	v_dot2_f32_f16 v47, v115, v123, v47
	;;#ASMEND
	;;#ASMSTART
	v_dot2_f32_f16 v47, v116, v124, v47
	;;#ASMEND
	;;#ASMSTART
	v_dot2_f32_f16 v47, v117, v125, v47
	;;#ASMEND
	;; [unrolled: 13-line block ×8, first 2 shown]
	;;#ASMSTART
	v_dot2_f32_f16 v113, v134, v118, v113
	;;#ASMEND
	;;#ASMSTART
	v_dot2_f32_f16 v113, v135, v119, v113
	;;#ASMEND
	;;#ASMSTART
	v_dot2_f32_f16 v113, v136, v120, v113
	;;#ASMEND
	;;#ASMSTART
	v_dot2_f32_f16 v113, v137, v121, v113
	;;#ASMEND
	;;#ASMSTART
	v_dot2_f32_f16 v112, v134, v122, v112
	;;#ASMEND
	;;#ASMSTART
	v_dot2_f32_f16 v112, v135, v123, v112
	;;#ASMEND
	;;#ASMSTART
	v_dot2_f32_f16 v112, v136, v124, v112
	;;#ASMEND
	;;#ASMSTART
	v_dot2_f32_f16 v112, v137, v125, v112
	;;#ASMEND
	;;#ASMSTART
	v_dot2_f32_f16 v110, v134, v126, v110
	;;#ASMEND
	;;#ASMSTART
	v_dot2_f32_f16 v110, v135, v127, v110
	;;#ASMEND
	;;#ASMSTART
	v_dot2_f32_f16 v110, v136, v128, v110
	;;#ASMEND
	v_dual_mov_b32 v3, 0 :: v_dual_add_nc_u32 v2, s38, v40
	;;#ASMSTART
	v_dot2_f32_f16 v110, v137, v129, v110
	;;#ASMEND
	;;#ASMSTART
	v_dot2_f32_f16 v109, v134, v130, v109
	;;#ASMEND
	;; [unrolled: 3-line block ×7, first 2 shown]
	v_add_nc_u32_e32 v0, v2, v77
	;;#ASMSTART
	v_dot2_f32_f16 v46, v136, v140, v46
	;;#ASMEND
	;;#ASMSTART
	v_dot2_f32_f16 v46, v137, v141, v46
	;;#ASMEND
	;; [unrolled: 3-line block ×7, first 2 shown]
	v_ashrrev_i32_e32 v1, 31, v0
	;;#ASMSTART
	v_dot2_f32_f16 v42, v135, v147, v42
	;;#ASMEND
	;;#ASMSTART
	v_dot2_f32_f16 v42, v136, v148, v42
	;;#ASMEND
	;; [unrolled: 3-line block ×7, first 2 shown]
	s_wait_alu 0xfffe
	s_cbranch_vccnz .LBB52_10
; %bb.9:                                ;   in Loop: Header=BB52_8 Depth=1
	v_lshlrev_b64_e32 v[114:115], 1, v[0:1]
	s_delay_alu instid0(VALU_DEP_1) | instskip(SKIP_1) | instid1(VALU_DEP_2)
	v_add_co_u32 v114, vcc_lo, s40, v114
	s_wait_alu 0xfffd
	v_add_co_ci_u32_e64 v115, null, s41, v115, vcc_lo
	global_load_u16 v3, v[114:115], off
	s_wait_loadcnt 0x0
	v_cvt_f32_f16_e32 v3, v3
	s_delay_alu instid0(VALU_DEP_1)
	v_mul_f32_e32 v3, v51, v3
.LBB52_10:                              ;   in Loop: Header=BB52_8 Depth=1
	v_dual_mov_b32 v118, 0 :: v_dual_mov_b32 v115, 0
	s_and_not1_b32 vcc_lo, exec_lo, s10
	s_wait_alu 0xfffe
	s_cbranch_vccnz .LBB52_12
; %bb.11:                               ;   in Loop: Header=BB52_8 Depth=1
	v_lshlrev_b64_e32 v[0:1], 1, v[0:1]
	s_delay_alu instid0(VALU_DEP_1) | instskip(SKIP_1) | instid1(VALU_DEP_2)
	v_add_co_u32 v0, vcc_lo, s40, v0
	s_wait_alu 0xfffd
	v_add_co_ci_u32_e64 v1, null, s41, v1, vcc_lo
	global_load_u16 v0, v[0:1], off offset:64
	s_wait_loadcnt 0x0
	v_cvt_f32_f16_e32 v0, v0
	s_delay_alu instid0(VALU_DEP_1)
	v_mul_f32_e32 v115, v51, v0
.LBB52_12:                              ;   in Loop: Header=BB52_8 Depth=1
	v_xor_b32_e32 v0, 16, v97
	s_delay_alu instid0(VALU_DEP_2) | instskip(SKIP_1) | instid1(VALU_DEP_3)
	v_add_f32_e32 v116, v113, v115
	v_add_f32_e32 v114, v111, v3
	v_cmp_gt_i32_e32 vcc_lo, 32, v0
	s_delay_alu instid0(VALU_DEP_3) | instskip(SKIP_1) | instid1(VALU_DEP_3)
	v_add_f32_e32 v111, 0x40051340, v116
	s_wait_alu 0xfffd
	v_dual_add_f32 v1, 0x40051340, v114 :: v_dual_cndmask_b32 v0, v97, v0
	s_delay_alu instid0(VALU_DEP_1) | instskip(NEXT) | instid1(VALU_DEP_2)
	v_lshlrev_b32_e32 v3, 2, v0
	v_max3_num_f32 v0, v107, v1, v111
	v_xor_b32_e32 v111, 8, v97
	ds_bpermute_b32 v1, v3, v0
	v_cmp_gt_i32_e32 vcc_lo, 32, v111
	s_wait_dscnt 0x0
	v_max_num_f32_e32 v1, v1, v1
	s_wait_alu 0xfffd
	s_delay_alu instid0(VALU_DEP_1) | instskip(NEXT) | instid1(VALU_DEP_1)
	v_dual_max_num_f32 v0, v0, v1 :: v_dual_cndmask_b32 v111, v97, v111
	v_lshlrev_b32_e32 v117, 2, v111
	v_xor_b32_e32 v111, 4, v97
	ds_bpermute_b32 v1, v117, v0
	v_cmp_gt_i32_e32 vcc_lo, 32, v111
	s_wait_dscnt 0x0
	v_max_num_f32_e32 v1, v1, v1
	s_wait_alu 0xfffd
	s_delay_alu instid0(VALU_DEP_1) | instskip(NEXT) | instid1(VALU_DEP_1)
	v_dual_max_num_f32 v0, v0, v1 :: v_dual_cndmask_b32 v111, v97, v111
	v_lshlrev_b32_e32 v115, 2, v111
	v_xor_b32_e32 v111, 2, v97
	ds_bpermute_b32 v1, v115, v0
	v_cmp_gt_i32_e32 vcc_lo, 32, v111
	s_wait_alu 0xfffd
	v_cndmask_b32_e32 v111, v97, v111, vcc_lo
	s_delay_alu instid0(VALU_DEP_1) | instskip(SKIP_1) | instid1(VALU_DEP_1)
	v_lshlrev_b32_e32 v113, 2, v111
	v_xor_b32_e32 v111, 1, v97
	v_cmp_gt_i32_e32 vcc_lo, 32, v111
	s_wait_dscnt 0x0
	v_max_num_f32_e32 v1, v1, v1
	s_wait_alu 0xfffd
	v_cndmask_b32_e32 v111, v97, v111, vcc_lo
	s_and_not1_b32 vcc_lo, exec_lo, s10
	s_delay_alu instid0(VALU_DEP_1) | instskip(SKIP_3) | instid1(VALU_DEP_1)
	v_dual_max_num_f32 v0, v0, v1 :: v_dual_lshlrev_b32 v111, 2, v111
	ds_bpermute_b32 v1, v113, v0
	s_wait_dscnt 0x0
	v_max_num_f32_e32 v1, v1, v1
	v_dual_max_num_f32 v125, v0, v1 :: v_dual_add_nc_u32 v0, v2, v83
	ds_bpermute_b32 v126, v111, v125
	v_ashrrev_i32_e32 v1, 31, v0
	s_wait_alu 0xfffe
	s_cbranch_vccnz .LBB52_14
; %bb.13:                               ;   in Loop: Header=BB52_8 Depth=1
	s_delay_alu instid0(VALU_DEP_1) | instskip(NEXT) | instid1(VALU_DEP_1)
	v_lshlrev_b64_e32 v[118:119], 1, v[0:1]
	v_add_co_u32 v118, vcc_lo, s40, v118
	s_wait_alu 0xfffd
	s_delay_alu instid0(VALU_DEP_2) | instskip(SKIP_3) | instid1(VALU_DEP_1)
	v_add_co_ci_u32_e64 v119, null, s41, v119, vcc_lo
	global_load_u16 v118, v[118:119], off
	s_wait_loadcnt 0x0
	v_cvt_f32_f16_e32 v118, v118
	v_mul_f32_e32 v118, v51, v118
.LBB52_14:                              ;   in Loop: Header=BB52_8 Depth=1
	v_dual_mov_b32 v119, 0 :: v_dual_mov_b32 v120, 0
	s_and_not1_b32 vcc_lo, exec_lo, s10
	s_wait_alu 0xfffe
	s_cbranch_vccnz .LBB52_16
; %bb.15:                               ;   in Loop: Header=BB52_8 Depth=1
	v_lshlrev_b64_e32 v[0:1], 1, v[0:1]
	s_delay_alu instid0(VALU_DEP_1) | instskip(SKIP_1) | instid1(VALU_DEP_2)
	v_add_co_u32 v0, vcc_lo, s40, v0
	s_wait_alu 0xfffd
	v_add_co_ci_u32_e64 v1, null, s41, v1, vcc_lo
	global_load_u16 v0, v[0:1], off offset:64
	s_wait_loadcnt 0x0
	v_cvt_f32_f16_e32 v0, v0
	s_delay_alu instid0(VALU_DEP_1)
	v_mul_f32_e32 v120, v51, v0
.LBB52_16:                              ;   in Loop: Header=BB52_8 Depth=1
	s_delay_alu instid0(VALU_DEP_1) | instskip(SKIP_2) | instid1(VALU_DEP_1)
	v_add_f32_e32 v112, v112, v120
	v_add_f32_e32 v118, v47, v118
	s_and_not1_b32 vcc_lo, exec_lo, s10
	v_dual_add_f32 v1, 0x40051340, v112 :: v_dual_add_f32 v0, 0x40051340, v118
	s_delay_alu instid0(VALU_DEP_1) | instskip(SKIP_3) | instid1(VALU_DEP_1)
	v_max3_num_f32 v0, v108, v0, v1
	ds_bpermute_b32 v1, v3, v0
	s_wait_dscnt 0x0
	v_max_num_f32_e32 v1, v1, v1
	v_max_num_f32_e32 v0, v0, v1
	ds_bpermute_b32 v1, v117, v0
	s_wait_dscnt 0x0
	v_max_num_f32_e32 v1, v1, v1
	s_delay_alu instid0(VALU_DEP_1) | instskip(SKIP_3) | instid1(VALU_DEP_1)
	v_max_num_f32_e32 v0, v0, v1
	ds_bpermute_b32 v1, v115, v0
	s_wait_dscnt 0x0
	v_max_num_f32_e32 v1, v1, v1
	v_max_num_f32_e32 v0, v0, v1
	ds_bpermute_b32 v1, v113, v0
	s_wait_dscnt 0x0
	v_max_num_f32_e32 v1, v1, v1
	s_delay_alu instid0(VALU_DEP_1)
	v_dual_max_num_f32 v127, v0, v1 :: v_dual_add_nc_u32 v0, v2, v84
	ds_bpermute_b32 v128, v111, v127
	v_ashrrev_i32_e32 v1, 31, v0
	s_wait_alu 0xfffe
	s_cbranch_vccnz .LBB52_18
; %bb.17:                               ;   in Loop: Header=BB52_8 Depth=1
	s_delay_alu instid0(VALU_DEP_1) | instskip(NEXT) | instid1(VALU_DEP_1)
	v_lshlrev_b64_e32 v[119:120], 1, v[0:1]
	v_add_co_u32 v119, vcc_lo, s40, v119
	s_wait_alu 0xfffd
	s_delay_alu instid0(VALU_DEP_2) | instskip(SKIP_3) | instid1(VALU_DEP_1)
	v_add_co_ci_u32_e64 v120, null, s41, v120, vcc_lo
	global_load_u16 v47, v[119:120], off
	s_wait_loadcnt 0x0
	v_cvt_f32_f16_e32 v47, v47
	v_mul_f32_e32 v119, v51, v47
.LBB52_18:                              ;   in Loop: Header=BB52_8 Depth=1
	v_dual_mov_b32 v47, 0 :: v_dual_mov_b32 v120, 0
	s_and_not1_b32 vcc_lo, exec_lo, s10
	s_wait_alu 0xfffe
	s_cbranch_vccnz .LBB52_20
; %bb.19:                               ;   in Loop: Header=BB52_8 Depth=1
	v_lshlrev_b64_e32 v[0:1], 1, v[0:1]
	s_delay_alu instid0(VALU_DEP_1) | instskip(SKIP_1) | instid1(VALU_DEP_2)
	v_add_co_u32 v0, vcc_lo, s40, v0
	s_wait_alu 0xfffd
	v_add_co_ci_u32_e64 v1, null, s41, v1, vcc_lo
	global_load_u16 v0, v[0:1], off offset:64
	s_wait_loadcnt 0x0
	v_cvt_f32_f16_e32 v0, v0
	s_delay_alu instid0(VALU_DEP_1)
	v_mul_f32_e32 v120, v51, v0
.LBB52_20:                              ;   in Loop: Header=BB52_8 Depth=1
	s_delay_alu instid0(VALU_DEP_1) | instskip(SKIP_1) | instid1(VALU_DEP_1)
	v_dual_add_f32 v123, v45, v119 :: v_dual_add_f32 v124, v110, v120
	s_and_not1_b32 vcc_lo, exec_lo, s10
	v_dual_add_f32 v0, 0x40051340, v123 :: v_dual_add_f32 v1, 0x40051340, v124
	s_delay_alu instid0(VALU_DEP_1) | instskip(SKIP_3) | instid1(VALU_DEP_1)
	v_max3_num_f32 v0, v105, v0, v1
	ds_bpermute_b32 v1, v3, v0
	s_wait_dscnt 0x0
	v_max_num_f32_e32 v1, v1, v1
	v_max_num_f32_e32 v0, v0, v1
	ds_bpermute_b32 v1, v117, v0
	s_wait_dscnt 0x0
	v_max_num_f32_e32 v1, v1, v1
	s_delay_alu instid0(VALU_DEP_1) | instskip(SKIP_3) | instid1(VALU_DEP_1)
	v_max_num_f32_e32 v0, v0, v1
	ds_bpermute_b32 v1, v115, v0
	s_wait_dscnt 0x0
	v_max_num_f32_e32 v1, v1, v1
	v_max_num_f32_e32 v0, v0, v1
	ds_bpermute_b32 v1, v113, v0
	s_wait_dscnt 0x0
	v_max_num_f32_e32 v1, v1, v1
	s_delay_alu instid0(VALU_DEP_1)
	v_max_num_f32_e32 v129, v0, v1
	v_add_nc_u32_e32 v0, v2, v85
	ds_bpermute_b32 v130, v111, v129
	v_ashrrev_i32_e32 v1, 31, v0
	s_wait_alu 0xfffe
	s_cbranch_vccnz .LBB52_22
; %bb.21:                               ;   in Loop: Header=BB52_8 Depth=1
	s_delay_alu instid0(VALU_DEP_1) | instskip(NEXT) | instid1(VALU_DEP_1)
	v_lshlrev_b64_e32 v[119:120], 1, v[0:1]
	v_add_co_u32 v119, vcc_lo, s40, v119
	s_wait_alu 0xfffd
	s_delay_alu instid0(VALU_DEP_2) | instskip(SKIP_3) | instid1(VALU_DEP_1)
	v_add_co_ci_u32_e64 v120, null, s41, v120, vcc_lo
	global_load_u16 v45, v[119:120], off
	s_wait_loadcnt 0x0
	v_cvt_f32_f16_e32 v45, v45
	v_mul_f32_e32 v47, v51, v45
.LBB52_22:                              ;   in Loop: Header=BB52_8 Depth=1
	v_dual_mov_b32 v45, 0 :: v_dual_mov_b32 v110, 0
	s_and_not1_b32 vcc_lo, exec_lo, s10
	s_wait_alu 0xfffe
	s_cbranch_vccnz .LBB52_24
; %bb.23:                               ;   in Loop: Header=BB52_8 Depth=1
	v_lshlrev_b64_e32 v[0:1], 1, v[0:1]
	s_delay_alu instid0(VALU_DEP_1) | instskip(SKIP_1) | instid1(VALU_DEP_2)
	v_add_co_u32 v0, vcc_lo, s40, v0
	s_wait_alu 0xfffd
	v_add_co_ci_u32_e64 v1, null, s41, v1, vcc_lo
	global_load_u16 v0, v[0:1], off offset:64
	s_wait_loadcnt 0x0
	v_cvt_f32_f16_e32 v0, v0
	s_delay_alu instid0(VALU_DEP_1)
	v_mul_f32_e32 v110, v51, v0
.LBB52_24:                              ;   in Loop: Header=BB52_8 Depth=1
	v_add_f32_e32 v47, v43, v47
	s_delay_alu instid0(VALU_DEP_2) | instskip(SKIP_1) | instid1(VALU_DEP_2)
	v_add_f32_e32 v43, v109, v110
	s_and_not1_b32 vcc_lo, exec_lo, s10
	v_add_f32_e32 v0, 0x40051340, v47
	s_delay_alu instid0(VALU_DEP_2) | instskip(NEXT) | instid1(VALU_DEP_1)
	v_add_f32_e32 v1, 0x40051340, v43
	v_max3_num_f32 v0, v104, v0, v1
	ds_bpermute_b32 v1, v3, v0
	s_wait_dscnt 0x0
	v_max_num_f32_e32 v1, v1, v1
	s_delay_alu instid0(VALU_DEP_1) | instskip(SKIP_3) | instid1(VALU_DEP_1)
	v_max_num_f32_e32 v0, v0, v1
	ds_bpermute_b32 v1, v117, v0
	s_wait_dscnt 0x0
	v_max_num_f32_e32 v1, v1, v1
	v_max_num_f32_e32 v0, v0, v1
	ds_bpermute_b32 v1, v115, v0
	s_wait_dscnt 0x0
	v_max_num_f32_e32 v1, v1, v1
	s_delay_alu instid0(VALU_DEP_1) | instskip(SKIP_3) | instid1(VALU_DEP_1)
	v_max_num_f32_e32 v0, v0, v1
	ds_bpermute_b32 v1, v113, v0
	s_wait_dscnt 0x0
	v_max_num_f32_e32 v1, v1, v1
	v_dual_max_num_f32 v131, v0, v1 :: v_dual_add_nc_u32 v0, v2, v86
	ds_bpermute_b32 v132, v111, v131
	v_ashrrev_i32_e32 v1, 31, v0
	s_wait_alu 0xfffe
	s_cbranch_vccnz .LBB52_26
; %bb.25:                               ;   in Loop: Header=BB52_8 Depth=1
	s_delay_alu instid0(VALU_DEP_1) | instskip(NEXT) | instid1(VALU_DEP_1)
	v_lshlrev_b64_e32 v[109:110], 1, v[0:1]
	v_add_co_u32 v109, vcc_lo, s40, v109
	s_wait_alu 0xfffd
	s_delay_alu instid0(VALU_DEP_2) | instskip(SKIP_3) | instid1(VALU_DEP_1)
	v_add_co_ci_u32_e64 v110, null, s41, v110, vcc_lo
	global_load_u16 v45, v[109:110], off
	s_wait_loadcnt 0x0
	v_cvt_f32_f16_e32 v45, v45
	v_mul_f32_e32 v45, v51, v45
.LBB52_26:                              ;   in Loop: Header=BB52_8 Depth=1
	v_dual_mov_b32 v110, 0 :: v_dual_mov_b32 v119, 0
	s_and_not1_b32 vcc_lo, exec_lo, s10
	s_wait_alu 0xfffe
	s_cbranch_vccnz .LBB52_28
; %bb.27:                               ;   in Loop: Header=BB52_8 Depth=1
	v_lshlrev_b64_e32 v[0:1], 1, v[0:1]
	s_delay_alu instid0(VALU_DEP_1) | instskip(SKIP_1) | instid1(VALU_DEP_2)
	v_add_co_u32 v0, vcc_lo, s40, v0
	s_wait_alu 0xfffd
	v_add_co_ci_u32_e64 v1, null, s41, v1, vcc_lo
	global_load_u16 v0, v[0:1], off offset:64
	s_wait_loadcnt 0x0
	v_cvt_f32_f16_e32 v0, v0
	s_delay_alu instid0(VALU_DEP_1)
	v_mul_f32_e32 v119, v51, v0
.LBB52_28:                              ;   in Loop: Header=BB52_8 Depth=1
	v_add_f32_e32 v109, v23, v45
	s_delay_alu instid0(VALU_DEP_2) | instskip(SKIP_1) | instid1(VALU_DEP_2)
	v_add_f32_e32 v45, v46, v119
	s_and_not1_b32 vcc_lo, exec_lo, s10
	v_add_f32_e32 v0, 0x40051340, v109
	s_delay_alu instid0(VALU_DEP_2) | instskip(NEXT) | instid1(VALU_DEP_1)
	v_add_f32_e32 v1, 0x40051340, v45
	v_max3_num_f32 v0, v102, v0, v1
	ds_bpermute_b32 v1, v3, v0
	s_wait_dscnt 0x0
	v_max_num_f32_e32 v1, v1, v1
	s_delay_alu instid0(VALU_DEP_1) | instskip(SKIP_3) | instid1(VALU_DEP_1)
	v_max_num_f32_e32 v0, v0, v1
	ds_bpermute_b32 v1, v117, v0
	s_wait_dscnt 0x0
	v_max_num_f32_e32 v1, v1, v1
	v_max_num_f32_e32 v0, v0, v1
	ds_bpermute_b32 v1, v115, v0
	s_wait_dscnt 0x0
	v_max_num_f32_e32 v1, v1, v1
	s_delay_alu instid0(VALU_DEP_1) | instskip(SKIP_3) | instid1(VALU_DEP_1)
	v_max_num_f32_e32 v0, v0, v1
	ds_bpermute_b32 v1, v113, v0
	s_wait_dscnt 0x0
	v_max_num_f32_e32 v1, v1, v1
	v_dual_max_num_f32 v23, v0, v1 :: v_dual_add_nc_u32 v0, v2, v87
	ds_bpermute_b32 v133, v111, v23
	v_ashrrev_i32_e32 v1, 31, v0
	s_wait_alu 0xfffe
	s_cbranch_vccnz .LBB52_30
; %bb.29:                               ;   in Loop: Header=BB52_8 Depth=1
	s_delay_alu instid0(VALU_DEP_1) | instskip(NEXT) | instid1(VALU_DEP_1)
	v_lshlrev_b64_e32 v[119:120], 1, v[0:1]
	v_add_co_u32 v119, vcc_lo, s40, v119
	s_wait_alu 0xfffd
	s_delay_alu instid0(VALU_DEP_2) | instskip(SKIP_3) | instid1(VALU_DEP_1)
	v_add_co_ci_u32_e64 v120, null, s41, v120, vcc_lo
	global_load_u16 v46, v[119:120], off
	s_wait_loadcnt 0x0
	v_cvt_f32_f16_e32 v46, v46
	v_mul_f32_e32 v110, v51, v46
.LBB52_30:                              ;   in Loop: Header=BB52_8 Depth=1
	v_dual_mov_b32 v119, 0 :: v_dual_mov_b32 v46, 0
	s_and_not1_b32 vcc_lo, exec_lo, s10
	s_wait_alu 0xfffe
	s_cbranch_vccnz .LBB52_32
; %bb.31:                               ;   in Loop: Header=BB52_8 Depth=1
	v_lshlrev_b64_e32 v[0:1], 1, v[0:1]
	s_delay_alu instid0(VALU_DEP_1) | instskip(SKIP_1) | instid1(VALU_DEP_2)
	v_add_co_u32 v0, vcc_lo, s40, v0
	s_wait_alu 0xfffd
	v_add_co_ci_u32_e64 v1, null, s41, v1, vcc_lo
	global_load_u16 v0, v[0:1], off offset:64
	s_wait_loadcnt 0x0
	v_cvt_f32_f16_e32 v0, v0
	s_delay_alu instid0(VALU_DEP_1)
	v_mul_f32_e32 v46, v51, v0
.LBB52_32:                              ;   in Loop: Header=BB52_8 Depth=1
	v_add_f32_e32 v110, v22, v110
	s_delay_alu instid0(VALU_DEP_2) | instskip(SKIP_1) | instid1(VALU_DEP_2)
	v_add_f32_e32 v46, v44, v46
	s_and_not1_b32 vcc_lo, exec_lo, s10
	v_add_f32_e32 v0, 0x40051340, v110
	s_delay_alu instid0(VALU_DEP_2) | instskip(NEXT) | instid1(VALU_DEP_1)
	v_add_f32_e32 v1, 0x40051340, v46
	v_max3_num_f32 v0, v99, v0, v1
	ds_bpermute_b32 v1, v3, v0
	s_wait_dscnt 0x0
	v_max_num_f32_e32 v1, v1, v1
	s_delay_alu instid0(VALU_DEP_1) | instskip(SKIP_3) | instid1(VALU_DEP_1)
	v_max_num_f32_e32 v0, v0, v1
	ds_bpermute_b32 v1, v117, v0
	s_wait_dscnt 0x0
	v_max_num_f32_e32 v1, v1, v1
	v_max_num_f32_e32 v0, v0, v1
	ds_bpermute_b32 v1, v115, v0
	s_wait_dscnt 0x0
	v_max_num_f32_e32 v1, v1, v1
	s_delay_alu instid0(VALU_DEP_1) | instskip(SKIP_3) | instid1(VALU_DEP_1)
	v_max_num_f32_e32 v0, v0, v1
	ds_bpermute_b32 v1, v113, v0
	s_wait_dscnt 0x0
	v_max_num_f32_e32 v1, v1, v1
	v_max_num_f32_e32 v22, v0, v1
	v_add_nc_u32_e32 v0, v2, v88
	ds_bpermute_b32 v44, v111, v22
	v_ashrrev_i32_e32 v1, 31, v0
	s_wait_alu 0xfffe
	s_cbranch_vccnz .LBB52_34
; %bb.33:                               ;   in Loop: Header=BB52_8 Depth=1
	s_delay_alu instid0(VALU_DEP_1) | instskip(NEXT) | instid1(VALU_DEP_1)
	v_lshlrev_b64_e32 v[119:120], 1, v[0:1]
	v_add_co_u32 v119, vcc_lo, s40, v119
	s_wait_alu 0xfffd
	s_delay_alu instid0(VALU_DEP_2) | instskip(SKIP_3) | instid1(VALU_DEP_1)
	v_add_co_ci_u32_e64 v120, null, s41, v120, vcc_lo
	global_load_u16 v119, v[119:120], off
	s_wait_loadcnt 0x0
	v_cvt_f32_f16_e32 v119, v119
	v_mul_f32_e32 v119, v51, v119
.LBB52_34:                              ;   in Loop: Header=BB52_8 Depth=1
	v_dual_mov_b32 v121, 0 :: v_dual_mov_b32 v122, 0
	s_and_not1_b32 vcc_lo, exec_lo, s10
	s_wait_alu 0xfffe
	s_cbranch_vccnz .LBB52_36
; %bb.35:                               ;   in Loop: Header=BB52_8 Depth=1
	v_lshlrev_b64_e32 v[0:1], 1, v[0:1]
	s_delay_alu instid0(VALU_DEP_1) | instskip(SKIP_1) | instid1(VALU_DEP_2)
	v_add_co_u32 v0, vcc_lo, s40, v0
	s_wait_alu 0xfffd
	v_add_co_ci_u32_e64 v1, null, s41, v1, vcc_lo
	global_load_u16 v0, v[0:1], off offset:64
	s_wait_loadcnt 0x0
	v_cvt_f32_f16_e32 v0, v0
	s_delay_alu instid0(VALU_DEP_1)
	v_mul_f32_e32 v122, v51, v0
.LBB52_36:                              ;   in Loop: Header=BB52_8 Depth=1
	s_delay_alu instid0(VALU_DEP_1) | instskip(SKIP_1) | instid1(VALU_DEP_1)
	v_dual_add_f32 v120, v5, v119 :: v_dual_add_f32 v119, v42, v122
	s_and_not1_b32 vcc_lo, exec_lo, s10
	v_dual_add_f32 v0, 0x40051340, v120 :: v_dual_add_f32 v1, 0x40051340, v119
	s_delay_alu instid0(VALU_DEP_1) | instskip(SKIP_3) | instid1(VALU_DEP_1)
	v_max3_num_f32 v0, v98, v0, v1
	ds_bpermute_b32 v1, v3, v0
	s_wait_dscnt 0x0
	v_max_num_f32_e32 v1, v1, v1
	v_max_num_f32_e32 v0, v0, v1
	ds_bpermute_b32 v1, v117, v0
	s_wait_dscnt 0x0
	v_max_num_f32_e32 v1, v1, v1
	s_delay_alu instid0(VALU_DEP_1) | instskip(SKIP_3) | instid1(VALU_DEP_1)
	v_max_num_f32_e32 v0, v0, v1
	ds_bpermute_b32 v1, v115, v0
	s_wait_dscnt 0x0
	v_max_num_f32_e32 v1, v1, v1
	v_max_num_f32_e32 v0, v0, v1
	ds_bpermute_b32 v1, v113, v0
	s_wait_dscnt 0x0
	v_max_num_f32_e32 v1, v1, v1
	s_delay_alu instid0(VALU_DEP_1)
	v_max_num_f32_e32 v5, v0, v1
	v_add_nc_u32_e32 v0, v2, v89
	ds_bpermute_b32 v42, v111, v5
	v_ashrrev_i32_e32 v1, 31, v0
	s_wait_alu 0xfffe
	s_cbranch_vccnz .LBB52_38
; %bb.37:                               ;   in Loop: Header=BB52_8 Depth=1
	s_delay_alu instid0(VALU_DEP_1) | instskip(NEXT) | instid1(VALU_DEP_1)
	v_lshlrev_b64_e32 v[121:122], 1, v[0:1]
	v_add_co_u32 v121, vcc_lo, s40, v121
	s_wait_alu 0xfffd
	s_delay_alu instid0(VALU_DEP_2) | instskip(SKIP_3) | instid1(VALU_DEP_1)
	v_add_co_ci_u32_e64 v122, null, s41, v122, vcc_lo
	global_load_u16 v2, v[121:122], off
	s_wait_loadcnt 0x0
	v_cvt_f32_f16_e32 v2, v2
	v_mul_f32_e32 v121, v51, v2
.LBB52_38:                              ;   in Loop: Header=BB52_8 Depth=1
	s_and_not1_b32 vcc_lo, exec_lo, s10
	s_wait_alu 0xfffe
	s_cbranch_vccnz .LBB52_40
; %bb.39:                               ;   in Loop: Header=BB52_8 Depth=1
	v_lshlrev_b64_e32 v[0:1], 1, v[0:1]
	s_delay_alu instid0(VALU_DEP_1) | instskip(SKIP_1) | instid1(VALU_DEP_2)
	v_add_co_u32 v0, vcc_lo, s40, v0
	s_wait_alu 0xfffd
	v_add_co_ci_u32_e64 v1, null, s41, v1, vcc_lo
	global_load_u16 v0, v[0:1], off offset:64
	s_wait_loadcnt 0x0
	v_cvt_f32_f16_e32 v0, v0
	s_delay_alu instid0(VALU_DEP_1)
	v_mul_f32_e32 v0, v51, v0
	s_branch .LBB52_41
.LBB52_40:                              ;   in Loop: Header=BB52_8 Depth=1
	v_mov_b32_e32 v0, 0
.LBB52_41:                              ;   in Loop: Header=BB52_8 Depth=1
	s_delay_alu instid0(VALU_DEP_1) | instskip(SKIP_3) | instid1(VALU_DEP_3)
	v_dual_add_f32 v121, v4, v121 :: v_dual_add_f32 v122, v6, v0
	s_wait_dscnt 0x0
	v_max_num_f32_e32 v0, v42, v42
	v_max_num_f32_e32 v4, v5, v5
	v_dual_max_num_f32 v22, v22, v22 :: v_dual_add_f32 v1, 0x40051340, v121
	v_dual_add_f32 v2, 0x40051340, v122 :: v_dual_max_num_f32 v5, v44, v44
	v_dual_max_num_f32 v42, v133, v133 :: v_dual_max_num_f32 v127, v127, v127
	v_max_num_f32_e32 v129, v129, v129
	s_delay_alu instid0(VALU_DEP_3)
	v_max3_num_f32 v44, v11, v1, v2
	v_max_num_f32_e32 v1, v23, v23
	v_dual_max_num_f32 v23, v131, v131 :: v_dual_max_num_f32 v128, v128, v128
	v_max_num_f32_e32 v5, v22, v5
	ds_bpermute_b32 v131, v3, v44
	v_max_num_f32_e32 v2, v132, v132
	v_max_num_f32_e32 v126, v126, v126
	;; [unrolled: 1-line block ×3, first 2 shown]
	v_dual_max_num_f32 v4, v1, v42 :: v_dual_max_num_f32 v1, v127, v128
	s_mul_u64 s[12:13], s[38:39], s[28:29]
	v_dual_max_num_f32 v130, v130, v130 :: v_dual_max_num_f32 v125, v125, v125
	s_wait_alu 0xfffe
	s_lshl_b64 s[12:13], s[12:13], 2
	v_sub_f32_e32 v118, v118, v1
	s_wait_alu 0xfffe
	s_add_nc_u64 s[12:13], s[30:31], s[12:13]
	v_max_num_f32_e32 v3, v23, v2
	s_wait_alu 0xfffe
	v_add_co_u32 v23, vcc_lo, s12, v16
	s_wait_alu 0xfffd
	v_add_co_ci_u32_e64 v42, null, s13, v17, vcc_lo
	v_sub_f32_e32 v132, v108, v1
	v_max_num_f32_e32 v0, v125, v126
	s_wait_dscnt 0x0
	v_dual_mul_f32 v137, 0x3fb8aa3b, v118 :: v_dual_max_num_f32 v22, v131, v131
	v_add_co_u32 v125, vcc_lo, s12, v18
	s_wait_alu 0xfffd
	v_add_co_ci_u32_e64 v126, null, s13, v19, vcc_lo
	s_delay_alu instid0(VALU_DEP_3)
	v_max_num_f32_e32 v44, v44, v22
	v_add_co_u32 v22, vcc_lo, v23, v96
	s_wait_alu 0xfffd
	v_add_co_ci_u32_e64 v23, null, 0, v42, vcc_lo
	ds_bpermute_b32 v117, v117, v44
	v_mul_f32_e32 v139, 0x3fb8aa3b, v132
	v_sub_f32_e32 v131, v107, v0
	v_add_co_u32 v107, vcc_lo, v125, v96
	v_sub_f32_e32 v116, v116, v0
	v_max_num_f32_e32 v2, v129, v130
	s_wait_alu 0xfffd
	v_add_co_ci_u32_e64 v108, null, 0, v126, vcc_lo
	s_wait_loadcnt_dscnt 0x0
	s_barrier_signal -1
	s_barrier_wait -1
	global_inv scope:SCOPE_SE
	v_mul_f32_e32 v135, 0x3fb8aa3b, v116
	v_dual_sub_f32 v114, v114, v0 :: v_dual_sub_f32 v133, v123, v2
	v_sub_f32_e32 v134, v124, v2
	s_clause 0x1
	global_load_b128 v[123:126], v[22:23], off
	global_load_b128 v[127:130], v[107:108], off
	v_rndne_f32_e32 v148, v139
	v_dual_mul_f32 v136, 0x3fb8aa3b, v131 :: v_dual_max_num_f32 v117, v117, v117
	v_rndne_f32_e32 v144, v137
	v_mul_f32_e32 v42, 0x3fb8aa3b, v114
	v_cmp_ngt_f32_e32 vcc_lo, 0xc2ce8ed0, v114
	v_sub_f32_e32 v104, v104, v3
	v_max_num_f32_e32 v44, v44, v117
	v_sub_f32_e32 v46, v46, v5
	s_or_b32 s12, s38, 32
	v_sub_f32_e32 v105, v105, v2
	s_wait_alu 0xfffe
	s_ashr_i32 s13, s12, 31
	ds_bpermute_b32 v107, v115, v44
	v_rndne_f32_e32 v115, v135
	s_wait_alu 0xfffe
	s_mul_u64 s[12:13], s[12:13], s[28:29]
	v_sub_f32_e32 v47, v47, v3
	s_wait_alu 0xfffe
	s_lshl_b64 s[12:13], s[12:13], 2
	v_sub_f32_e32 v43, v43, v3
	s_wait_alu 0xfffe
	s_add_nc_u64 s[12:13], s[30:31], s[12:13]
	v_sub_f32_e32 v45, v45, v4
	s_wait_dscnt 0x0
	v_max_num_f32_e32 v107, v107, v107
	v_mul_f32_e32 v141, 0x3fb8aa3b, v134
	v_fma_f32 v108, 0x3fb8aa3b, v116, -v135
	v_sub_f32_e32 v135, v135, v115
	v_fma_f32 v147, 0x3fb8aa3b, v132, -v139
	v_dual_max_num_f32 v44, v44, v107 :: v_dual_sub_f32 v107, v139, v148
	v_fma_f32 v117, 0x3fb8aa3b, v131, -v136
	v_fmac_f32_e32 v108, 0x32a5705f, v116
	s_delay_alu instid0(VALU_DEP_4)
	v_fmac_f32_e32 v147, 0x32a5705f, v132
	ds_bpermute_b32 v113, v113, v44
	v_rndne_f32_e32 v142, v136
	v_fmac_f32_e32 v117, 0x32a5705f, v131
	v_fma_f32 v143, 0x3fb8aa3b, v118, -v137
	v_sub_f32_e32 v137, v137, v144
	v_fma_f32 v22, 0x3fb8aa3b, v114, -v42
	v_rndne_f32_e32 v23, v42
	v_cvt_i32_f32_e32 v115, v115
	v_dual_sub_f32 v112, v112, v1 :: v_dual_fmac_f32 v143, 0x32a5705f, v118
	s_delay_alu instid0(VALU_DEP_4) | instskip(NEXT) | instid1(VALU_DEP_4)
	v_fmac_f32_e32 v22, 0x32a5705f, v114
	v_sub_f32_e32 v42, v42, v23
	v_cvt_i32_f32_e32 v23, v23
	s_delay_alu instid0(VALU_DEP_4)
	v_mul_f32_e32 v138, 0x3fb8aa3b, v112
	v_dual_mul_f32 v140, 0x3fb8aa3b, v133 :: v_dual_add_f32 v107, v107, v147
	v_cvt_i32_f32_e32 v139, v148
	s_wait_dscnt 0x0
	v_dual_max_num_f32 v113, v113, v113 :: v_dual_add_f32 v22, v42, v22
	v_add_f32_e32 v42, v135, v108
	v_exp_f32_e32 v107, v107
	s_delay_alu instid0(VALU_DEP_2) | instskip(NEXT) | instid1(VALU_DEP_3)
	v_max_num_f32_e32 v44, v44, v113
	v_exp_f32_e32 v22, v22
	s_delay_alu instid0(VALU_DEP_2)
	v_exp_f32_e32 v42, v42
	ds_bpermute_b32 v111, v111, v44
	v_ldexp_f32 v107, v107, v139
	v_ldexp_f32 v22, v22, v23
	;; [unrolled: 1-line block ×3, first 2 shown]
	s_wait_alu 0xfffd
	s_delay_alu instid0(VALU_DEP_2) | instskip(SKIP_3) | instid1(VALU_DEP_1)
	v_cndmask_b32_e32 v22, 0, v22, vcc_lo
	v_cmp_ngt_f32_e32 vcc_lo, 0xc2ce8ed0, v116
	s_wait_alu 0xfffd
	v_dual_sub_f32 v136, v136, v142 :: v_dual_cndmask_b32 v23, 0, v23
	v_dual_add_f32 v108, v136, v117 :: v_dual_add_f32 v117, v137, v143
	s_wait_dscnt 0x0
	v_max_num_f32_e32 v111, v111, v111
	v_cvt_i32_f32_e32 v136, v142
	v_cvt_i32_f32_e32 v137, v144
	v_exp_f32_e32 v108, v108
	v_exp_f32_e32 v117, v117
	v_cmp_ngt_f32_e32 vcc_lo, 0xc2ce8ed0, v131
	v_fma_f32 v145, 0x3fb8aa3b, v112, -v138
	v_rndne_f32_e32 v146, v138
	s_delay_alu instid0(VALU_DEP_2) | instskip(NEXT) | instid1(TRANS32_DEP_2)
	v_fmac_f32_e32 v145, 0x32a5705f, v112
	v_ldexp_f32 v42, v108, v136
	s_delay_alu instid0(TRANS32_DEP_1) | instskip(SKIP_1) | instid1(VALU_DEP_2)
	v_ldexp_f32 v108, v117, v137
	s_wait_alu 0xfffd
	v_cndmask_b32_e32 v42, 0, v42, vcc_lo
	v_cmp_ngt_f32_e32 vcc_lo, 0xc2ce8ed0, v118
	s_wait_alu 0xfffd
	v_cndmask_b32_e32 v108, 0, v108, vcc_lo
	v_cmp_nlt_f32_e32 vcc_lo, 0x42b17218, v131
	s_wait_alu 0xfffd
	v_cndmask_b32_e32 v42, 0x7f800000, v42, vcc_lo
	v_cmp_ngt_f32_e32 vcc_lo, 0xc2ce8ed0, v112
	v_sub_f32_e32 v138, v138, v146
	s_delay_alu instid0(VALU_DEP_1) | instskip(SKIP_1) | instid1(VALU_DEP_2)
	v_add_f32_e32 v135, v138, v145
	v_cvt_i32_f32_e32 v138, v146
	v_exp_f32_e32 v135, v135
	s_delay_alu instid0(TRANS32_DEP_1) | instskip(SKIP_1) | instid1(VALU_DEP_1)
	v_ldexp_f32 v115, v135, v138
	s_wait_alu 0xfffd
	v_cndmask_b32_e32 v113, 0, v115, vcc_lo
	v_cmp_nlt_f32_e32 vcc_lo, 0x42b17218, v114
	v_cvt_f16_f32_e32 v114, v42
	s_wait_alu 0xfffd
	v_cndmask_b32_e32 v22, 0x7f800000, v22, vcc_lo
	v_cmp_nlt_f32_e32 vcc_lo, 0x42b17218, v116
	s_delay_alu instid0(VALU_DEP_3) | instskip(SKIP_3) | instid1(VALU_DEP_3)
	v_and_b32_e32 v114, 0xffff, v114
	s_wait_alu 0xfffd
	v_cndmask_b32_e32 v115, 0x7f800000, v23, vcc_lo
	v_cmp_nlt_f32_e32 vcc_lo, 0x42b17218, v118
	v_mul_u32_u24_e32 v114, 0x10001, v114
	s_wait_alu 0xfffd
	s_delay_alu instid0(VALU_DEP_3) | instskip(SKIP_1) | instid1(VALU_DEP_3)
	v_dual_add_f32 v23, v22, v115 :: v_dual_cndmask_b32 v108, 0x7f800000, v108
	v_cmp_nlt_f32_e32 vcc_lo, 0x42b17218, v112
	v_pk_mul_f16 v75, v75, v114
	v_pk_mul_f16 v76, v76, v114
	s_delay_alu instid0(VALU_DEP_4)
	v_fmac_f32_e32 v23, v7, v42
	s_wait_alu 0xfffd
	v_dual_max_num_f32 v7, v44, v111 :: v_dual_cndmask_b32 v112, 0x7f800000, v113
	v_cmp_ngt_f32_e32 vcc_lo, 0xc2ce8ed0, v132
	v_fma_f32 v44, 0x3fb8aa3b, v133, -v140
	v_cvt_f16_f32_e32 v113, v22
	v_cvt_f16_f32_e32 v116, v108
	v_add_f32_e32 v22, v108, v112
	s_wait_alu 0xfffd
	v_cndmask_b32_e32 v42, 0, v107, vcc_lo
	v_rndne_f32_e32 v107, v140
	v_fma_f32 v108, 0x3fb8aa3b, v134, -v141
	v_rndne_f32_e32 v111, v141
	v_cmp_nlt_f32_e32 vcc_lo, 0x42b17218, v132
	v_fmac_f32_e32 v44, 0x32a5705f, v133
	v_sub_f32_e32 v114, v140, v107
	s_delay_alu instid0(VALU_DEP_4)
	v_dual_fmac_f32 v108, 0x32a5705f, v134 :: v_dual_sub_f32 v117, v141, v111
	s_wait_alu 0xfffd
	v_cndmask_b32_e32 v42, 0x7f800000, v42, vcc_lo
	v_cvt_i32_f32_e32 v107, v107
	v_add_f32_e32 v44, v114, v44
	v_mul_f32_e32 v114, 0x3fb8aa3b, v105
	v_add_f32_e32 v108, v117, v108
	v_cvt_f16_f32_e32 v118, v42
	v_fmac_f32_e32 v22, v106, v42
	v_exp_f32_e32 v44, v44
	v_rndne_f32_e32 v117, v114
	v_exp_f32_e32 v106, v108
	v_and_b32_e32 v42, 0xffff, v118
	v_fma_f32 v108, 0x3fb8aa3b, v105, -v114
	v_cvt_i32_f32_e32 v111, v111
	v_cmp_ngt_f32_e32 vcc_lo, 0xc2ce8ed0, v133
	v_sub_f32_e32 v114, v114, v117
	v_mul_u32_u24_e32 v42, 0x10001, v42
	v_fmac_f32_e32 v108, 0x32a5705f, v105
	v_ldexp_f32 v44, v44, v107
	v_cvt_f16_f32_e32 v115, v115
	v_sub_f32_e32 v11, v11, v7
	v_pk_mul_f16 v118, v73, v42
	v_pk_mul_f16 v107, v74, v42
	v_ldexp_f32 v42, v106, v111
	s_wait_alu 0xfffd
	v_cndmask_b32_e32 v44, 0, v44, vcc_lo
	v_cmp_ngt_f32_e32 vcc_lo, 0xc2ce8ed0, v134
	v_add_f32_e32 v73, v114, v108
	v_cvt_i32_f32_e32 v74, v117
	v_mul_f32_e32 v108, 0x3fb8aa3b, v47
	s_wait_alu 0xfffd
	v_cndmask_b32_e32 v42, 0, v42, vcc_lo
	v_cmp_nlt_f32_e32 vcc_lo, 0x42b17218, v133
	v_exp_f32_e32 v73, v73
	v_rndne_f32_e32 v114, v108
	s_wait_alu 0xfffd
	v_cndmask_b32_e32 v44, 0x7f800000, v44, vcc_lo
	v_cmp_nlt_f32_e32 vcc_lo, 0x42b17218, v134
	s_delay_alu instid0(VALU_DEP_2) | instskip(SKIP_2) | instid1(TRANS32_DEP_1)
	v_cvt_f16_f32_e32 v111, v44
	s_wait_alu 0xfffd
	v_cndmask_b32_e32 v106, 0x7f800000, v42, vcc_lo
	v_ldexp_f32 v73, v73, v74
	v_mul_f32_e32 v74, 0x3fb8aa3b, v43
	v_cmp_ngt_f32_e32 vcc_lo, 0xc2ce8ed0, v105
	s_delay_alu instid0(VALU_DEP_4) | instskip(SKIP_1) | instid1(VALU_DEP_4)
	v_add_f32_e32 v42, v44, v106
	v_fma_f32 v44, 0x3fb8aa3b, v47, -v108
	v_fma_f32 v117, 0x3fb8aa3b, v43, -v74
	s_wait_alu 0xfffd
	v_cndmask_b32_e32 v73, 0, v73, vcc_lo
	v_rndne_f32_e32 v131, v74
	v_sub_f32_e32 v108, v108, v114
	v_fmac_f32_e32 v44, 0x32a5705f, v47
	v_cmp_nlt_f32_e32 vcc_lo, 0x42b17218, v105
	v_fmac_f32_e32 v117, 0x32a5705f, v43
	v_dual_sub_f32 v74, v74, v131 :: v_dual_mul_f32 v105, 0x3fb8aa3b, v104
	s_wait_alu 0xfffd
	v_dual_add_f32 v44, v108, v44 :: v_dual_cndmask_b32 v73, 0x7f800000, v73
	v_cvt_i32_f32_e32 v114, v114
	s_delay_alu instid0(VALU_DEP_3) | instskip(SKIP_1) | instid1(VALU_DEP_4)
	v_add_f32_e32 v74, v74, v117
	v_fma_f32 v117, 0x3fb8aa3b, v104, -v105
	v_exp_f32_e32 v44, v44
	v_cvt_f16_f32_e32 v108, v73
	v_rndne_f32_e32 v132, v105
	v_exp_f32_e32 v74, v74
	v_cvt_i32_f32_e32 v131, v131
	v_cmp_ngt_f32_e32 vcc_lo, 0xc2ce8ed0, v47
	v_and_b32_e32 v108, 0xffff, v108
	v_fmac_f32_e32 v117, 0x32a5705f, v104
	v_dual_sub_f32 v105, v105, v132 :: v_dual_fmac_f32 v42, v103, v73
	s_delay_alu instid0(TRANS32_DEP_2) | instskip(NEXT) | instid1(VALU_DEP_4)
	v_ldexp_f32 v44, v44, v114
	v_mul_u32_u24_e32 v108, 0x10001, v108
	v_cvt_f16_f32_e32 v112, v112
	s_delay_alu instid0(VALU_DEP_4)
	v_add_f32_e32 v73, v105, v117
	s_wait_alu 0xfffd
	v_dual_mul_f32 v117, 0x3fb8aa3b, v45 :: v_dual_cndmask_b32 v44, 0, v44
	v_pk_mul_f16 v114, v72, v108
	v_ldexp_f32 v72, v74, v131
	v_cmp_ngt_f32_e32 vcc_lo, 0xc2ce8ed0, v43
	v_exp_f32_e32 v73, v73
	v_pk_mul_f16 v108, v71, v108
	s_wait_alu 0xfffd
	v_cndmask_b32_e32 v72, 0, v72, vcc_lo
	v_cmp_nlt_f32_e32 vcc_lo, 0x42b17218, v47
	v_cvt_i32_f32_e32 v47, v132
	v_rndne_f32_e32 v132, v117
	s_wait_alu 0xfffd
	v_cndmask_b32_e32 v44, 0x7f800000, v44, vcc_lo
	v_cmp_nlt_f32_e32 vcc_lo, 0x42b17218, v43
	v_ldexp_f32 v47, v73, v47
	v_sub_f32_e32 v73, v102, v4
	s_delay_alu instid0(VALU_DEP_4)
	v_cvt_f16_f32_e32 v71, v44
	s_wait_alu 0xfffd
	v_cndmask_b32_e32 v43, 0x7f800000, v72, vcc_lo
	v_sub_f32_e32 v72, v109, v4
	v_cmp_ngt_f32_e32 vcc_lo, 0xc2ce8ed0, v104
	v_mul_f32_e32 v102, 0x3fb8aa3b, v73
	s_delay_alu instid0(VALU_DEP_4)
	v_add_f32_e32 v44, v44, v43
	s_wait_alu 0xfffd
	v_dual_mul_f32 v74, 0x3fb8aa3b, v72 :: v_dual_cndmask_b32 v47, 0, v47
	v_cmp_nlt_f32_e32 vcc_lo, 0x42b17218, v104
	v_fma_f32 v105, 0x3fb8aa3b, v73, -v102
	v_rndne_f32_e32 v109, v102
	s_delay_alu instid0(VALU_DEP_4)
	v_fma_f32 v103, 0x3fb8aa3b, v72, -v74
	v_rndne_f32_e32 v104, v74
	s_wait_alu 0xfffd
	v_cndmask_b32_e32 v47, 0x7f800000, v47, vcc_lo
	v_fmac_f32_e32 v105, 0x32a5705f, v73
	v_dual_sub_f32 v102, v102, v109 :: v_dual_fmac_f32 v103, 0x32a5705f, v72
	v_sub_f32_e32 v74, v74, v104
	s_delay_alu instid0(VALU_DEP_4) | instskip(SKIP_1) | instid1(VALU_DEP_4)
	v_cvt_f16_f32_e64 v131, v47
	v_fmac_f32_e32 v44, v101, v47
	v_add_f32_e32 v102, v102, v105
	v_cvt_i32_f32_e32 v47, v104
	v_add_f32_e32 v74, v74, v103
	v_fma_f32 v103, 0x3fb8aa3b, v45, -v117
	v_and_b32_e32 v105, 0xffff, v131
	v_sub_f32_e32 v117, v117, v132
	v_exp_f32_e32 v102, v102
	v_exp_f32_e32 v74, v74
	v_fmac_f32_e32 v103, 0x32a5705f, v45
	v_mul_u32_u24_e32 v105, 0x10001, v105
	v_cmp_ngt_f32_e32 vcc_lo, 0xc2ce8ed0, v72
	v_cvt_f16_f32_e32 v43, v43
	s_delay_alu instid0(VALU_DEP_4) | instskip(SKIP_3) | instid1(TRANS32_DEP_1)
	v_add_f32_e32 v101, v117, v103
	v_cvt_i32_f32_e32 v103, v109
	v_pk_mul_f16 v117, v70, v105
	v_pk_mul_f16 v109, v69, v105
	v_ldexp_f32 v47, v74, v47
	v_sub_f32_e32 v74, v110, v5
	v_ldexp_f32 v70, v102, v103
	v_exp_f32_e32 v69, v101
	v_cvt_i32_f32_e32 v101, v132
	s_wait_alu 0xfffd
	v_cndmask_b32_e32 v47, 0, v47, vcc_lo
	v_cmp_ngt_f32_e32 vcc_lo, 0xc2ce8ed0, v73
	v_mul_f32_e32 v102, 0x3fb8aa3b, v74
	s_wait_alu 0xfffd
	v_cndmask_b32_e32 v70, 0, v70, vcc_lo
	v_cmp_nlt_f32_e32 vcc_lo, 0x42b17218, v72
	s_delay_alu instid0(VALU_DEP_3)
	v_fma_f32 v72, 0x3fb8aa3b, v74, -v102
	v_ldexp_f32 v69, v69, v101
	s_wait_alu 0xfffd
	v_cndmask_b32_e32 v47, 0x7f800000, v47, vcc_lo
	v_cmp_nlt_f32_e32 vcc_lo, 0x42b17218, v73
	v_rndne_f32_e32 v73, v102
	v_fmac_f32_e32 v72, 0x32a5705f, v74
	s_delay_alu instid0(VALU_DEP_4) | instskip(NEXT) | instid1(VALU_DEP_3)
	v_cvt_f16_f32_e32 v103, v47
	v_sub_f32_e32 v102, v102, v73
	s_delay_alu instid0(VALU_DEP_1)
	v_add_f32_e32 v72, v102, v72
	v_dual_sub_f32 v102, v119, v6 :: v_dual_sub_f32 v119, v122, v7
	s_wait_alu 0xfffd
	v_cndmask_b32_e32 v70, 0x7f800000, v70, vcc_lo
	v_cmp_ngt_f32_e32 vcc_lo, 0xc2ce8ed0, v45
	v_exp_f32_e32 v72, v72
	v_mul_f32_e32 v104, 0x3fb8aa3b, v102
	s_delay_alu instid0(VALU_DEP_3) | instskip(SKIP_3) | instid1(VALU_DEP_3)
	v_cvt_f16_f32_e32 v101, v70
	s_wait_alu 0xfffd
	v_cndmask_b32_e32 v69, 0, v69, vcc_lo
	v_cmp_nlt_f32_e32 vcc_lo, 0x42b17218, v45
	v_and_b32_e32 v101, 0xffff, v101
	s_wait_alu 0xfffd
	s_delay_alu instid0(VALU_DEP_3) | instskip(SKIP_1) | instid1(VALU_DEP_2)
	v_cndmask_b32_e32 v69, 0x7f800000, v69, vcc_lo
	v_cmp_ngt_f32_e32 vcc_lo, 0xc2ce8ed0, v74
	v_add_f32_e32 v45, v47, v69
	v_cvt_f16_f32_e32 v47, v69
	v_mul_u32_u24_e32 v69, 0x10001, v101
	v_mul_f32_e32 v101, 0x3fb8aa3b, v46
	v_cvt_f16_f32_e32 v106, v106
	v_dual_fmac_f32 v45, v100, v70 :: v_dual_sub_f32 v70, v99, v5
	s_delay_alu instid0(VALU_DEP_4)
	v_pk_mul_f16 v110, v67, v69
	v_cvt_i32_f32_e32 v67, v73
	v_fma_f32 v73, 0x3fb8aa3b, v46, -v101
	v_rndne_f32_e32 v99, v101
	v_mul_f32_e32 v100, 0x3fb8aa3b, v70
	v_pk_mul_f16 v131, v68, v69
	v_ldexp_f32 v67, v72, v67
	s_delay_alu instid0(VALU_DEP_4) | instskip(NEXT) | instid1(VALU_DEP_4)
	v_dual_fmac_f32 v73, 0x32a5705f, v46 :: v_dual_sub_f32 v68, v101, v99
	v_fma_f32 v69, 0x3fb8aa3b, v70, -v100
	v_rndne_f32_e32 v72, v100
	v_sub_f32_e32 v101, v120, v6
	s_wait_alu 0xfffd
	v_dual_cndmask_b32 v67, 0, v67 :: v_dual_add_f32 v68, v68, v73
	v_fmac_f32_e32 v69, 0x32a5705f, v70
	s_delay_alu instid0(VALU_DEP_3) | instskip(SKIP_1) | instid1(VALU_DEP_4)
	v_dual_sub_f32 v73, v100, v72 :: v_dual_mul_f32 v100, 0x3fb8aa3b, v101
	v_cmp_nlt_f32_e32 vcc_lo, 0x42b17218, v74
	v_exp_f32_e32 v68, v68
	v_cvt_i32_f32_e32 v99, v99
	s_delay_alu instid0(VALU_DEP_3)
	v_add_f32_e32 v69, v73, v69
	v_fma_f32 v73, 0x3fb8aa3b, v101, -v100
	v_rndne_f32_e32 v74, v100
	s_wait_alu 0xfffd
	v_cndmask_b32_e32 v67, 0x7f800000, v67, vcc_lo
	v_cvt_i32_f32_e32 v72, v72
	v_exp_f32_e32 v69, v69
	v_dual_fmac_f32 v73, 0x32a5705f, v101 :: v_dual_sub_f32 v100, v100, v74
	v_ldexp_f32 v68, v68, v99
	v_cmp_ngt_f32_e32 vcc_lo, 0xc2ce8ed0, v46
	v_fma_f32 v99, 0x3fb8aa3b, v102, -v104
	v_cvt_i32_f32_e32 v74, v74
	v_add_f32_e32 v73, v100, v73
	v_rndne_f32_e32 v100, v104
	s_wait_alu 0xfffd
	v_cndmask_b32_e32 v68, 0, v68, vcc_lo
	v_ldexp_f32 v69, v69, v72
	v_cmp_ngt_f32_e32 vcc_lo, 0xc2ce8ed0, v70
	v_exp_f32_e32 v72, v73
	v_fmac_f32_e32 v99, 0x32a5705f, v102
	v_sub_f32_e32 v73, v104, v100
	v_cvt_f16_f32_e32 v105, v67
	s_wait_alu 0xfffd
	v_cndmask_b32_e32 v69, 0, v69, vcc_lo
	v_cmp_nlt_f32_e32 vcc_lo, 0x42b17218, v46
	s_wait_alu 0xfffd
	v_dual_add_f32 v73, v73, v99 :: v_dual_cndmask_b32 v68, 0x7f800000, v68
	v_cmp_nlt_f32_e32 vcc_lo, 0x42b17218, v70
	v_sub_f32_e32 v70, v98, v6
	s_wait_alu 0xfffd
	s_delay_alu instid0(VALU_DEP_3)
	v_dual_add_f32 v46, v67, v68 :: v_dual_cndmask_b32 v99, 0x7f800000, v69
	v_ldexp_f32 v67, v72, v74
	v_cvt_f16_f32_e32 v72, v68
	v_exp_f32_e32 v68, v73
	v_cmp_ngt_f32_e32 vcc_lo, 0xc2ce8ed0, v101
	v_cvt_f16_f32_e32 v69, v99
	v_cvt_i32_f32_e32 v73, v100
	v_sub_f32_e32 v74, v121, v7
	s_wait_alu 0xfffd
	v_cndmask_b32_e32 v67, 0, v67, vcc_lo
	v_cmp_nlt_f32_e32 vcc_lo, 0x42b17218, v101
	v_and_b32_e32 v100, 0xffff, v69
	v_mul_f32_e32 v69, 0x3fb8aa3b, v74
	s_wait_alu 0xfffd
	v_cndmask_b32_e32 v98, 0x7f800000, v67, vcc_lo
	v_ldexp_f32 v67, v68, v73
	v_cmp_ngt_f32_e32 vcc_lo, 0xc2ce8ed0, v102
	v_fma_f32 v104, 0x3fb8aa3b, v74, -v69
	v_rndne_f32_e32 v120, v69
	v_mul_f32_e32 v68, 0x3fb8aa3b, v70
	v_cvt_f16_f32_e32 v73, v98
	s_wait_alu 0xfffd
	v_cndmask_b32_e32 v67, 0, v67, vcc_lo
	v_cmp_nlt_f32_e32 vcc_lo, 0x42b17218, v102
	v_dual_fmac_f32 v104, 0x32a5705f, v74 :: v_dual_sub_f32 v69, v69, v120
	v_fma_f32 v101, 0x3fb8aa3b, v70, -v68
	v_rndne_f32_e32 v121, v68
	s_wait_alu 0xfffd
	v_cndmask_b32_e32 v102, 0x7f800000, v67, vcc_lo
	v_mul_f32_e32 v67, 0x3fb8aa3b, v119
	v_add_f32_e32 v69, v69, v104
	v_fmac_f32_e32 v101, 0x32a5705f, v70
	v_mul_f32_e32 v104, 0x3fb8aa3b, v11
	v_sub_f32_e32 v68, v68, v121
	v_fma_f32 v122, 0x3fb8aa3b, v119, -v67
	v_rndne_f32_e32 v132, v67
	v_exp_f32_e32 v69, v69
	v_fma_f32 v133, 0x3fb8aa3b, v11, -v104
	v_rndne_f32_e32 v134, v104
	s_delay_alu instid0(VALU_DEP_3) | instskip(SKIP_2) | instid1(VALU_DEP_4)
	v_dual_fmac_f32 v122, 0x32a5705f, v119 :: v_dual_sub_f32 v67, v67, v132
	v_add_f32_e32 v68, v68, v101
	v_cvt_i32_f32_e32 v101, v120
	v_dual_fmac_f32 v133, 0x32a5705f, v11 :: v_dual_sub_f32 v104, v104, v134
	s_delay_alu instid0(VALU_DEP_4) | instskip(NEXT) | instid1(VALU_DEP_4)
	v_add_f32_e32 v67, v67, v122
	v_exp_f32_e32 v68, v68
	s_delay_alu instid0(TRANS32_DEP_2) | instid1(VALU_DEP_3)
	v_ldexp_f32 v69, v69, v101
	v_cmp_ngt_f32_e32 vcc_lo, 0xc2ce8ed0, v74
	v_add_f32_e32 v101, v104, v133
	v_exp_f32_e32 v67, v67
	v_cvt_i32_f32_e32 v104, v121
	v_cvt_i32_f32_e32 v121, v132
	s_wait_alu 0xfffd
	v_cndmask_b32_e32 v69, 0, v69, vcc_lo
	v_cmp_nlt_f32_e32 vcc_lo, 0x42b17218, v74
	v_exp_f32_e32 v101, v101
	v_ldexp_f32 v68, v68, v104
	v_cvt_f16_f32_e32 v120, v102
	s_wait_alu 0xfffd
	v_cndmask_b32_e32 v104, 0x7f800000, v69, vcc_lo
	v_ldexp_f32 v67, v67, v121
	v_cmp_ngt_f32_e32 vcc_lo, 0xc2ce8ed0, v119
	v_cvt_i32_f32_e32 v69, v134
	s_delay_alu instid0(VALU_DEP_4)
	v_cvt_f16_f32_e32 v74, v104
	s_wait_alu 0xfffd
	v_cndmask_b32_e32 v67, 0, v67, vcc_lo
	v_cmp_ngt_f32_e32 vcc_lo, 0xc2ce8ed0, v70
	v_ldexp_f32 v69, v101, v69
	s_wait_alu 0xfffd
	v_cndmask_b32_e32 v68, 0, v68, vcc_lo
	v_cmp_nlt_f32_e32 vcc_lo, 0x42b17218, v119
	s_wait_alu 0xfffd
	v_cndmask_b32_e32 v101, 0x7f800000, v67, vcc_lo
	v_cmp_ngt_f32_e32 vcc_lo, 0xc2ce8ed0, v11
	s_delay_alu instid0(VALU_DEP_2)
	v_cvt_f16_f32_e32 v121, v101
	s_wait_alu 0xfffd
	v_cndmask_b32_e32 v67, 0, v69, vcc_lo
	v_cmp_nlt_f32_e32 vcc_lo, 0x42b17218, v70
	v_pack_b32_f16 v70, v73, v74
	v_pack_b32_f16 v69, v103, v105
	v_pack_b32_f16 v73, v47, v72
	v_pack_b32_f16 v74, v120, v121
	s_wait_alu 0xfffd
	v_cndmask_b32_e32 v119, 0x7f800000, v68, vcc_lo
	v_cmp_nlt_f32_e32 vcc_lo, 0x42b17218, v11
	v_pack_b32_f16 v68, v111, v71
	v_pack_b32_f16 v72, v106, v43
	v_pack_b32_f16 v71, v115, v112
	v_cvt_f16_f32_e32 v47, v119
	s_wait_alu 0xfffd
	v_cndmask_b32_e32 v11, 0x7f800000, v67, vcc_lo
	v_pack_b32_f16 v67, v113, v116
	ds_store_b128 v95, v[67:70]
	ds_store_b128 v95, v[71:74] offset:512
	s_wait_loadcnt 0x1
	ds_store_b128 v91, v[123:126]
	s_wait_loadcnt 0x0
	ds_store_b128 v92, v[127:130]
	v_and_b32_e32 v71, 0xffff, v47
	v_add_f32_e32 v47, v98, v102
	s_wait_dscnt 0x0
	s_barrier_signal -1
	s_barrier_wait -1
	global_inv scope:SCOPE_SE
	v_fmac_f32_e32 v47, v9, v119
	v_mul_u32_u24_e32 v43, 0x10001, v100
	v_cvt_f16_f32_e32 v100, v11
	ds_load_b128 v[67:70], v90
	v_fmac_f32_e32 v46, v10, v99
	v_mul_u32_u24_e32 v71, 0x10001, v71
	v_pk_mul_f16 v65, v65, v43
	v_and_b32_e32 v10, 0xffff, v100
	v_pk_mul_f16 v66, v66, v43
	v_add_f32_e32 v43, v104, v101
	v_pk_mul_f16 v61, v61, v71
	v_pk_mul_f16 v63, v63, v71
	v_mul_u32_u24_e32 v10, 0x10001, v10
	s_wait_alu 0xfffe
	v_add_co_u32 v146, vcc_lo, s12, v16
	v_fmac_f32_e32 v43, v8, v11
	s_wait_alu 0xfffd
	v_add_co_ci_u32_e64 v147, null, s13, v17, vcc_lo
	v_pk_mul_f16 v59, v59, v10
	v_pk_mul_f16 v57, v57, v10
	ds_load_2addr_b64 v[8:11], v93 offset1:32
	ds_load_b128 v[71:74], v90 offset:16
	ds_load_b128 v[98:101], v90 offset:32
	;; [unrolled: 1-line block ×3, first 2 shown]
	v_add_co_u32 v148, vcc_lo, s12, v18
	s_wait_dscnt 0x4
	v_lshrrev_b32_e32 v106, 16, v67
	v_and_b32_e32 v67, 0xffff, v67
	v_lshrrev_b32_e32 v111, 16, v68
	v_lshrrev_b32_e32 v112, 16, v69
	;; [unrolled: 1-line block ×3, first 2 shown]
	v_and_b32_e32 v68, 0xffff, v68
	v_and_b32_e32 v69, 0xffff, v69
	;; [unrolled: 1-line block ×3, first 2 shown]
	v_mul_u32_u24_e32 v67, 0x10001, v67
	v_mul_u32_u24_e32 v106, 0x10001, v106
	;; [unrolled: 1-line block ×8, first 2 shown]
	s_wait_dscnt 0x3
	v_pk_fma_f16 v75, v8, v67, v75
	v_pk_fma_f16 v115, v8, v106, v118
	;; [unrolled: 1-line block ×16, first 2 shown]
	s_wait_dscnt 0x2
	v_lshrrev_b32_e32 v57, 16, v71
	v_and_b32_e32 v66, 0xffff, v71
	v_lshrrev_b32_e32 v70, 16, v72
	v_lshrrev_b32_e32 v71, 16, v73
	;; [unrolled: 1-line block ×3, first 2 shown]
	v_and_b32_e32 v72, 0xffff, v72
	v_and_b32_e32 v73, 0xffff, v73
	v_and_b32_e32 v74, 0xffff, v74
	v_mul_u32_u24_e32 v66, 0x10001, v66
	v_mul_u32_u24_e32 v57, 0x10001, v57
	;; [unrolled: 1-line block ×8, first 2 shown]
	v_pk_fma_f16 v75, v10, v66, v75
	v_pk_fma_f16 v108, v10, v57, v115
	;; [unrolled: 1-line block ×11, first 2 shown]
	ds_load_2addr_b64 v[65:68], v93 offset0:64 offset1:96
	v_pk_fma_f16 v70, v11, v70, v76
	v_pk_fma_f16 v69, v11, v73, v69
	;; [unrolled: 1-line block ×5, first 2 shown]
	s_wait_dscnt 0x2
	v_lshrrev_b32_e32 v11, 16, v98
	v_and_b32_e32 v72, 0xffff, v98
	v_lshrrev_b32_e32 v73, 16, v99
	v_lshrrev_b32_e32 v74, 16, v100
	;; [unrolled: 1-line block ×3, first 2 shown]
	v_and_b32_e32 v98, 0xffff, v99
	v_and_b32_e32 v99, 0xffff, v100
	v_and_b32_e32 v100, 0xffff, v101
	v_mul_u32_u24_e32 v72, 0x10001, v72
	v_mul_u32_u24_e32 v11, 0x10001, v11
	;; [unrolled: 1-line block ×8, first 2 shown]
	s_wait_dscnt 0x0
	v_pk_fma_f16 v75, v65, v72, v75
	v_pk_fma_f16 v101, v65, v11, v108
	;; [unrolled: 1-line block ×16, first 2 shown]
	v_lshrrev_b32_e32 v8, 16, v102
	v_and_b32_e32 v9, 0xffff, v102
	v_lshrrev_b32_e32 v10, 16, v103
	v_lshrrev_b32_e32 v11, 16, v104
	;; [unrolled: 1-line block ×3, first 2 shown]
	v_mul_u32_u24_e32 v98, 0x10001, v8
	v_mul_u32_u24_e32 v76, 0x10001, v9
	v_and_b32_e32 v9, 0xffff, v104
	v_and_b32_e32 v8, 0xffff, v105
	;; [unrolled: 1-line block ×3, first 2 shown]
	v_mul_u32_u24_e32 v99, 0x10001, v10
	v_mul_u32_u24_e32 v102, 0x10001, v11
	;; [unrolled: 1-line block ×4, first 2 shown]
	ds_load_b128 v[8:11], v90 offset:64
	v_mul_u32_u24_e32 v74, 0x10001, v74
	v_mul_u32_u24_e32 v73, 0x10001, v73
	v_pk_fma_f16 v75, v67, v76, v75
	v_pk_fma_f16 v101, v67, v98, v101
	v_pk_fma_f16 v105, v67, v99, v107
	v_pk_fma_f16 v104, v67, v74, v106
	v_pk_fma_f16 v106, v67, v100, v108
	v_pk_fma_f16 v107, v67, v102, v109
	v_pk_fma_f16 v61, v67, v103, v61
	v_pk_fma_f16 v108, v67, v73, v65
	v_pk_fma_f16 v76, v68, v76, v72
	v_pk_fma_f16 v57, v68, v98, v57
	v_pk_fma_f16 v59, v68, v74, v59
	v_pk_fma_f16 v74, v68, v99, v70
	v_pk_fma_f16 v98, v68, v100, v69
	v_pk_fma_f16 v99, v68, v102, v71
	ds_load_2addr_b64 v[69:72], v93 offset0:128 offset1:160
	v_pk_fma_f16 v63, v68, v103, v63
	v_pk_fma_f16 v73, v68, v73, v66
	ds_load_b128 v[65:68], v90 offset:80
	s_wait_dscnt 0x2
	v_lshrrev_b32_e32 v100, 16, v8
	v_and_b32_e32 v8, 0xffff, v8
	v_lshrrev_b32_e32 v102, 16, v9
	v_and_b32_e32 v9, 0xffff, v9
	v_lshrrev_b32_e32 v103, 16, v10
	v_lshrrev_b32_e32 v109, 16, v11
	v_mul_u32_u24_e32 v8, 0x10001, v8
	v_and_b32_e32 v10, 0xffff, v10
	v_and_b32_e32 v11, 0xffff, v11
	v_mul_u32_u24_e32 v9, 0x10001, v9
	v_mul_u32_u24_e32 v100, 0x10001, v100
	;; [unrolled: 1-line block ×7, first 2 shown]
	s_wait_dscnt 0x1
	v_pk_fma_f16 v75, v69, v8, v75
	v_pk_fma_f16 v104, v69, v9, v104
	;; [unrolled: 1-line block ×4, first 2 shown]
	s_wait_dscnt 0x0
	v_lshrrev_b32_e32 v8, 16, v65
	v_and_b32_e32 v9, 0xffff, v65
	v_pk_fma_f16 v106, v69, v10, v106
	v_pk_fma_f16 v61, v69, v11, v61
	v_pk_fma_f16 v57, v70, v100, v57
	v_pk_fma_f16 v74, v70, v102, v74
	v_pk_fma_f16 v98, v70, v10, v98
	v_pk_fma_f16 v99, v70, v103, v99
	v_pk_fma_f16 v63, v70, v11, v63
	v_pk_fma_f16 v70, v70, v109, v73
	v_lshrrev_b32_e32 v10, 16, v66
	v_lshrrev_b32_e32 v11, 16, v67
	v_mul_u32_u24_e32 v73, 0x10001, v9
	v_and_b32_e32 v9, 0xffff, v67
	v_mul_u32_u24_e32 v67, 0x10001, v8
	v_and_b32_e32 v8, 0xffff, v68
	v_pk_fma_f16 v101, v69, v100, v101
	v_pk_fma_f16 v105, v69, v102, v105
	;; [unrolled: 1-line block ×3, first 2 shown]
	v_lshrrev_b32_e32 v65, 16, v68
	v_and_b32_e32 v66, 0xffff, v66
	v_mul_u32_u24_e32 v68, 0x10001, v10
	v_mul_u32_u24_e32 v100, 0x10001, v9
	;; [unrolled: 1-line block ×4, first 2 shown]
	ds_load_b128 v[8:11], v90 offset:96
	v_pk_fma_f16 v69, v69, v109, v108
	v_mul_u32_u24_e32 v66, 0x10001, v66
	v_mul_u32_u24_e32 v108, 0x10001, v65
	v_pk_fma_f16 v75, v71, v73, v75
	v_pk_fma_f16 v101, v71, v67, v101
	v_pk_fma_f16 v105, v71, v68, v105
	v_pk_fma_f16 v104, v71, v66, v104
	v_pk_fma_f16 v106, v71, v100, v106
	v_pk_fma_f16 v107, v71, v102, v107
	v_pk_fma_f16 v61, v71, v103, v61
	v_pk_fma_f16 v109, v71, v108, v69
	v_pk_fma_f16 v73, v72, v73, v76
	v_pk_fma_f16 v57, v72, v67, v57
	v_pk_fma_f16 v59, v72, v66, v59
	v_pk_fma_f16 v74, v72, v68, v74
	v_pk_fma_f16 v76, v72, v100, v98
	v_pk_fma_f16 v98, v72, v102, v99
	ds_load_2addr_b64 v[65:68], v93 offset0:192 offset1:224
	v_pk_fma_f16 v63, v72, v103, v63
	v_pk_fma_f16 v99, v72, v108, v70
	ds_load_b128 v[69:72], v90 offset:112
	s_wait_dscnt 0x2
	v_lshrrev_b32_e32 v100, 16, v8
	v_and_b32_e32 v8, 0xffff, v8
	v_lshrrev_b32_e32 v102, 16, v9
	v_and_b32_e32 v9, 0xffff, v9
	v_lshrrev_b32_e32 v103, 16, v10
	v_lshrrev_b32_e32 v108, 16, v11
	v_mul_u32_u24_e32 v8, 0x10001, v8
	v_and_b32_e32 v10, 0xffff, v10
	v_and_b32_e32 v11, 0xffff, v11
	v_mul_u32_u24_e32 v9, 0x10001, v9
	v_mul_u32_u24_e32 v100, 0x10001, v100
	;; [unrolled: 1-line block ×7, first 2 shown]
	s_wait_dscnt 0x1
	v_pk_fma_f16 v75, v65, v8, v75
	v_pk_fma_f16 v104, v65, v9, v104
	;; [unrolled: 1-line block ×4, first 2 shown]
	s_wait_dscnt 0x0
	v_lshrrev_b32_e32 v8, 16, v69
	v_and_b32_e32 v9, 0xffff, v69
	v_pk_fma_f16 v106, v65, v10, v106
	v_pk_fma_f16 v61, v65, v11, v61
	;; [unrolled: 1-line block ×8, first 2 shown]
	v_lshrrev_b32_e32 v10, 16, v70
	v_lshrrev_b32_e32 v11, 16, v71
	v_mul_u32_u24_e32 v99, 0x10001, v9
	v_and_b32_e32 v9, 0xffff, v71
	v_mul_u32_u24_e32 v71, 0x10001, v8
	v_and_b32_e32 v8, 0xffff, v72
	v_pk_fma_f16 v101, v65, v100, v101
	v_pk_fma_f16 v105, v65, v102, v105
	;; [unrolled: 1-line block ×3, first 2 shown]
	v_lshrrev_b32_e32 v69, 16, v72
	v_and_b32_e32 v70, 0xffff, v70
	v_mul_u32_u24_e32 v72, 0x10001, v10
	v_mul_u32_u24_e32 v100, 0x10001, v9
	v_mul_u32_u24_e32 v102, 0x10001, v11
	v_mul_u32_u24_e32 v103, 0x10001, v8
	ds_load_b128 v[8:11], v90 offset:128
	v_pk_fma_f16 v65, v65, v108, v109
	v_mul_u32_u24_e32 v70, 0x10001, v70
	v_mul_u32_u24_e32 v108, 0x10001, v69
	v_pk_fma_f16 v75, v67, v99, v75
	v_pk_fma_f16 v73, v68, v99, v73
	;; [unrolled: 1-line block ×3, first 2 shown]
	v_add_nc_u32_e32 v57, 0x800, v93
	v_pk_fma_f16 v101, v67, v71, v101
	v_pk_fma_f16 v104, v67, v70, v104
	;; [unrolled: 1-line block ×11, first 2 shown]
	ds_load_2addr_b64 v[69:72], v57 offset1:32
	v_pk_fma_f16 v63, v68, v103, v63
	v_pk_fma_f16 v100, v68, v108, v66
	ds_load_b128 v[65:68], v90 offset:144
	s_wait_dscnt 0x2
	v_lshrrev_b32_e32 v102, 16, v8
	v_and_b32_e32 v8, 0xffff, v8
	v_lshrrev_b32_e32 v103, 16, v9
	v_and_b32_e32 v9, 0xffff, v9
	v_lshrrev_b32_e32 v108, 16, v10
	v_lshrrev_b32_e32 v110, 16, v11
	v_mul_u32_u24_e32 v8, 0x10001, v8
	v_and_b32_e32 v10, 0xffff, v10
	v_and_b32_e32 v11, 0xffff, v11
	v_mul_u32_u24_e32 v9, 0x10001, v9
	v_mul_u32_u24_e32 v102, 0x10001, v102
	;; [unrolled: 1-line block ×7, first 2 shown]
	s_wait_dscnt 0x1
	v_pk_fma_f16 v75, v69, v8, v75
	v_pk_fma_f16 v104, v69, v9, v104
	;; [unrolled: 1-line block ×4, first 2 shown]
	s_wait_dscnt 0x0
	v_lshrrev_b32_e32 v8, 16, v65
	v_and_b32_e32 v9, 0xffff, v65
	v_pk_fma_f16 v106, v69, v10, v106
	v_pk_fma_f16 v61, v69, v11, v61
	;; [unrolled: 1-line block ×8, first 2 shown]
	v_lshrrev_b32_e32 v10, 16, v66
	v_lshrrev_b32_e32 v11, 16, v67
	v_mul_u32_u24_e32 v100, 0x10001, v9
	v_and_b32_e32 v9, 0xffff, v67
	v_mul_u32_u24_e32 v67, 0x10001, v8
	v_and_b32_e32 v8, 0xffff, v68
	v_pk_fma_f16 v101, v69, v102, v101
	v_pk_fma_f16 v105, v69, v103, v105
	;; [unrolled: 1-line block ×3, first 2 shown]
	v_lshrrev_b32_e32 v65, 16, v68
	v_and_b32_e32 v66, 0xffff, v66
	v_mul_u32_u24_e32 v68, 0x10001, v10
	v_mul_u32_u24_e32 v102, 0x10001, v9
	;; [unrolled: 1-line block ×4, first 2 shown]
	ds_load_b128 v[8:11], v90 offset:160
	v_pk_fma_f16 v69, v69, v110, v109
	v_mul_u32_u24_e32 v66, 0x10001, v66
	v_mul_u32_u24_e32 v109, 0x10001, v65
	v_pk_fma_f16 v75, v71, v100, v75
	v_pk_fma_f16 v101, v71, v67, v101
	;; [unrolled: 1-line block ×14, first 2 shown]
	ds_load_2addr_b64 v[65:68], v57 offset0:64 offset1:96
	v_pk_fma_f16 v63, v72, v108, v63
	v_pk_fma_f16 v100, v72, v109, v70
	ds_load_b128 v[69:72], v90 offset:176
	s_wait_dscnt 0x2
	v_lshrrev_b32_e32 v102, 16, v8
	v_and_b32_e32 v8, 0xffff, v8
	v_lshrrev_b32_e32 v103, 16, v9
	v_and_b32_e32 v9, 0xffff, v9
	v_lshrrev_b32_e32 v108, 16, v10
	v_lshrrev_b32_e32 v109, 16, v11
	v_mul_u32_u24_e32 v8, 0x10001, v8
	v_and_b32_e32 v10, 0xffff, v10
	v_and_b32_e32 v11, 0xffff, v11
	v_mul_u32_u24_e32 v9, 0x10001, v9
	v_mul_u32_u24_e32 v102, 0x10001, v102
	;; [unrolled: 1-line block ×7, first 2 shown]
	s_wait_dscnt 0x1
	v_pk_fma_f16 v75, v65, v8, v75
	v_pk_fma_f16 v104, v65, v9, v104
	v_pk_fma_f16 v73, v66, v8, v73
	v_pk_fma_f16 v59, v66, v9, v59
	s_wait_dscnt 0x0
	v_lshrrev_b32_e32 v8, 16, v69
	v_and_b32_e32 v9, 0xffff, v69
	v_pk_fma_f16 v106, v65, v10, v106
	v_pk_fma_f16 v61, v65, v11, v61
	;; [unrolled: 1-line block ×8, first 2 shown]
	v_lshrrev_b32_e32 v10, 16, v70
	v_lshrrev_b32_e32 v11, 16, v71
	v_mul_u32_u24_e32 v100, 0x10001, v9
	v_and_b32_e32 v9, 0xffff, v71
	v_mul_u32_u24_e32 v71, 0x10001, v8
	v_and_b32_e32 v8, 0xffff, v72
	v_pk_fma_f16 v101, v65, v102, v101
	v_pk_fma_f16 v105, v65, v103, v105
	;; [unrolled: 1-line block ×3, first 2 shown]
	v_lshrrev_b32_e32 v69, 16, v72
	v_and_b32_e32 v70, 0xffff, v70
	v_mul_u32_u24_e32 v72, 0x10001, v10
	v_mul_u32_u24_e32 v102, 0x10001, v9
	;; [unrolled: 1-line block ×4, first 2 shown]
	ds_load_b128 v[8:11], v90 offset:192
	v_pk_fma_f16 v65, v65, v109, v110
	v_mul_u32_u24_e32 v70, 0x10001, v70
	v_mul_u32_u24_e32 v109, 0x10001, v69
	v_pk_fma_f16 v75, v67, v100, v75
	v_pk_fma_f16 v101, v67, v71, v101
	;; [unrolled: 1-line block ×14, first 2 shown]
	ds_load_2addr_b64 v[69:72], v57 offset0:128 offset1:160
	v_pk_fma_f16 v63, v68, v108, v63
	v_pk_fma_f16 v100, v68, v109, v66
	ds_load_b128 v[65:68], v90 offset:208
	s_wait_dscnt 0x2
	v_lshrrev_b32_e32 v102, 16, v8
	v_and_b32_e32 v8, 0xffff, v8
	v_lshrrev_b32_e32 v103, 16, v9
	v_and_b32_e32 v9, 0xffff, v9
	v_lshrrev_b32_e32 v108, 16, v10
	v_lshrrev_b32_e32 v109, 16, v11
	v_mul_u32_u24_e32 v8, 0x10001, v8
	v_and_b32_e32 v10, 0xffff, v10
	v_and_b32_e32 v11, 0xffff, v11
	v_mul_u32_u24_e32 v9, 0x10001, v9
	v_mul_u32_u24_e32 v102, 0x10001, v102
	;; [unrolled: 1-line block ×7, first 2 shown]
	s_wait_dscnt 0x1
	v_pk_fma_f16 v75, v69, v8, v75
	v_pk_fma_f16 v104, v69, v9, v104
	;; [unrolled: 1-line block ×4, first 2 shown]
	s_wait_dscnt 0x0
	v_lshrrev_b32_e32 v8, 16, v65
	v_and_b32_e32 v9, 0xffff, v65
	v_pk_fma_f16 v106, v69, v10, v106
	v_pk_fma_f16 v61, v69, v11, v61
	;; [unrolled: 1-line block ×8, first 2 shown]
	v_lshrrev_b32_e32 v10, 16, v66
	v_lshrrev_b32_e32 v11, 16, v67
	v_mul_u32_u24_e32 v100, 0x10001, v9
	v_and_b32_e32 v9, 0xffff, v67
	v_mul_u32_u24_e32 v67, 0x10001, v8
	v_and_b32_e32 v8, 0xffff, v68
	v_pk_fma_f16 v101, v69, v102, v101
	v_pk_fma_f16 v105, v69, v103, v105
	;; [unrolled: 1-line block ×3, first 2 shown]
	v_lshrrev_b32_e32 v65, 16, v68
	v_and_b32_e32 v66, 0xffff, v66
	v_mul_u32_u24_e32 v68, 0x10001, v10
	v_mul_u32_u24_e32 v102, 0x10001, v9
	;; [unrolled: 1-line block ×4, first 2 shown]
	ds_load_b128 v[8:11], v90 offset:224
	v_pk_fma_f16 v69, v69, v109, v110
	v_mul_u32_u24_e32 v66, 0x10001, v66
	v_mul_u32_u24_e32 v109, 0x10001, v65
	v_pk_fma_f16 v75, v71, v100, v75
	v_pk_fma_f16 v101, v71, v67, v101
	;; [unrolled: 1-line block ×14, first 2 shown]
	ds_load_2addr_b64 v[65:68], v57 offset0:192 offset1:224
	v_pk_fma_f16 v63, v72, v108, v63
	v_pk_fma_f16 v100, v72, v109, v70
	ds_load_b128 v[69:72], v90 offset:240
	s_wait_dscnt 0x2
	v_lshrrev_b32_e32 v102, 16, v8
	v_and_b32_e32 v8, 0xffff, v8
	v_lshrrev_b32_e32 v103, 16, v9
	v_and_b32_e32 v9, 0xffff, v9
	v_lshrrev_b32_e32 v108, 16, v10
	v_lshrrev_b32_e32 v109, 16, v11
	v_mul_u32_u24_e32 v8, 0x10001, v8
	v_and_b32_e32 v10, 0xffff, v10
	v_mul_u32_u24_e32 v102, 0x10001, v102
	v_and_b32_e32 v11, 0xffff, v11
	v_mul_u32_u24_e32 v9, 0x10001, v9
	v_mul_u32_u24_e32 v103, 0x10001, v103
	;; [unrolled: 1-line block ×6, first 2 shown]
	s_wait_dscnt 0x1
	v_pk_fma_f16 v75, v65, v8, v75
	v_pk_fma_f16 v101, v65, v102, v101
	;; [unrolled: 1-line block ×6, first 2 shown]
	s_wait_dscnt 0x0
	v_lshrrev_b32_e32 v8, 16, v69
	v_and_b32_e32 v9, 0xffff, v69
	v_pk_fma_f16 v106, v65, v10, v106
	v_pk_fma_f16 v61, v65, v11, v61
	;; [unrolled: 1-line block ×4, first 2 shown]
	v_lshrrev_b32_e32 v10, 16, v70
	v_lshrrev_b32_e32 v11, 16, v71
	v_and_b32_e32 v69, 0xffff, v70
	v_mul_u32_u24_e32 v70, 0x10001, v9
	v_and_b32_e32 v9, 0xffff, v71
	v_mul_u32_u24_e32 v71, 0x10001, v8
	v_and_b32_e32 v8, 0xffff, v72
	v_pk_fma_f16 v105, v65, v103, v105
	v_pk_fma_f16 v107, v65, v108, v107
	;; [unrolled: 1-line block ×5, first 2 shown]
	v_lshrrev_b32_e32 v59, 16, v72
	v_mul_u32_u24_e32 v72, 0x10001, v10
	v_mul_u32_u24_e32 v100, 0x10001, v9
	v_mul_u32_u24_e32 v103, 0x10001, v11
	v_mul_u32_u24_e32 v108, 0x10001, v8
	ds_load_b128 v[8:11], v90 offset:256
	v_pk_fma_f16 v65, v65, v109, v110
	v_mul_u32_u24_e32 v69, 0x10001, v69
	v_mul_u32_u24_e32 v109, 0x10001, v59
	v_add_nc_u32_e32 v59, 0x1000, v93
	v_pk_fma_f16 v75, v67, v70, v75
	v_pk_fma_f16 v101, v67, v71, v101
	;; [unrolled: 1-line block ×14, first 2 shown]
	ds_load_2addr_b64 v[69:72], v59 offset1:32
	v_pk_fma_f16 v63, v68, v108, v63
	v_pk_fma_f16 v100, v68, v109, v66
	ds_load_b128 v[65:68], v90 offset:272
	s_wait_dscnt 0x2
	v_lshrrev_b32_e32 v103, 16, v8
	v_and_b32_e32 v8, 0xffff, v8
	v_lshrrev_b32_e32 v108, 16, v9
	v_and_b32_e32 v9, 0xffff, v9
	v_lshrrev_b32_e32 v109, 16, v10
	v_lshrrev_b32_e32 v111, 16, v11
	v_mul_u32_u24_e32 v8, 0x10001, v8
	v_and_b32_e32 v10, 0xffff, v10
	v_and_b32_e32 v11, 0xffff, v11
	v_mul_u32_u24_e32 v9, 0x10001, v9
	v_mul_u32_u24_e32 v103, 0x10001, v103
	;; [unrolled: 1-line block ×7, first 2 shown]
	s_wait_dscnt 0x1
	v_pk_fma_f16 v75, v69, v8, v75
	v_pk_fma_f16 v104, v69, v9, v104
	;; [unrolled: 1-line block ×4, first 2 shown]
	s_wait_dscnt 0x0
	v_lshrrev_b32_e32 v8, 16, v65
	v_and_b32_e32 v9, 0xffff, v65
	v_pk_fma_f16 v106, v69, v10, v106
	v_pk_fma_f16 v61, v69, v11, v61
	;; [unrolled: 1-line block ×8, first 2 shown]
	v_lshrrev_b32_e32 v10, 16, v66
	v_lshrrev_b32_e32 v11, 16, v67
	v_mul_u32_u24_e32 v100, 0x10001, v9
	v_and_b32_e32 v9, 0xffff, v67
	v_mul_u32_u24_e32 v67, 0x10001, v8
	v_and_b32_e32 v8, 0xffff, v68
	v_pk_fma_f16 v101, v69, v103, v101
	v_pk_fma_f16 v105, v69, v108, v105
	;; [unrolled: 1-line block ×3, first 2 shown]
	v_lshrrev_b32_e32 v65, 16, v68
	v_and_b32_e32 v66, 0xffff, v66
	v_mul_u32_u24_e32 v68, 0x10001, v10
	v_mul_u32_u24_e32 v103, 0x10001, v9
	v_mul_u32_u24_e32 v108, 0x10001, v11
	v_mul_u32_u24_e32 v109, 0x10001, v8
	ds_load_b128 v[8:11], v90 offset:288
	v_pk_fma_f16 v69, v69, v111, v110
	v_mul_u32_u24_e32 v66, 0x10001, v66
	v_mul_u32_u24_e32 v110, 0x10001, v65
	v_pk_fma_f16 v75, v71, v100, v75
	v_pk_fma_f16 v101, v71, v67, v101
	;; [unrolled: 1-line block ×14, first 2 shown]
	ds_load_2addr_b64 v[65:68], v59 offset0:64 offset1:96
	v_pk_fma_f16 v63, v72, v109, v63
	v_pk_fma_f16 v102, v72, v110, v70
	ds_load_b128 v[69:72], v90 offset:304
	s_wait_dscnt 0x2
	v_lshrrev_b32_e32 v110, 16, v11
	v_and_b32_e32 v11, 0xffff, v11
	v_lshrrev_b32_e32 v103, 16, v8
	v_and_b32_e32 v8, 0xffff, v8
	v_lshrrev_b32_e32 v108, 16, v9
	v_lshrrev_b32_e32 v109, 16, v10
	v_and_b32_e32 v9, 0xffff, v9
	v_and_b32_e32 v10, 0xffff, v10
	v_mul_u32_u24_e32 v11, 0x10001, v11
	v_mul_u32_u24_e32 v8, 0x10001, v8
	;; [unrolled: 1-line block ×8, first 2 shown]
	s_wait_dscnt 0x1
	v_pk_fma_f16 v61, v65, v11, v61
	v_pk_fma_f16 v63, v66, v11, v63
	v_pk_fma_f16 v75, v65, v8, v75
	s_wait_dscnt 0x0
	v_lshrrev_b32_e32 v11, 16, v69
	v_and_b32_e32 v69, 0xffff, v69
	v_pk_fma_f16 v104, v65, v9, v104
	v_pk_fma_f16 v106, v65, v10, v106
	;; [unrolled: 1-line block ×9, first 2 shown]
	v_lshrrev_b32_e32 v98, 16, v70
	v_lshrrev_b32_e32 v99, 16, v71
	v_and_b32_e32 v70, 0xffff, v70
	v_mul_u32_u24_e32 v102, 0x10001, v69
	v_and_b32_e32 v69, 0xffff, v71
	v_and_b32_e32 v71, 0xffff, v72
	v_pk_fma_f16 v101, v65, v103, v101
	v_pk_fma_f16 v105, v65, v108, v105
	;; [unrolled: 1-line block ×3, first 2 shown]
	v_lshrrev_b32_e32 v100, 16, v72
	v_mul_u32_u24_e32 v103, 0x10001, v70
	v_mul_u32_u24_e32 v108, 0x10001, v69
	;; [unrolled: 1-line block ×3, first 2 shown]
	ds_load_b128 v[69:72], v90 offset:320
	v_pk_fma_f16 v65, v65, v110, v111
	v_mul_u32_u24_e32 v11, 0x10001, v11
	v_mul_u32_u24_e32 v98, 0x10001, v98
	;; [unrolled: 1-line block ×4, first 2 shown]
	v_pk_fma_f16 v75, v67, v102, v75
	v_pk_fma_f16 v101, v67, v11, v101
	;; [unrolled: 1-line block ×14, first 2 shown]
	ds_load_2addr_b64 v[8:11], v59 offset0:128 offset1:160
	v_pk_fma_f16 v63, v68, v109, v63
	v_pk_fma_f16 v99, v68, v100, v66
	ds_load_b128 v[65:68], v90 offset:336
	s_wait_dscnt 0x2
	v_lshrrev_b32_e32 v100, 16, v69
	v_and_b32_e32 v69, 0xffff, v69
	v_lshrrev_b32_e32 v108, 16, v70
	v_lshrrev_b32_e32 v109, 16, v71
	;; [unrolled: 1-line block ×3, first 2 shown]
	v_and_b32_e32 v70, 0xffff, v70
	v_and_b32_e32 v71, 0xffff, v71
	;; [unrolled: 1-line block ×3, first 2 shown]
	v_mul_u32_u24_e32 v69, 0x10001, v69
	v_mul_u32_u24_e32 v100, 0x10001, v100
	;; [unrolled: 1-line block ×8, first 2 shown]
	s_wait_dscnt 0x1
	v_pk_fma_f16 v75, v8, v69, v75
	v_pk_fma_f16 v101, v8, v100, v101
	v_pk_fma_f16 v104, v8, v70, v104
	v_pk_fma_f16 v154, v8, v108, v105
	v_pk_fma_f16 v155, v8, v71, v106
	v_pk_fma_f16 v156, v8, v109, v107
	v_pk_fma_f16 v61, v8, v72, v61
	v_pk_fma_f16 v157, v8, v111, v110
	s_wait_dscnt 0x0
	v_lshrrev_b32_e32 v8, 16, v65
	v_pk_fma_f16 v158, v9, v69, v102
	v_and_b32_e32 v65, 0xffff, v65
	v_lshrrev_b32_e32 v69, 16, v66
	v_and_b32_e32 v66, 0xffff, v66
	v_mul_u32_u24_e32 v165, 0x10001, v8
	v_and_b32_e32 v8, 0xffff, v68
	s_wait_alu 0xfffd
	v_add_co_ci_u32_e64 v149, null, s13, v19, vcc_lo
	v_add_co_u32 v146, vcc_lo, v146, v96
	s_wait_alu 0xfffd
	v_add_co_ci_u32_e64 v147, null, 0, v147, vcc_lo
	v_add_co_u32 v150, vcc_lo, v148, v96
	v_pk_fma_f16 v160, v9, v70, v103
	v_pk_fma_f16 v162, v9, v71, v98
	v_lshrrev_b32_e32 v70, 16, v67
	v_lshrrev_b32_e32 v71, 16, v68
	v_mul_u32_u24_e32 v164, 0x10001, v65
	v_and_b32_e32 v65, 0xffff, v67
	v_mul_u32_u24_e32 v166, 0x10001, v66
	v_mul_u32_u24_e32 v170, 0x10001, v8
	v_add_nc_u32_e32 v8, 0x1800, v93
	s_wait_alu 0xfffd
	v_add_co_ci_u32_e64 v151, null, 0, v149, vcc_lo
	v_pk_fma_f16 v159, v9, v100, v73
	v_pk_fma_f16 v161, v9, v108, v74
	;; [unrolled: 1-line block ×5, first 2 shown]
	v_mul_u32_u24_e32 v167, 0x10001, v69
	v_mul_u32_u24_e32 v168, 0x10001, v65
	v_mul_u32_u24_e32 v169, 0x10001, v70
	v_mul_u32_u24_e32 v171, 0x10001, v71
	v_pk_fma_f16 v172, v10, v164, v75
	v_pk_fma_f16 v173, v10, v165, v101
	;; [unrolled: 1-line block ×3, first 2 shown]
	ds_load_2addr_b64 v[65:68], v59 offset0:192 offset1:224
	ds_load_b128 v[69:72], v90 offset:352
	ds_load_b128 v[73:76], v90 offset:368
	ds_load_2addr_b64 v[98:101], v8 offset1:32
	ds_load_b128 v[102:105], v90 offset:384
	ds_load_b128 v[106:109], v90 offset:400
	ds_load_2addr_b64 v[110:113], v8 offset0:64 offset1:96
	ds_load_b128 v[114:117], v90 offset:416
	ds_load_b128 v[118:121], v90 offset:432
	ds_load_2addr_b64 v[122:125], v8 offset0:128 offset1:160
	;; [unrolled: 3-line block ×3, first 2 shown]
	ds_load_b128 v[138:141], v90 offset:480
	ds_load_b128 v[142:145], v90 offset:496
	s_wait_loadcnt_dscnt 0x0
	s_barrier_signal -1
	s_barrier_wait -1
	global_inv scope:SCOPE_SE
	s_clause 0x1
	global_load_b128 v[146:149], v[146:147], off
	global_load_b128 v[150:153], v[150:151], off
	v_pk_fma_f16 v154, v10, v167, v154
	v_pk_fma_f16 v155, v10, v168, v155
	;; [unrolled: 1-line block ×13, first 2 shown]
	v_lshrrev_b32_e32 v11, 16, v69
	v_and_b32_e32 v69, 0xffff, v69
	v_lshrrev_b32_e32 v163, 16, v70
	v_lshrrev_b32_e32 v164, 16, v71
	;; [unrolled: 1-line block ×3, first 2 shown]
	v_and_b32_e32 v70, 0xffff, v70
	v_and_b32_e32 v71, 0xffff, v71
	;; [unrolled: 1-line block ×3, first 2 shown]
	v_mul_u32_u24_e32 v69, 0x10001, v69
	v_mul_u32_u24_e32 v11, 0x10001, v11
	;; [unrolled: 1-line block ×8, first 2 shown]
	v_pk_fma_f16 v166, v65, v69, v172
	v_pk_fma_f16 v167, v65, v11, v173
	;; [unrolled: 1-line block ×16, first 2 shown]
	v_lshrrev_b32_e32 v66, 16, v73
	v_and_b32_e32 v72, 0xffff, v73
	v_lshrrev_b32_e32 v73, 16, v74
	v_lshrrev_b32_e32 v158, 16, v75
	;; [unrolled: 1-line block ×3, first 2 shown]
	v_and_b32_e32 v74, 0xffff, v74
	v_and_b32_e32 v75, 0xffff, v75
	;; [unrolled: 1-line block ×3, first 2 shown]
	v_mul_u32_u24_e32 v72, 0x10001, v72
	v_mul_u32_u24_e32 v66, 0x10001, v66
	;; [unrolled: 1-line block ×8, first 2 shown]
	v_pk_fma_f16 v160, v67, v72, v166
	v_pk_fma_f16 v161, v67, v66, v167
	;; [unrolled: 1-line block ×16, first 2 shown]
	v_lshrrev_b32_e32 v68, 16, v102
	v_and_b32_e32 v71, 0xffff, v102
	v_lshrrev_b32_e32 v73, 16, v104
	v_and_b32_e32 v75, 0xffff, v103
	v_and_b32_e32 v76, 0xffff, v104
	v_lshrrev_b32_e32 v72, 16, v103
	v_lshrrev_b32_e32 v74, 16, v105
	v_mul_u32_u24_e32 v71, 0x10001, v71
	v_mul_u32_u24_e32 v68, 0x10001, v68
	v_and_b32_e32 v102, 0xffff, v105
	v_mul_u32_u24_e32 v75, 0x10001, v75
	v_mul_u32_u24_e32 v76, 0x10001, v76
	;; [unrolled: 1-line block ×6, first 2 shown]
	v_pk_fma_f16 v103, v98, v71, v160
	v_pk_fma_f16 v104, v98, v68, v161
	;; [unrolled: 1-line block ×8, first 2 shown]
	v_lshrrev_b32_e32 v70, 16, v106
	v_and_b32_e32 v71, 0xffff, v106
	v_and_b32_e32 v75, 0xffff, v107
	v_pk_fma_f16 v154, v98, v72, v154
	v_pk_fma_f16 v155, v98, v76, v155
	;; [unrolled: 1-line block ×6, first 2 shown]
	v_lshrrev_b32_e32 v72, 16, v107
	v_mul_u32_u24_e32 v71, 0x10001, v71
	v_and_b32_e32 v76, 0xffff, v108
	v_mul_u32_u24_e32 v70, 0x10001, v70
	v_and_b32_e32 v98, 0xffff, v109
	v_mul_u32_u24_e32 v75, 0x10001, v75
	v_pk_fma_f16 v63, v99, v102, v63
	v_pk_fma_f16 v9, v99, v74, v9
	v_lshrrev_b32_e32 v73, 16, v108
	v_lshrrev_b32_e32 v74, 16, v109
	v_mul_u32_u24_e32 v72, 0x10001, v72
	v_mul_u32_u24_e32 v76, 0x10001, v76
	;; [unrolled: 1-line block ×3, first 2 shown]
	v_pk_fma_f16 v99, v100, v71, v103
	v_pk_fma_f16 v102, v100, v70, v104
	;; [unrolled: 1-line block ×6, first 2 shown]
	v_lshrrev_b32_e32 v70, 16, v114
	v_and_b32_e32 v71, 0xffff, v114
	v_and_b32_e32 v75, 0xffff, v115
	v_mul_u32_u24_e32 v73, 0x10001, v73
	v_mul_u32_u24_e32 v74, 0x10001, v74
	v_pk_fma_f16 v104, v100, v72, v154
	v_pk_fma_f16 v105, v100, v76, v155
	;; [unrolled: 1-line block ×6, first 2 shown]
	v_lshrrev_b32_e32 v72, 16, v115
	v_mul_u32_u24_e32 v71, 0x10001, v71
	v_and_b32_e32 v76, 0xffff, v116
	v_mul_u32_u24_e32 v70, 0x10001, v70
	v_and_b32_e32 v98, 0xffff, v117
	v_mul_u32_u24_e32 v75, 0x10001, v75
	v_pk_fma_f16 v106, v100, v73, v156
	v_pk_fma_f16 v10, v100, v74, v10
	;; [unrolled: 1-line block ×4, first 2 shown]
	v_mul_u32_u24_e32 v72, 0x10001, v72
	v_mul_u32_u24_e32 v76, 0x10001, v76
	;; [unrolled: 1-line block ×3, first 2 shown]
	v_pk_fma_f16 v99, v110, v71, v99
	v_pk_fma_f16 v100, v110, v70, v102
	;; [unrolled: 1-line block ×6, first 2 shown]
	v_lshrrev_b32_e32 v70, 16, v118
	v_and_b32_e32 v71, 0xffff, v118
	v_and_b32_e32 v75, 0xffff, v119
	v_lshrrev_b32_e32 v73, 16, v116
	v_lshrrev_b32_e32 v74, 16, v117
	v_pk_fma_f16 v102, v110, v72, v104
	v_pk_fma_f16 v103, v110, v76, v105
	v_pk_fma_f16 v61, v110, v98, v61
	v_pk_fma_f16 v67, v111, v72, v67
	v_pk_fma_f16 v68, v111, v76, v68
	v_pk_fma_f16 v63, v111, v98, v63
	v_lshrrev_b32_e32 v72, 16, v119
	v_mul_u32_u24_e32 v71, 0x10001, v71
	v_and_b32_e32 v76, 0xffff, v120
	v_mul_u32_u24_e32 v70, 0x10001, v70
	v_and_b32_e32 v98, 0xffff, v121
	v_mul_u32_u24_e32 v75, 0x10001, v75
	v_mul_u32_u24_e32 v73, 0x10001, v73
	v_mul_u32_u24_e32 v74, 0x10001, v74
	v_mul_u32_u24_e32 v72, 0x10001, v72
	v_mul_u32_u24_e32 v76, 0x10001, v76
	v_mul_u32_u24_e32 v98, 0x10001, v98
	v_pk_fma_f16 v99, v112, v71, v99
	v_pk_fma_f16 v100, v112, v70, v100
	v_pk_fma_f16 v101, v112, v75, v101
	v_pk_fma_f16 v65, v113, v71, v65
	v_pk_fma_f16 v11, v113, v70, v11
	v_pk_fma_f16 v66, v113, v75, v66
	v_lshrrev_b32_e32 v70, 16, v126
	v_and_b32_e32 v71, 0xffff, v126
	v_and_b32_e32 v75, 0xffff, v127
	v_pk_fma_f16 v104, v110, v73, v106
	v_pk_fma_f16 v10, v110, v74, v10
	v_pk_fma_f16 v69, v111, v73, v69
	v_pk_fma_f16 v9, v111, v74, v9
	v_lshrrev_b32_e32 v73, 16, v120
	v_lshrrev_b32_e32 v74, 16, v121
	v_pk_fma_f16 v102, v112, v72, v102
	v_pk_fma_f16 v103, v112, v76, v103
	v_pk_fma_f16 v61, v112, v98, v61
	v_pk_fma_f16 v67, v113, v72, v67
	v_pk_fma_f16 v68, v113, v76, v68
	v_pk_fma_f16 v63, v113, v98, v63
	v_lshrrev_b32_e32 v72, 16, v127
	v_mul_u32_u24_e32 v71, 0x10001, v71
	v_and_b32_e32 v76, 0xffff, v128
	v_mul_u32_u24_e32 v70, 0x10001, v70
	v_and_b32_e32 v98, 0xffff, v129
	v_mul_u32_u24_e32 v75, 0x10001, v75
	v_mul_u32_u24_e32 v73, 0x10001, v73
	v_mul_u32_u24_e32 v74, 0x10001, v74
	v_mul_u32_u24_e32 v72, 0x10001, v72
	v_mul_u32_u24_e32 v76, 0x10001, v76
	v_mul_u32_u24_e32 v98, 0x10001, v98
	v_pk_fma_f16 v99, v122, v71, v99
	v_pk_fma_f16 v100, v122, v70, v100
	v_pk_fma_f16 v101, v122, v75, v101
	v_pk_fma_f16 v65, v123, v71, v65
	v_pk_fma_f16 v11, v123, v70, v11
	v_pk_fma_f16 v66, v123, v75, v66
	v_lshrrev_b32_e32 v70, 16, v130
	v_and_b32_e32 v71, 0xffff, v130
	v_and_b32_e32 v75, 0xffff, v131
	v_pk_fma_f16 v104, v112, v73, v104
	v_pk_fma_f16 v10, v112, v74, v10
	v_pk_fma_f16 v69, v113, v73, v69
	v_pk_fma_f16 v9, v113, v74, v9
	;; [unrolled: 32-line block ×3, first 2 shown]
	v_lshrrev_b32_e32 v73, 16, v132
	v_lshrrev_b32_e32 v74, 16, v133
	v_pk_fma_f16 v102, v124, v72, v102
	v_pk_fma_f16 v103, v124, v76, v103
	;; [unrolled: 1-line block ×6, first 2 shown]
	v_lshrrev_b32_e32 v72, 16, v139
	v_mul_u32_u24_e32 v71, 0x10001, v71
	v_and_b32_e32 v76, 0xffff, v140
	v_mul_u32_u24_e32 v70, 0x10001, v70
	v_and_b32_e32 v98, 0xffff, v141
	v_mul_u32_u24_e32 v75, 0x10001, v75
	v_mul_u32_u24_e32 v73, 0x10001, v73
	;; [unrolled: 1-line block ×6, first 2 shown]
	v_pk_fma_f16 v99, v134, v71, v99
	v_pk_fma_f16 v100, v134, v70, v100
	;; [unrolled: 1-line block ×5, first 2 shown]
	v_lshrrev_b32_e32 v65, 16, v142
	v_and_b32_e32 v66, 0xffff, v142
	v_pk_fma_f16 v104, v124, v73, v104
	v_pk_fma_f16 v10, v124, v74, v10
	;; [unrolled: 1-line block ×4, first 2 shown]
	v_lshrrev_b32_e32 v73, 16, v140
	v_lshrrev_b32_e32 v74, 16, v141
	v_pk_fma_f16 v101, v134, v75, v101
	v_pk_fma_f16 v102, v134, v72, v102
	;; [unrolled: 1-line block ×7, first 2 shown]
	v_lshrrev_b32_e32 v67, 16, v143
	v_lshrrev_b32_e32 v68, 16, v144
	v_mul_u32_u24_e32 v76, 0x10001, v66
	v_and_b32_e32 v66, 0xffff, v144
	v_mul_u32_u24_e32 v98, 0x10001, v65
	v_and_b32_e32 v65, 0xffff, v145
	v_mul_u32_u24_e32 v73, 0x10001, v73
	v_mul_u32_u24_e32 v74, 0x10001, v74
	;; [unrolled: 1-line block ×6, first 2 shown]
	s_wait_loadcnt 0x1
	ds_store_b128 v91, v[146:149]
	s_wait_loadcnt 0x0
	ds_store_b128 v92, v[150:153]
	s_wait_dscnt 0x0
	s_barrier_signal -1
	s_barrier_wait -1
	global_inv scope:SCOPE_SE
	ds_load_b128 v[65:68], v90 offset:512
	v_pk_fma_f16 v104, v134, v73, v104
	v_pk_fma_f16 v10, v134, v74, v10
	;; [unrolled: 1-line block ×4, first 2 shown]
	v_lshrrev_b32_e32 v73, 16, v145
	v_and_b32_e32 v74, 0xffff, v143
	v_pk_fma_f16 v109, v136, v76, v99
	v_pk_fma_f16 v110, v136, v98, v100
	v_pk_fma_f16 v112, v136, v105, v102
	v_mul_u32_u24_e32 v73, 0x10001, v73
	v_mul_u32_u24_e32 v74, 0x10001, v74
	v_pk_fma_f16 v113, v136, v106, v103
	v_pk_fma_f16 v114, v136, v107, v104
	;; [unrolled: 1-line block ×11, first 2 shown]
	ds_load_2addr_b64 v[69:72], v93 offset1:32
	ds_load_b128 v[73:76], v90 offset:528
	ds_load_b128 v[98:101], v90 offset:544
	;; [unrolled: 1-line block ×3, first 2 shown]
	v_pk_fma_f16 v61, v136, v108, v61
	v_pk_fma_f16 v63, v137, v108, v63
	s_wait_dscnt 0x4
	v_lshrrev_b32_e32 v108, 16, v65
	v_and_b32_e32 v65, 0xffff, v65
	v_lshrrev_b32_e32 v118, 16, v66
	v_lshrrev_b32_e32 v119, 16, v67
	;; [unrolled: 1-line block ×3, first 2 shown]
	v_and_b32_e32 v66, 0xffff, v66
	v_and_b32_e32 v67, 0xffff, v67
	;; [unrolled: 1-line block ×3, first 2 shown]
	v_mul_u32_u24_e32 v65, 0x10001, v65
	v_mul_u32_u24_e32 v108, 0x10001, v108
	;; [unrolled: 1-line block ×8, first 2 shown]
	s_wait_dscnt 0x3
	v_pk_fma_f16 v109, v69, v65, v109
	v_pk_fma_f16 v110, v69, v108, v110
	;; [unrolled: 1-line block ×16, first 2 shown]
	s_wait_dscnt 0x2
	v_lshrrev_b32_e32 v68, 16, v73
	v_and_b32_e32 v70, 0xffff, v73
	v_lshrrev_b32_e32 v73, 16, v74
	v_lshrrev_b32_e32 v107, 16, v75
	;; [unrolled: 1-line block ×3, first 2 shown]
	v_and_b32_e32 v74, 0xffff, v74
	v_and_b32_e32 v75, 0xffff, v75
	;; [unrolled: 1-line block ×3, first 2 shown]
	v_mul_u32_u24_e32 v70, 0x10001, v70
	v_mul_u32_u24_e32 v68, 0x10001, v68
	v_mul_u32_u24_e32 v74, 0x10001, v74
	v_mul_u32_u24_e32 v73, 0x10001, v73
	v_mul_u32_u24_e32 v75, 0x10001, v75
	v_mul_u32_u24_e32 v107, 0x10001, v107
	v_mul_u32_u24_e32 v76, 0x10001, v76
	v_mul_u32_u24_e32 v108, 0x10001, v108
	v_pk_fma_f16 v109, v71, v70, v109
	v_pk_fma_f16 v110, v71, v68, v110
	;; [unrolled: 1-line block ×13, first 2 shown]
	ds_load_2addr_b64 v[65:68], v93 offset0:64 offset1:96
	v_pk_fma_f16 v74, v72, v107, v106
	v_pk_fma_f16 v63, v72, v76, v63
	;; [unrolled: 1-line block ×3, first 2 shown]
	s_wait_dscnt 0x2
	v_lshrrev_b32_e32 v72, 16, v98
	v_lshrrev_b32_e32 v76, 16, v99
	v_and_b32_e32 v75, 0xffff, v98
	v_lshrrev_b32_e32 v98, 16, v100
	v_lshrrev_b32_e32 v106, 16, v101
	v_and_b32_e32 v99, 0xffff, v99
	v_and_b32_e32 v100, 0xffff, v100
	v_mul_u32_u24_e32 v72, 0x10001, v72
	v_and_b32_e32 v101, 0xffff, v101
	v_mul_u32_u24_e32 v76, 0x10001, v76
	v_mul_u32_u24_e32 v75, 0x10001, v75
	;; [unrolled: 1-line block ×7, first 2 shown]
	s_wait_dscnt 0x0
	v_pk_fma_f16 v108, v65, v72, v110
	v_pk_fma_f16 v110, v65, v76, v112
	v_pk_fma_f16 v76, v66, v76, v69
	v_and_b32_e32 v69, 0xffff, v102
	v_pk_fma_f16 v107, v65, v75, v109
	v_pk_fma_f16 v109, v65, v99, v111
	;; [unrolled: 1-line block ×9, first 2 shown]
	v_lshrrev_b32_e32 v70, 16, v103
	v_lshrrev_b32_e32 v71, 16, v104
	v_and_b32_e32 v72, 0xffff, v103
	v_mul_u32_u24_e32 v99, 0x10001, v69
	v_and_b32_e32 v69, 0xffff, v104
	v_pk_fma_f16 v73, v66, v100, v73
	v_pk_fma_f16 v74, v66, v98, v74
	v_pk_fma_f16 v63, v66, v101, v63
	v_pk_fma_f16 v9, v66, v106, v9
	v_lshrrev_b32_e32 v66, 16, v102
	v_lshrrev_b32_e32 v98, 16, v105
	v_and_b32_e32 v100, 0xffff, v105
	v_mul_u32_u24_e32 v101, 0x10001, v72
	v_mul_u32_u24_e32 v102, 0x10001, v70
	;; [unrolled: 1-line block ×4, first 2 shown]
	ds_load_b128 v[69:72], v90 offset:576
	v_mul_u32_u24_e32 v66, 0x10001, v66
	v_mul_u32_u24_e32 v100, 0x10001, v100
	;; [unrolled: 1-line block ×3, first 2 shown]
	v_pk_fma_f16 v105, v67, v99, v107
	v_pk_fma_f16 v107, v67, v101, v109
	;; [unrolled: 1-line block ×14, first 2 shown]
	ds_load_2addr_b64 v[73:76], v93 offset0:128 offset1:160
	v_pk_fma_f16 v63, v68, v100, v63
	v_pk_fma_f16 v9, v68, v98, v9
	ds_load_b128 v[65:68], v90 offset:592
	s_wait_dscnt 0x2
	v_lshrrev_b32_e32 v112, 16, v72
	v_and_b32_e32 v72, 0xffff, v72
	v_lshrrev_b32_e32 v98, 16, v69
	v_and_b32_e32 v69, 0xffff, v69
	v_lshrrev_b32_e32 v100, 16, v70
	v_lshrrev_b32_e32 v111, 16, v71
	v_and_b32_e32 v70, 0xffff, v70
	v_and_b32_e32 v71, 0xffff, v71
	v_mul_u32_u24_e32 v72, 0x10001, v72
	v_mul_u32_u24_e32 v69, 0x10001, v69
	;; [unrolled: 1-line block ×8, first 2 shown]
	s_wait_dscnt 0x1
	v_pk_fma_f16 v61, v73, v72, v61
	v_pk_fma_f16 v63, v74, v72, v63
	;; [unrolled: 1-line block ×3, first 2 shown]
	s_wait_dscnt 0x0
	v_lshrrev_b32_e32 v72, 16, v65
	v_and_b32_e32 v65, 0xffff, v65
	v_pk_fma_f16 v106, v73, v98, v106
	v_pk_fma_f16 v107, v73, v70, v107
	;; [unrolled: 1-line block ×13, first 2 shown]
	v_lshrrev_b32_e32 v74, 16, v66
	v_lshrrev_b32_e32 v99, 16, v67
	v_and_b32_e32 v66, 0xffff, v66
	v_mul_u32_u24_e32 v101, 0x10001, v65
	v_and_b32_e32 v65, 0xffff, v67
	v_and_b32_e32 v67, 0xffff, v68
	v_lshrrev_b32_e32 v100, 16, v68
	v_mul_u32_u24_e32 v102, 0x10001, v66
	v_mul_u32_u24_e32 v72, 0x10001, v72
	;; [unrolled: 1-line block ×4, first 2 shown]
	ds_load_b128 v[65:68], v90 offset:608
	v_mul_u32_u24_e32 v74, 0x10001, v74
	v_mul_u32_u24_e32 v99, 0x10001, v99
	;; [unrolled: 1-line block ×3, first 2 shown]
	v_pk_fma_f16 v105, v75, v101, v105
	v_pk_fma_f16 v106, v75, v72, v106
	;; [unrolled: 1-line block ×14, first 2 shown]
	ds_load_2addr_b64 v[69:72], v93 offset0:192 offset1:224
	v_pk_fma_f16 v63, v76, v104, v63
	v_pk_fma_f16 v9, v76, v100, v9
	ds_load_b128 v[73:76], v90 offset:624
	s_wait_dscnt 0x2
	v_lshrrev_b32_e32 v99, 16, v65
	v_and_b32_e32 v65, 0xffff, v65
	v_lshrrev_b32_e32 v100, 16, v66
	v_lshrrev_b32_e32 v104, 16, v67
	;; [unrolled: 1-line block ×3, first 2 shown]
	v_and_b32_e32 v66, 0xffff, v66
	v_and_b32_e32 v67, 0xffff, v67
	v_and_b32_e32 v68, 0xffff, v68
	v_mul_u32_u24_e32 v65, 0x10001, v65
	v_mul_u32_u24_e32 v99, 0x10001, v99
	;; [unrolled: 1-line block ×8, first 2 shown]
	s_wait_dscnt 0x1
	v_pk_fma_f16 v105, v69, v65, v105
	v_pk_fma_f16 v106, v69, v99, v106
	;; [unrolled: 1-line block ×11, first 2 shown]
	s_wait_dscnt 0x0
	v_lshrrev_b32_e32 v65, 16, v73
	v_and_b32_e32 v66, 0xffff, v73
	v_pk_fma_f16 v101, v70, v67, v103
	v_pk_fma_f16 v63, v70, v68, v63
	v_lshrrev_b32_e32 v67, 16, v74
	v_lshrrev_b32_e32 v68, 16, v75
	v_and_b32_e32 v73, 0xffff, v74
	v_mul_u32_u24_e32 v74, 0x10001, v66
	v_and_b32_e32 v66, 0xffff, v75
	v_mul_u32_u24_e32 v75, 0x10001, v65
	v_and_b32_e32 v65, 0xffff, v76
	v_pk_fma_f16 v100, v70, v100, v111
	v_pk_fma_f16 v98, v70, v104, v98
	;; [unrolled: 1-line block ×3, first 2 shown]
	v_lshrrev_b32_e32 v70, 16, v76
	v_mul_u32_u24_e32 v76, 0x10001, v67
	v_mul_u32_u24_e32 v102, 0x10001, v66
	;; [unrolled: 1-line block ×4, first 2 shown]
	ds_load_b128 v[65:68], v90 offset:640
	v_mul_u32_u24_e32 v73, 0x10001, v73
	v_mul_u32_u24_e32 v70, 0x10001, v70
	v_pk_fma_f16 v105, v71, v74, v105
	v_pk_fma_f16 v106, v71, v75, v106
	;; [unrolled: 1-line block ×14, first 2 shown]
	ds_load_2addr_b64 v[73:76], v57 offset1:32
	v_pk_fma_f16 v63, v72, v104, v63
	v_pk_fma_f16 v9, v72, v70, v9
	ds_load_b128 v[69:72], v90 offset:656
	s_wait_dscnt 0x2
	v_lshrrev_b32_e32 v102, 16, v65
	v_and_b32_e32 v65, 0xffff, v65
	v_lshrrev_b32_e32 v103, 16, v66
	v_lshrrev_b32_e32 v104, 16, v67
	;; [unrolled: 1-line block ×3, first 2 shown]
	v_and_b32_e32 v66, 0xffff, v66
	v_and_b32_e32 v67, 0xffff, v67
	;; [unrolled: 1-line block ×3, first 2 shown]
	v_mul_u32_u24_e32 v65, 0x10001, v65
	v_mul_u32_u24_e32 v102, 0x10001, v102
	;; [unrolled: 1-line block ×8, first 2 shown]
	s_wait_dscnt 0x1
	v_pk_fma_f16 v105, v73, v65, v105
	v_pk_fma_f16 v106, v73, v102, v106
	;; [unrolled: 1-line block ×10, first 2 shown]
	s_wait_dscnt 0x0
	v_lshrrev_b32_e32 v65, 16, v69
	v_and_b32_e32 v66, 0xffff, v69
	v_pk_fma_f16 v11, v74, v102, v11
	v_pk_fma_f16 v100, v74, v103, v100
	;; [unrolled: 1-line block ×6, first 2 shown]
	v_lshrrev_b32_e32 v67, 16, v70
	v_lshrrev_b32_e32 v68, 16, v71
	v_mul_u32_u24_e32 v74, 0x10001, v66
	v_and_b32_e32 v66, 0xffff, v71
	v_mul_u32_u24_e32 v71, 0x10001, v65
	v_and_b32_e32 v65, 0xffff, v72
	v_lshrrev_b32_e32 v69, 16, v72
	v_and_b32_e32 v70, 0xffff, v70
	v_mul_u32_u24_e32 v72, 0x10001, v67
	v_mul_u32_u24_e32 v102, 0x10001, v66
	v_mul_u32_u24_e32 v103, 0x10001, v68
	v_mul_u32_u24_e32 v104, 0x10001, v65
	ds_load_b128 v[65:68], v90 offset:672
	v_mul_u32_u24_e32 v70, 0x10001, v70
	v_mul_u32_u24_e32 v111, 0x10001, v69
	v_pk_fma_f16 v105, v75, v74, v105
	v_pk_fma_f16 v106, v75, v71, v106
	;; [unrolled: 1-line block ×14, first 2 shown]
	ds_load_2addr_b64 v[69:72], v57 offset0:64 offset1:96
	v_pk_fma_f16 v63, v76, v104, v63
	v_pk_fma_f16 v9, v76, v111, v9
	ds_load_b128 v[73:76], v90 offset:688
	s_wait_dscnt 0x2
	v_lshrrev_b32_e32 v102, 16, v65
	v_and_b32_e32 v65, 0xffff, v65
	v_lshrrev_b32_e32 v103, 16, v66
	v_lshrrev_b32_e32 v104, 16, v67
	;; [unrolled: 1-line block ×3, first 2 shown]
	v_and_b32_e32 v66, 0xffff, v66
	v_and_b32_e32 v67, 0xffff, v67
	;; [unrolled: 1-line block ×3, first 2 shown]
	v_mul_u32_u24_e32 v65, 0x10001, v65
	v_mul_u32_u24_e32 v102, 0x10001, v102
	;; [unrolled: 1-line block ×8, first 2 shown]
	s_wait_dscnt 0x1
	v_pk_fma_f16 v105, v69, v65, v105
	v_pk_fma_f16 v106, v69, v102, v106
	;; [unrolled: 1-line block ×10, first 2 shown]
	s_wait_dscnt 0x0
	v_lshrrev_b32_e32 v65, 16, v73
	v_and_b32_e32 v66, 0xffff, v73
	v_pk_fma_f16 v101, v70, v67, v101
	v_pk_fma_f16 v63, v70, v68, v63
	v_lshrrev_b32_e32 v67, 16, v74
	v_lshrrev_b32_e32 v68, 16, v75
	v_and_b32_e32 v73, 0xffff, v74
	v_mul_u32_u24_e32 v74, 0x10001, v66
	v_and_b32_e32 v66, 0xffff, v75
	v_mul_u32_u24_e32 v75, 0x10001, v65
	v_and_b32_e32 v65, 0xffff, v76
	v_pk_fma_f16 v11, v70, v102, v11
	v_pk_fma_f16 v100, v70, v103, v100
	;; [unrolled: 1-line block ×4, first 2 shown]
	v_lshrrev_b32_e32 v70, 16, v76
	v_mul_u32_u24_e32 v76, 0x10001, v67
	v_mul_u32_u24_e32 v102, 0x10001, v66
	;; [unrolled: 1-line block ×4, first 2 shown]
	ds_load_b128 v[65:68], v90 offset:704
	v_mul_u32_u24_e32 v73, 0x10001, v73
	v_mul_u32_u24_e32 v70, 0x10001, v70
	v_pk_fma_f16 v105, v71, v74, v105
	v_pk_fma_f16 v106, v71, v75, v106
	;; [unrolled: 1-line block ×14, first 2 shown]
	ds_load_2addr_b64 v[73:76], v57 offset0:128 offset1:160
	v_pk_fma_f16 v63, v72, v104, v63
	v_pk_fma_f16 v9, v72, v70, v9
	ds_load_b128 v[69:72], v90 offset:720
	s_wait_dscnt 0x2
	v_lshrrev_b32_e32 v102, 16, v65
	v_and_b32_e32 v65, 0xffff, v65
	v_lshrrev_b32_e32 v103, 16, v66
	v_lshrrev_b32_e32 v104, 16, v67
	v_lshrrev_b32_e32 v112, 16, v68
	v_and_b32_e32 v66, 0xffff, v66
	v_and_b32_e32 v67, 0xffff, v67
	;; [unrolled: 1-line block ×3, first 2 shown]
	v_mul_u32_u24_e32 v65, 0x10001, v65
	v_mul_u32_u24_e32 v102, 0x10001, v102
	;; [unrolled: 1-line block ×8, first 2 shown]
	s_wait_dscnt 0x1
	v_pk_fma_f16 v105, v73, v65, v105
	v_pk_fma_f16 v106, v73, v102, v106
	;; [unrolled: 1-line block ×10, first 2 shown]
	s_wait_dscnt 0x0
	v_lshrrev_b32_e32 v65, 16, v69
	v_and_b32_e32 v66, 0xffff, v69
	v_pk_fma_f16 v11, v74, v102, v11
	v_pk_fma_f16 v100, v74, v103, v100
	;; [unrolled: 1-line block ×6, first 2 shown]
	v_lshrrev_b32_e32 v67, 16, v70
	v_lshrrev_b32_e32 v68, 16, v71
	v_mul_u32_u24_e32 v74, 0x10001, v66
	v_and_b32_e32 v66, 0xffff, v71
	v_mul_u32_u24_e32 v71, 0x10001, v65
	v_and_b32_e32 v65, 0xffff, v72
	v_lshrrev_b32_e32 v69, 16, v72
	v_and_b32_e32 v70, 0xffff, v70
	v_mul_u32_u24_e32 v72, 0x10001, v67
	v_mul_u32_u24_e32 v102, 0x10001, v66
	;; [unrolled: 1-line block ×4, first 2 shown]
	ds_load_b128 v[65:68], v90 offset:736
	v_mul_u32_u24_e32 v70, 0x10001, v70
	v_mul_u32_u24_e32 v111, 0x10001, v69
	v_pk_fma_f16 v105, v75, v74, v105
	v_pk_fma_f16 v106, v75, v71, v106
	;; [unrolled: 1-line block ×14, first 2 shown]
	ds_load_2addr_b64 v[69:72], v57 offset0:192 offset1:224
	v_pk_fma_f16 v57, v76, v104, v63
	v_pk_fma_f16 v9, v76, v111, v9
	ds_load_b128 v[73:76], v90 offset:752
	s_wait_dscnt 0x2
	v_lshrrev_b32_e32 v63, 16, v65
	v_and_b32_e32 v65, 0xffff, v65
	v_lshrrev_b32_e32 v102, 16, v66
	v_lshrrev_b32_e32 v103, 16, v67
	;; [unrolled: 1-line block ×3, first 2 shown]
	v_and_b32_e32 v66, 0xffff, v66
	v_and_b32_e32 v67, 0xffff, v67
	;; [unrolled: 1-line block ×3, first 2 shown]
	v_mul_u32_u24_e32 v65, 0x10001, v65
	v_mul_u32_u24_e32 v63, 0x10001, v63
	;; [unrolled: 1-line block ×8, first 2 shown]
	s_wait_dscnt 0x1
	v_pk_fma_f16 v105, v69, v65, v105
	v_pk_fma_f16 v106, v69, v63, v106
	;; [unrolled: 1-line block ×11, first 2 shown]
	s_wait_dscnt 0x0
	v_lshrrev_b32_e32 v65, 16, v73
	v_and_b32_e32 v66, 0xffff, v73
	v_pk_fma_f16 v99, v70, v102, v100
	v_pk_fma_f16 v100, v70, v67, v101
	;; [unrolled: 1-line block ×3, first 2 shown]
	v_lshrrev_b32_e32 v67, 16, v74
	v_lshrrev_b32_e32 v68, 16, v75
	v_and_b32_e32 v73, 0xffff, v74
	v_mul_u32_u24_e32 v74, 0x10001, v66
	v_and_b32_e32 v66, 0xffff, v75
	v_mul_u32_u24_e32 v75, 0x10001, v65
	v_and_b32_e32 v65, 0xffff, v76
	v_pk_fma_f16 v98, v70, v103, v98
	v_pk_fma_f16 v9, v70, v104, v9
	v_lshrrev_b32_e32 v70, 16, v76
	v_mul_u32_u24_e32 v76, 0x10001, v67
	v_mul_u32_u24_e32 v101, 0x10001, v66
	;; [unrolled: 1-line block ×4, first 2 shown]
	ds_load_b128 v[65:68], v90 offset:768
	v_mul_u32_u24_e32 v73, 0x10001, v73
	v_mul_u32_u24_e32 v70, 0x10001, v70
	v_pk_fma_f16 v104, v71, v74, v105
	v_pk_fma_f16 v105, v71, v75, v106
	v_pk_fma_f16 v61, v71, v103, v61
	v_pk_fma_f16 v106, v71, v73, v107
	v_pk_fma_f16 v107, v71, v76, v108
	v_pk_fma_f16 v108, v71, v101, v109
	v_pk_fma_f16 v109, v71, v102, v110
	v_pk_fma_f16 v10, v71, v70, v10
	v_pk_fma_f16 v110, v72, v74, v69
	v_pk_fma_f16 v11, v72, v75, v11
	v_pk_fma_f16 v63, v72, v73, v63
	v_pk_fma_f16 v99, v72, v76, v99
	v_pk_fma_f16 v100, v72, v101, v100
	v_pk_fma_f16 v98, v72, v102, v98
	ds_load_2addr_b64 v[73:76], v59 offset1:32
	v_pk_fma_f16 v57, v72, v103, v57
	v_pk_fma_f16 v9, v72, v70, v9
	ds_load_b128 v[69:72], v90 offset:784
	s_wait_dscnt 0x2
	v_lshrrev_b32_e32 v101, 16, v65
	v_and_b32_e32 v65, 0xffff, v65
	v_lshrrev_b32_e32 v102, 16, v66
	v_lshrrev_b32_e32 v103, 16, v67
	;; [unrolled: 1-line block ×3, first 2 shown]
	v_and_b32_e32 v66, 0xffff, v66
	v_and_b32_e32 v67, 0xffff, v67
	;; [unrolled: 1-line block ×3, first 2 shown]
	v_mul_u32_u24_e32 v65, 0x10001, v65
	v_mul_u32_u24_e32 v101, 0x10001, v101
	v_mul_u32_u24_e32 v66, 0x10001, v66
	v_mul_u32_u24_e32 v102, 0x10001, v102
	v_mul_u32_u24_e32 v67, 0x10001, v67
	v_mul_u32_u24_e32 v103, 0x10001, v103
	v_mul_u32_u24_e32 v68, 0x10001, v68
	v_mul_u32_u24_e32 v111, 0x10001, v111
	s_wait_dscnt 0x1
	v_pk_fma_f16 v104, v73, v65, v104
	v_pk_fma_f16 v105, v73, v101, v105
	;; [unrolled: 1-line block ×10, first 2 shown]
	s_wait_dscnt 0x0
	v_lshrrev_b32_e32 v65, 16, v69
	v_and_b32_e32 v66, 0xffff, v69
	v_pk_fma_f16 v11, v74, v101, v11
	v_pk_fma_f16 v99, v74, v102, v99
	;; [unrolled: 1-line block ×6, first 2 shown]
	v_lshrrev_b32_e32 v67, 16, v70
	v_lshrrev_b32_e32 v68, 16, v71
	v_mul_u32_u24_e32 v74, 0x10001, v66
	v_and_b32_e32 v66, 0xffff, v71
	v_mul_u32_u24_e32 v71, 0x10001, v65
	v_and_b32_e32 v65, 0xffff, v72
	v_lshrrev_b32_e32 v69, 16, v72
	v_and_b32_e32 v70, 0xffff, v70
	v_mul_u32_u24_e32 v72, 0x10001, v67
	v_mul_u32_u24_e32 v101, 0x10001, v66
	;; [unrolled: 1-line block ×4, first 2 shown]
	ds_load_b128 v[65:68], v90 offset:800
	v_mul_u32_u24_e32 v70, 0x10001, v70
	v_mul_u32_u24_e32 v110, 0x10001, v69
	v_pk_fma_f16 v104, v75, v74, v104
	v_pk_fma_f16 v105, v75, v71, v105
	;; [unrolled: 1-line block ×14, first 2 shown]
	ds_load_2addr_b64 v[69:72], v59 offset0:64 offset1:96
	v_pk_fma_f16 v57, v76, v103, v57
	v_pk_fma_f16 v9, v76, v110, v9
	ds_load_b128 v[73:76], v90 offset:816
	s_wait_dscnt 0x2
	v_lshrrev_b32_e32 v101, 16, v65
	v_and_b32_e32 v65, 0xffff, v65
	v_lshrrev_b32_e32 v102, 16, v66
	v_lshrrev_b32_e32 v103, 16, v67
	;; [unrolled: 1-line block ×3, first 2 shown]
	v_and_b32_e32 v66, 0xffff, v66
	v_and_b32_e32 v67, 0xffff, v67
	;; [unrolled: 1-line block ×3, first 2 shown]
	v_mul_u32_u24_e32 v65, 0x10001, v65
	v_mul_u32_u24_e32 v101, 0x10001, v101
	;; [unrolled: 1-line block ×8, first 2 shown]
	s_wait_dscnt 0x1
	v_pk_fma_f16 v104, v69, v65, v104
	v_pk_fma_f16 v105, v69, v101, v105
	;; [unrolled: 1-line block ×10, first 2 shown]
	s_wait_dscnt 0x0
	v_lshrrev_b32_e32 v65, 16, v73
	v_and_b32_e32 v66, 0xffff, v73
	v_pk_fma_f16 v100, v70, v67, v100
	v_pk_fma_f16 v57, v70, v68, v57
	v_lshrrev_b32_e32 v67, 16, v74
	v_lshrrev_b32_e32 v68, 16, v75
	v_and_b32_e32 v73, 0xffff, v74
	v_mul_u32_u24_e32 v74, 0x10001, v66
	v_and_b32_e32 v66, 0xffff, v75
	v_mul_u32_u24_e32 v75, 0x10001, v65
	v_and_b32_e32 v65, 0xffff, v76
	v_pk_fma_f16 v11, v70, v101, v11
	v_pk_fma_f16 v99, v70, v102, v99
	;; [unrolled: 1-line block ×4, first 2 shown]
	v_lshrrev_b32_e32 v70, 16, v76
	v_mul_u32_u24_e32 v76, 0x10001, v67
	v_mul_u32_u24_e32 v101, 0x10001, v66
	v_mul_u32_u24_e32 v102, 0x10001, v68
	v_mul_u32_u24_e32 v103, 0x10001, v65
	ds_load_b128 v[65:68], v90 offset:832
	v_mul_u32_u24_e32 v73, 0x10001, v73
	v_mul_u32_u24_e32 v70, 0x10001, v70
	v_pk_fma_f16 v104, v71, v74, v104
	v_pk_fma_f16 v105, v71, v75, v105
	;; [unrolled: 1-line block ×14, first 2 shown]
	ds_load_2addr_b64 v[73:76], v59 offset0:128 offset1:160
	v_pk_fma_f16 v57, v72, v103, v57
	v_pk_fma_f16 v9, v72, v70, v9
	ds_load_b128 v[69:72], v90 offset:848
	s_wait_dscnt 0x2
	v_lshrrev_b32_e32 v101, 16, v65
	v_and_b32_e32 v65, 0xffff, v65
	v_lshrrev_b32_e32 v102, 16, v66
	v_lshrrev_b32_e32 v103, 16, v67
	;; [unrolled: 1-line block ×3, first 2 shown]
	v_and_b32_e32 v66, 0xffff, v66
	v_and_b32_e32 v67, 0xffff, v67
	;; [unrolled: 1-line block ×3, first 2 shown]
	v_mul_u32_u24_e32 v65, 0x10001, v65
	v_mul_u32_u24_e32 v101, 0x10001, v101
	;; [unrolled: 1-line block ×8, first 2 shown]
	s_wait_dscnt 0x1
	v_pk_fma_f16 v104, v73, v65, v104
	v_pk_fma_f16 v105, v73, v101, v105
	;; [unrolled: 1-line block ×10, first 2 shown]
	s_wait_dscnt 0x0
	v_lshrrev_b32_e32 v65, 16, v69
	v_and_b32_e32 v66, 0xffff, v69
	v_pk_fma_f16 v11, v74, v101, v11
	v_pk_fma_f16 v99, v74, v102, v99
	;; [unrolled: 1-line block ×6, first 2 shown]
	v_lshrrev_b32_e32 v67, 16, v70
	v_lshrrev_b32_e32 v68, 16, v71
	v_mul_u32_u24_e32 v74, 0x10001, v66
	v_and_b32_e32 v66, 0xffff, v71
	v_mul_u32_u24_e32 v71, 0x10001, v65
	v_and_b32_e32 v65, 0xffff, v72
	v_lshrrev_b32_e32 v69, 16, v72
	v_and_b32_e32 v70, 0xffff, v70
	v_mul_u32_u24_e32 v72, 0x10001, v67
	v_mul_u32_u24_e32 v101, 0x10001, v66
	v_mul_u32_u24_e32 v102, 0x10001, v68
	v_mul_u32_u24_e32 v103, 0x10001, v65
	ds_load_b128 v[65:68], v90 offset:864
	v_mul_u32_u24_e32 v70, 0x10001, v70
	v_mul_u32_u24_e32 v110, 0x10001, v69
	v_pk_fma_f16 v104, v75, v74, v104
	v_pk_fma_f16 v105, v75, v71, v105
	;; [unrolled: 1-line block ×14, first 2 shown]
	ds_load_2addr_b64 v[69:72], v59 offset0:192 offset1:224
	v_pk_fma_f16 v57, v76, v103, v57
	v_pk_fma_f16 v9, v76, v110, v9
	ds_load_b128 v[73:76], v90 offset:880
	s_wait_dscnt 0x2
	v_lshrrev_b32_e32 v59, 16, v65
	v_and_b32_e32 v65, 0xffff, v65
	v_lshrrev_b32_e32 v101, 16, v66
	v_lshrrev_b32_e32 v102, 16, v67
	;; [unrolled: 1-line block ×3, first 2 shown]
	v_and_b32_e32 v66, 0xffff, v66
	v_and_b32_e32 v67, 0xffff, v67
	;; [unrolled: 1-line block ×3, first 2 shown]
	v_mul_u32_u24_e32 v65, 0x10001, v65
	v_mul_u32_u24_e32 v59, 0x10001, v59
	;; [unrolled: 1-line block ×8, first 2 shown]
	s_wait_dscnt 0x1
	v_pk_fma_f16 v104, v69, v65, v104
	v_pk_fma_f16 v105, v69, v59, v105
	;; [unrolled: 1-line block ×11, first 2 shown]
	s_wait_dscnt 0x0
	v_lshrrev_b32_e32 v65, 16, v73
	v_and_b32_e32 v66, 0xffff, v73
	v_pk_fma_f16 v63, v70, v101, v99
	v_pk_fma_f16 v99, v70, v67, v100
	;; [unrolled: 1-line block ×3, first 2 shown]
	v_lshrrev_b32_e32 v67, 16, v74
	v_lshrrev_b32_e32 v68, 16, v75
	v_and_b32_e32 v73, 0xffff, v74
	v_mul_u32_u24_e32 v74, 0x10001, v66
	v_and_b32_e32 v66, 0xffff, v75
	v_mul_u32_u24_e32 v75, 0x10001, v65
	v_and_b32_e32 v65, 0xffff, v76
	v_pk_fma_f16 v98, v70, v102, v98
	v_pk_fma_f16 v9, v70, v103, v9
	v_lshrrev_b32_e32 v70, 16, v76
	v_mul_u32_u24_e32 v76, 0x10001, v67
	v_mul_u32_u24_e32 v100, 0x10001, v66
	;; [unrolled: 1-line block ×4, first 2 shown]
	ds_load_b128 v[65:68], v90 offset:896
	v_mul_u32_u24_e32 v73, 0x10001, v73
	v_mul_u32_u24_e32 v70, 0x10001, v70
	v_pk_fma_f16 v103, v71, v74, v104
	v_pk_fma_f16 v104, v71, v75, v105
	v_pk_fma_f16 v61, v71, v102, v61
	v_pk_fma_f16 v105, v71, v73, v106
	v_pk_fma_f16 v106, v71, v76, v107
	v_pk_fma_f16 v107, v71, v100, v108
	v_pk_fma_f16 v108, v71, v101, v109
	v_pk_fma_f16 v10, v71, v70, v10
	v_pk_fma_f16 v109, v72, v74, v69
	v_pk_fma_f16 v11, v72, v75, v11
	v_pk_fma_f16 v59, v72, v73, v59
	v_pk_fma_f16 v63, v72, v76, v63
	v_pk_fma_f16 v99, v72, v100, v99
	v_pk_fma_f16 v98, v72, v101, v98
	ds_load_2addr_b64 v[73:76], v8 offset1:32
	v_pk_fma_f16 v57, v72, v102, v57
	v_pk_fma_f16 v9, v72, v70, v9
	ds_load_b128 v[69:72], v90 offset:912
	s_wait_dscnt 0x2
	v_lshrrev_b32_e32 v100, 16, v65
	v_and_b32_e32 v65, 0xffff, v65
	v_lshrrev_b32_e32 v101, 16, v66
	v_lshrrev_b32_e32 v102, 16, v67
	;; [unrolled: 1-line block ×3, first 2 shown]
	v_and_b32_e32 v66, 0xffff, v66
	v_and_b32_e32 v67, 0xffff, v67
	;; [unrolled: 1-line block ×3, first 2 shown]
	v_mul_u32_u24_e32 v65, 0x10001, v65
	v_mul_u32_u24_e32 v100, 0x10001, v100
	;; [unrolled: 1-line block ×8, first 2 shown]
	s_wait_dscnt 0x1
	v_pk_fma_f16 v103, v73, v65, v103
	v_pk_fma_f16 v104, v73, v100, v104
	v_pk_fma_f16 v105, v73, v66, v105
	v_pk_fma_f16 v106, v73, v101, v106
	v_pk_fma_f16 v107, v73, v67, v107
	v_pk_fma_f16 v108, v73, v102, v108
	v_pk_fma_f16 v61, v73, v68, v61
	v_pk_fma_f16 v10, v73, v110, v10
	v_pk_fma_f16 v73, v74, v65, v109
	v_pk_fma_f16 v59, v74, v66, v59
	s_wait_dscnt 0x0
	v_lshrrev_b32_e32 v65, 16, v69
	v_and_b32_e32 v66, 0xffff, v69
	v_pk_fma_f16 v11, v74, v100, v11
	v_pk_fma_f16 v63, v74, v101, v63
	;; [unrolled: 1-line block ×6, first 2 shown]
	v_lshrrev_b32_e32 v67, 16, v70
	v_lshrrev_b32_e32 v68, 16, v71
	v_mul_u32_u24_e32 v74, 0x10001, v66
	v_and_b32_e32 v66, 0xffff, v71
	v_mul_u32_u24_e32 v71, 0x10001, v65
	v_and_b32_e32 v65, 0xffff, v72
	v_lshrrev_b32_e32 v69, 16, v72
	v_and_b32_e32 v70, 0xffff, v70
	v_mul_u32_u24_e32 v72, 0x10001, v67
	v_mul_u32_u24_e32 v100, 0x10001, v66
	;; [unrolled: 1-line block ×4, first 2 shown]
	ds_load_b128 v[65:68], v90 offset:928
	v_mul_u32_u24_e32 v70, 0x10001, v70
	v_mul_u32_u24_e32 v109, 0x10001, v69
	v_pk_fma_f16 v103, v75, v74, v103
	v_pk_fma_f16 v104, v75, v71, v104
	;; [unrolled: 1-line block ×14, first 2 shown]
	ds_load_2addr_b64 v[69:72], v8 offset0:64 offset1:96
	v_pk_fma_f16 v57, v76, v102, v57
	v_pk_fma_f16 v9, v76, v109, v9
	ds_load_b128 v[73:76], v90 offset:944
	s_wait_dscnt 0x2
	v_lshrrev_b32_e32 v100, 16, v65
	v_and_b32_e32 v65, 0xffff, v65
	v_lshrrev_b32_e32 v101, 16, v66
	v_lshrrev_b32_e32 v102, 16, v67
	;; [unrolled: 1-line block ×3, first 2 shown]
	v_and_b32_e32 v66, 0xffff, v66
	v_and_b32_e32 v67, 0xffff, v67
	;; [unrolled: 1-line block ×3, first 2 shown]
	v_mul_u32_u24_e32 v65, 0x10001, v65
	v_mul_u32_u24_e32 v100, 0x10001, v100
	;; [unrolled: 1-line block ×8, first 2 shown]
	s_wait_dscnt 0x1
	v_pk_fma_f16 v103, v69, v65, v103
	v_pk_fma_f16 v104, v69, v100, v104
	v_pk_fma_f16 v105, v69, v66, v105
	v_pk_fma_f16 v106, v69, v101, v106
	v_pk_fma_f16 v107, v69, v67, v107
	v_pk_fma_f16 v108, v69, v102, v108
	v_pk_fma_f16 v61, v69, v68, v61
	v_pk_fma_f16 v10, v69, v109, v10
	v_pk_fma_f16 v69, v70, v65, v110
	v_pk_fma_f16 v59, v70, v66, v59
	s_wait_dscnt 0x0
	v_lshrrev_b32_e32 v65, 16, v73
	v_and_b32_e32 v66, 0xffff, v73
	v_pk_fma_f16 v99, v70, v67, v99
	v_pk_fma_f16 v57, v70, v68, v57
	v_lshrrev_b32_e32 v67, 16, v74
	v_lshrrev_b32_e32 v68, 16, v75
	v_and_b32_e32 v73, 0xffff, v74
	v_mul_u32_u24_e32 v74, 0x10001, v66
	v_and_b32_e32 v66, 0xffff, v75
	v_mul_u32_u24_e32 v75, 0x10001, v65
	v_and_b32_e32 v65, 0xffff, v76
	v_pk_fma_f16 v11, v70, v100, v11
	v_pk_fma_f16 v63, v70, v101, v63
	;; [unrolled: 1-line block ×4, first 2 shown]
	v_lshrrev_b32_e32 v70, 16, v76
	v_mul_u32_u24_e32 v76, 0x10001, v67
	v_mul_u32_u24_e32 v100, 0x10001, v66
	;; [unrolled: 1-line block ×4, first 2 shown]
	ds_load_b128 v[65:68], v90 offset:960
	v_mul_u32_u24_e32 v73, 0x10001, v73
	v_mul_u32_u24_e32 v70, 0x10001, v70
	v_pk_fma_f16 v103, v71, v74, v103
	v_pk_fma_f16 v104, v71, v75, v104
	;; [unrolled: 1-line block ×14, first 2 shown]
	ds_load_2addr_b64 v[73:76], v8 offset0:128 offset1:160
	v_pk_fma_f16 v57, v72, v102, v57
	v_pk_fma_f16 v9, v72, v70, v9
	ds_load_b128 v[69:72], v90 offset:976
	s_wait_dscnt 0x2
	v_lshrrev_b32_e32 v100, 16, v65
	v_and_b32_e32 v65, 0xffff, v65
	v_lshrrev_b32_e32 v101, 16, v66
	v_lshrrev_b32_e32 v102, 16, v67
	;; [unrolled: 1-line block ×3, first 2 shown]
	v_and_b32_e32 v66, 0xffff, v66
	v_and_b32_e32 v67, 0xffff, v67
	;; [unrolled: 1-line block ×3, first 2 shown]
	v_mul_u32_u24_e32 v65, 0x10001, v65
	v_mul_u32_u24_e32 v100, 0x10001, v100
	;; [unrolled: 1-line block ×8, first 2 shown]
	s_wait_dscnt 0x1
	v_pk_fma_f16 v103, v73, v65, v103
	v_pk_fma_f16 v104, v73, v100, v104
	;; [unrolled: 1-line block ×9, first 2 shown]
	s_wait_dscnt 0x0
	v_and_b32_e32 v65, 0xffff, v69
	v_pk_fma_f16 v59, v74, v66, v59
	v_pk_fma_f16 v99, v74, v67, v99
	;; [unrolled: 1-line block ×3, first 2 shown]
	v_lshrrev_b32_e32 v66, 16, v70
	v_lshrrev_b32_e32 v67, 16, v71
	v_and_b32_e32 v68, 0xffff, v70
	v_mul_u32_u24_e32 v70, 0x10001, v65
	v_and_b32_e32 v65, 0xffff, v71
	v_pk_fma_f16 v11, v74, v100, v11
	v_pk_fma_f16 v63, v74, v101, v63
	;; [unrolled: 1-line block ×4, first 2 shown]
	v_lshrrev_b32_e32 v9, 16, v69
	v_lshrrev_b32_e32 v69, 16, v72
	v_and_b32_e32 v71, 0xffff, v72
	v_mul_u32_u24_e32 v72, 0x10001, v68
	v_mul_u32_u24_e32 v100, 0x10001, v66
	;; [unrolled: 1-line block ×4, first 2 shown]
	ds_load_b128 v[65:68], v90 offset:992
	v_mul_u32_u24_e32 v9, 0x10001, v9
	v_mul_u32_u24_e32 v71, 0x10001, v71
	;; [unrolled: 1-line block ×3, first 2 shown]
	v_pk_fma_f16 v103, v75, v70, v103
	v_pk_fma_f16 v105, v75, v72, v105
	;; [unrolled: 1-line block ×11, first 2 shown]
	ds_load_2addr_b64 v[8:11], v8 offset0:192 offset1:224
	v_pk_fma_f16 v57, v76, v71, v57
	v_pk_fma_f16 v74, v76, v69, v74
	ds_load_b128 v[69:72], v90 offset:1008
	v_pk_fma_f16 v63, v76, v100, v63
	v_pk_fma_f16 v99, v76, v101, v99
	;; [unrolled: 1-line block ×3, first 2 shown]
	s_wait_dscnt 0x2
	v_lshrrev_b32_e32 v76, 16, v65
	v_and_b32_e32 v65, 0xffff, v65
	v_lshrrev_b32_e32 v100, 16, v66
	v_and_b32_e32 v66, 0xffff, v66
	s_wait_loadcnt_dscnt 0x0
	s_barrier_signal -1
	s_barrier_wait -1
	global_inv scope:SCOPE_SE
	s_load_b32 s11, s[6:7], 0x4
	v_lshrrev_b32_e32 v101, 16, v67
	v_lshrrev_b32_e32 v102, 16, v68
	v_mul_u32_u24_e32 v65, 0x10001, v65
	v_and_b32_e32 v67, 0xffff, v67
	v_and_b32_e32 v68, 0xffff, v68
	v_mul_u32_u24_e32 v66, 0x10001, v66
	v_mul_u32_u24_e32 v76, 0x10001, v76
	;; [unrolled: 1-line block ×7, first 2 shown]
	v_pk_fma_f16 v103, v8, v65, v103
	v_pk_fma_f16 v105, v8, v66, v105
	;; [unrolled: 1-line block ×4, first 2 shown]
	v_lshrrev_b32_e32 v59, 16, v69
	v_and_b32_e32 v65, 0xffff, v69
	v_pk_fma_f16 v106, v8, v100, v106
	v_pk_fma_f16 v107, v8, v67, v107
	;; [unrolled: 1-line block ×9, first 2 shown]
	v_lshrrev_b32_e32 v67, 16, v70
	v_and_b32_e32 v68, 0xffff, v70
	v_lshrrev_b32_e32 v69, 16, v71
	v_lshrrev_b32_e32 v70, 16, v72
	v_mul_u32_u24_e32 v74, 0x10001, v65
	v_mul_u32_u24_e32 v100, 0x10001, v59
	v_and_b32_e32 v59, 0xffff, v71
	v_and_b32_e32 v65, 0xffff, v72
	v_pk_fma_f16 v104, v8, v76, v104
	v_pk_fma_f16 v108, v8, v101, v108
	v_pk_fma_f16 v8, v8, v102, v75
	v_mul_u32_u24_e32 v68, 0x10001, v68
	v_mul_u32_u24_e32 v101, 0x10001, v67
	v_mul_u32_u24_e32 v102, 0x10001, v59
	v_mul_u32_u24_e32 v111, 0x10001, v69
	v_mul_u32_u24_e32 v112, 0x10001, v65
	v_mul_u32_u24_e32 v113, 0x10001, v70
	s_wait_kmcnt 0x0
	s_lshl_b32 s11, s11, 6
	v_pk_fma_f16 v75, v10, v74, v103
	v_pk_fma_f16 v73, v10, v100, v104
	;; [unrolled: 1-line block ×16, first 2 shown]
	s_add_co_i32 s38, s11, s38
	s_wait_alu 0xfffe
	s_cmp_lt_i32 s38, s3
	s_cbranch_scc0 .LBB52_44
; %bb.42:                               ;   in Loop: Header=BB52_8 Depth=1
	v_dual_mov_b32 v107, v0 :: v_dual_mov_b32 v108, v1
	v_dual_mov_b32 v105, v2 :: v_dual_mov_b32 v104, v3
	;; [unrolled: 1-line block ×8, first 2 shown]
	s_branch .LBB52_8
.LBB52_43:
	v_dual_mov_b32 v0, 0xfeffffff :: v_dual_mov_b32 v75, 0
	v_dual_mov_b32 v47, 0 :: v_dual_mov_b32 v44, 0
	;; [unrolled: 1-line block ×3, first 2 shown]
	s_delay_alu instid0(VALU_DEP_3)
	v_dual_mov_b32 v1, v0 :: v_dual_mov_b32 v2, v0
	v_dual_mov_b32 v3, v0 :: v_dual_mov_b32 v4, v0
	;; [unrolled: 1-line block ×11, first 2 shown]
	v_mov_b32_e32 v63, 0
	v_mov_b32_e32 v59, 0
	;; [unrolled: 1-line block ×3, first 2 shown]
.LBB52_44:
	s_cmp_gt_i32 s2, s38
	s_cbranch_scc1 .LBB52_47
; %bb.45:
	v_mbcnt_lo_u32_b32 v8, -1, 0
	v_mov_b32_e32 v77, 32
	s_delay_alu instid0(VALU_DEP_2)
	v_xor_b32_e32 v82, 16, v8
	v_xor_b32_e32 v79, 8, v8
	;; [unrolled: 1-line block ×5, first 2 shown]
	s_cbranch_execz .LBB52_48
; %bb.46:
	v_mov_b32_e32 v20, v8
	s_branch .LBB52_128
.LBB52_47:
                                        ; implicit-def: $vgpr8
                                        ; implicit-def: $vgpr77
                                        ; implicit-def: $vgpr82
                                        ; implicit-def: $vgpr79
                                        ; implicit-def: $vgpr78
                                        ; implicit-def: $vgpr19
                                        ; implicit-def: $vgpr18
.LBB52_48:
	v_lshl_add_u32 v16, v48, 2, v81
	s_ashr_i32 s39, s38, 31
	s_ashr_i32 s9, s8, 31
	s_sub_co_i32 s19, s2, s38
	s_wait_alu 0xfffe
	s_mul_u64 s[10:11], s[38:39], s[8:9]
	v_mul_lo_u32 v11, s8, v16
	s_lshl_b64 s[2:3], s[10:11], 2
	v_dual_mov_b32 v18, 0 :: v_dual_lshlrev_b32 v17, 2, v80
	s_add_nc_u64 s[4:5], s[4:5], s[2:3]
	v_cmp_gt_i32_e64 s2, s19, v16
	s_mov_b32 s44, 0
	s_mov_b64 s[6:7], src_private_base
	v_ashrrev_i32_e32 v12, 31, v11
	s_wait_alu 0xfffe
	s_mov_b32 s45, s44
	s_mov_b32 s46, s44
	v_dual_mov_b32 v93, 0 :: v_dual_mov_b32 v94, 0
	v_lshlrev_b64_e32 v[8:9], 2, v[11:12]
	v_lshl_add_u32 v11, s8, 5, v11
	v_dual_mov_b32 v95, 0 :: v_dual_mov_b32 v96, 0
	v_dual_mov_b32 v87, 0 :: v_dual_mov_b32 v88, 0
	s_delay_alu instid0(VALU_DEP_4) | instskip(SKIP_3) | instid1(VALU_DEP_3)
	v_add_co_u32 v8, vcc_lo, s4, v8
	s_wait_alu 0xfffd
	v_add_co_ci_u32_e64 v9, null, s5, v9, vcc_lo
	v_dual_mov_b32 v89, 0 :: v_dual_mov_b32 v92, 0
	v_add_co_u32 v14, vcc_lo, v8, v17
	s_wait_alu 0xfffd
	s_delay_alu instid0(VALU_DEP_3) | instskip(SKIP_3) | instid1(VALU_DEP_3)
	v_add_co_ci_u32_e64 v15, null, 0, v9, vcc_lo
	s_wait_alu 0xfffe
	v_dual_mov_b32 v8, s44 :: v_dual_mov_b32 v9, s45
	v_dual_mov_b32 v10, s46 :: v_dual_add_nc_u32 v19, 32, v16
	v_cndmask_b32_e64 v13, s7, v15, s2
	v_cndmask_b32_e64 v12, 0, v14, s2
	s_clause 0x1
	scratch_store_b32 off, v18, off
	scratch_store_b96 off, v[8:10], off offset:4
	v_dual_mov_b32 v91, 0 :: v_dual_mov_b32 v90, 0
	s_cmp_lg_u64 s[40:41], 0
	flat_load_b128 v[77:80], v[12:13]
	v_ashrrev_i32_e32 v12, 31, v11
	s_clause 0x1
	scratch_store_b32 off, v18, off
	scratch_store_b96 off, v[8:10], off offset:4
	v_dual_mov_b32 v81, 0 :: v_dual_mov_b32 v86, 0
	v_lshlrev_b64_e32 v[11:12], 2, v[11:12]
	s_delay_alu instid0(VALU_DEP_1) | instskip(SKIP_1) | instid1(VALU_DEP_2)
	v_add_co_u32 v11, vcc_lo, s4, v11
	s_wait_alu 0xfffd
	v_add_co_ci_u32_e64 v13, null, s5, v12, vcc_lo
	s_delay_alu instid0(VALU_DEP_2) | instskip(SKIP_1) | instid1(VALU_DEP_2)
	v_add_co_u32 v12, vcc_lo, v11, v17
	s_wait_alu 0xfffd
	v_add_co_ci_u32_e64 v13, null, 0, v13, vcc_lo
	v_cmp_gt_i32_e32 vcc_lo, s19, v19
	v_mad_u32_u24 v11, 0x90, v16, v17
	v_mul_u32_u24_e32 v19, 0x90, v40
	s_wait_alu 0xfffd
	v_cndmask_b32_e32 v17, s7, v13, vcc_lo
	v_cndmask_b32_e32 v16, 0, v12, vcc_lo
	s_wait_loadcnt_dscnt 0x0
	ds_store_b128 v11, v[77:80] offset:16384
	v_mov_b32_e32 v80, 0
	flat_load_b128 v[82:85], v[16:17]
	v_add_co_u32 v77, s3, 0x80, v14
	s_wait_alu 0xf1ff
	v_add_co_ci_u32_e64 v78, null, 0, v15, s3
	s_cselect_b32 s3, -1, 0
	v_cndmask_b32_e64 v77, 0, v77, s2
	v_cndmask_b32_e64 v78, s7, v78, s2
	v_add_co_u32 v12, s2, 0x80, v12
	s_wait_alu 0xf1ff
	v_add_co_ci_u32_e64 v13, null, 0, v13, s2
	v_cmp_gt_i32_e64 s2, s19, v40
	s_delay_alu instid0(VALU_DEP_3) | instskip(NEXT) | instid1(VALU_DEP_3)
	v_cndmask_b32_e32 v12, 0, v12, vcc_lo
	v_cndmask_b32_e32 v13, s7, v13, vcc_lo
	s_wait_loadcnt_dscnt 0x0
	ds_store_b128 v11, v[82:85] offset:20992
	s_wait_storecnt_dscnt 0x0
	s_barrier_signal -1
	s_barrier_wait -1
	global_inv scope:SCOPE_SE
	ds_load_b128 v[97:100], v19 offset:16384
	ds_load_b128 v[101:104], v64
	ds_load_b128 v[105:108], v64 offset:256
	ds_load_b128 v[109:112], v64 offset:512
	;; [unrolled: 1-line block ×8, first 2 shown]
	v_dual_mov_b32 v83, 0 :: v_dual_mov_b32 v84, 0
	v_mov_b32_e32 v85, 0
	s_wait_dscnt 0x8
	;;#ASMSTART
	v_dot2_f32_f16 v80, v97, v101, v80
	;;#ASMEND
	;;#ASMSTART
	v_dot2_f32_f16 v80, v98, v102, v80
	;;#ASMEND
	;;#ASMSTART
	v_dot2_f32_f16 v80, v99, v103, v80
	;;#ASMEND
	;;#ASMSTART
	v_dot2_f32_f16 v80, v100, v104, v80
	;;#ASMEND
	s_wait_dscnt 0x7
	;;#ASMSTART
	v_dot2_f32_f16 v81, v97, v105, v81
	;;#ASMEND
	;;#ASMSTART
	v_dot2_f32_f16 v81, v98, v106, v81
	;;#ASMEND
	;;#ASMSTART
	v_dot2_f32_f16 v81, v99, v107, v81
	;;#ASMEND
	;;#ASMSTART
	v_dot2_f32_f16 v81, v100, v108, v81
	;;#ASMEND
	;; [unrolled: 13-line block ×8, first 2 shown]
	;;#ASMSTART
	v_dot2_f32_f16 v83, v117, v101, v83
	;;#ASMEND
	;;#ASMSTART
	v_dot2_f32_f16 v83, v118, v102, v83
	;;#ASMEND
	;; [unrolled: 3-line block ×32, first 2 shown]
	ds_load_b128 v[97:100], v19 offset:16400
	ds_load_b128 v[101:104], v64 offset:16
	;; [unrolled: 1-line block ×10, first 2 shown]
	s_wait_dscnt 0x8
	;;#ASMSTART
	v_dot2_f32_f16 v80, v97, v101, v80
	;;#ASMEND
	;;#ASMSTART
	v_dot2_f32_f16 v80, v98, v102, v80
	;;#ASMEND
	;;#ASMSTART
	v_dot2_f32_f16 v80, v99, v103, v80
	;;#ASMEND
	;;#ASMSTART
	v_dot2_f32_f16 v80, v100, v104, v80
	;;#ASMEND
	s_wait_dscnt 0x7
	;;#ASMSTART
	v_dot2_f32_f16 v81, v97, v105, v81
	;;#ASMEND
	;;#ASMSTART
	v_dot2_f32_f16 v81, v98, v106, v81
	;;#ASMEND
	;;#ASMSTART
	v_dot2_f32_f16 v81, v99, v107, v81
	;;#ASMEND
	;;#ASMSTART
	v_dot2_f32_f16 v81, v100, v108, v81
	;;#ASMEND
	;; [unrolled: 13-line block ×8, first 2 shown]
	;;#ASMSTART
	v_dot2_f32_f16 v83, v117, v101, v83
	;;#ASMEND
	;;#ASMSTART
	v_dot2_f32_f16 v83, v118, v102, v83
	;;#ASMEND
	;;#ASMSTART
	v_dot2_f32_f16 v83, v119, v103, v83
	;;#ASMEND
	;;#ASMSTART
	v_dot2_f32_f16 v83, v120, v104, v83
	;;#ASMEND
	;;#ASMSTART
	v_dot2_f32_f16 v84, v117, v105, v84
	;;#ASMEND
	;;#ASMSTART
	v_dot2_f32_f16 v84, v118, v106, v84
	;;#ASMEND
	;;#ASMSTART
	v_dot2_f32_f16 v84, v119, v107, v84
	;;#ASMEND
	;;#ASMSTART
	v_dot2_f32_f16 v84, v120, v108, v84
	;;#ASMEND
	;;#ASMSTART
	v_dot2_f32_f16 v85, v117, v109, v85
	;;#ASMEND
	;;#ASMSTART
	v_dot2_f32_f16 v85, v118, v110, v85
	;;#ASMEND
	;;#ASMSTART
	v_dot2_f32_f16 v85, v119, v111, v85
	;;#ASMEND
	;;#ASMSTART
	v_dot2_f32_f16 v85, v120, v112, v85
	;;#ASMEND
	;;#ASMSTART
	v_dot2_f32_f16 v86, v117, v113, v86
	;;#ASMEND
	;;#ASMSTART
	v_dot2_f32_f16 v86, v118, v114, v86
	;;#ASMEND
	;;#ASMSTART
	v_dot2_f32_f16 v86, v119, v115, v86
	;;#ASMEND
	;;#ASMSTART
	v_dot2_f32_f16 v86, v120, v116, v86
	;;#ASMEND
	;;#ASMSTART
	v_dot2_f32_f16 v89, v117, v121, v89
	;;#ASMEND
	;;#ASMSTART
	v_dot2_f32_f16 v89, v118, v122, v89
	;;#ASMEND
	;;#ASMSTART
	v_dot2_f32_f16 v89, v119, v123, v89
	;;#ASMEND
	;;#ASMSTART
	v_dot2_f32_f16 v89, v120, v124, v89
	;;#ASMEND
	;;#ASMSTART
	v_dot2_f32_f16 v91, v117, v125, v91
	;;#ASMEND
	;;#ASMSTART
	v_dot2_f32_f16 v91, v118, v126, v91
	;;#ASMEND
	;;#ASMSTART
	v_dot2_f32_f16 v91, v119, v127, v91
	;;#ASMEND
	;;#ASMSTART
	v_dot2_f32_f16 v91, v120, v128, v91
	;;#ASMEND
	;;#ASMSTART
	v_dot2_f32_f16 v92, v117, v129, v92
	;;#ASMEND
	;;#ASMSTART
	v_dot2_f32_f16 v92, v118, v130, v92
	;;#ASMEND
	;;#ASMSTART
	v_dot2_f32_f16 v92, v119, v131, v92
	;;#ASMEND
	;;#ASMSTART
	v_dot2_f32_f16 v92, v120, v132, v92
	;;#ASMEND
	;;#ASMSTART
	v_dot2_f32_f16 v90, v117, v133, v90
	;;#ASMEND
	;;#ASMSTART
	v_dot2_f32_f16 v90, v118, v134, v90
	;;#ASMEND
	;;#ASMSTART
	v_dot2_f32_f16 v90, v119, v135, v90
	;;#ASMEND
	;;#ASMSTART
	v_dot2_f32_f16 v90, v120, v136, v90
	;;#ASMEND
	ds_load_b128 v[97:100], v19 offset:16416
	ds_load_b128 v[101:104], v64 offset:32
	;; [unrolled: 1-line block ×10, first 2 shown]
	s_wait_dscnt 0x8
	;;#ASMSTART
	v_dot2_f32_f16 v80, v97, v101, v80
	;;#ASMEND
	;;#ASMSTART
	v_dot2_f32_f16 v80, v98, v102, v80
	;;#ASMEND
	;;#ASMSTART
	v_dot2_f32_f16 v80, v99, v103, v80
	;;#ASMEND
	;;#ASMSTART
	v_dot2_f32_f16 v80, v100, v104, v80
	;;#ASMEND
	s_wait_dscnt 0x7
	;;#ASMSTART
	v_dot2_f32_f16 v81, v97, v105, v81
	;;#ASMEND
	;;#ASMSTART
	v_dot2_f32_f16 v81, v98, v106, v81
	;;#ASMEND
	;;#ASMSTART
	v_dot2_f32_f16 v81, v99, v107, v81
	;;#ASMEND
	;;#ASMSTART
	v_dot2_f32_f16 v81, v100, v108, v81
	;;#ASMEND
	;; [unrolled: 13-line block ×8, first 2 shown]
	;;#ASMSTART
	v_dot2_f32_f16 v83, v117, v101, v83
	;;#ASMEND
	;;#ASMSTART
	v_dot2_f32_f16 v83, v118, v102, v83
	;;#ASMEND
	;; [unrolled: 3-line block ×32, first 2 shown]
	ds_load_b128 v[97:100], v19 offset:16432
	ds_load_b128 v[101:104], v64 offset:48
	;; [unrolled: 1-line block ×10, first 2 shown]
	s_wait_dscnt 0x8
	;;#ASMSTART
	v_dot2_f32_f16 v80, v97, v101, v80
	;;#ASMEND
	;;#ASMSTART
	v_dot2_f32_f16 v80, v98, v102, v80
	;;#ASMEND
	;;#ASMSTART
	v_dot2_f32_f16 v80, v99, v103, v80
	;;#ASMEND
	;;#ASMSTART
	v_dot2_f32_f16 v80, v100, v104, v80
	;;#ASMEND
	s_wait_dscnt 0x7
	;;#ASMSTART
	v_dot2_f32_f16 v81, v97, v105, v81
	;;#ASMEND
	;;#ASMSTART
	v_dot2_f32_f16 v81, v98, v106, v81
	;;#ASMEND
	;;#ASMSTART
	v_dot2_f32_f16 v81, v99, v107, v81
	;;#ASMEND
	;;#ASMSTART
	v_dot2_f32_f16 v81, v100, v108, v81
	;;#ASMEND
	;; [unrolled: 13-line block ×8, first 2 shown]
	;;#ASMSTART
	v_dot2_f32_f16 v83, v117, v101, v83
	;;#ASMEND
	;;#ASMSTART
	v_dot2_f32_f16 v83, v118, v102, v83
	;;#ASMEND
	;; [unrolled: 3-line block ×32, first 2 shown]
	ds_load_b128 v[97:100], v19 offset:16448
	ds_load_b128 v[101:104], v64 offset:64
	;; [unrolled: 1-line block ×10, first 2 shown]
	s_wait_dscnt 0x8
	;;#ASMSTART
	v_dot2_f32_f16 v80, v97, v101, v80
	;;#ASMEND
	;;#ASMSTART
	v_dot2_f32_f16 v80, v98, v102, v80
	;;#ASMEND
	;;#ASMSTART
	v_dot2_f32_f16 v80, v99, v103, v80
	;;#ASMEND
	;;#ASMSTART
	v_dot2_f32_f16 v80, v100, v104, v80
	;;#ASMEND
	s_wait_dscnt 0x7
	;;#ASMSTART
	v_dot2_f32_f16 v81, v97, v105, v81
	;;#ASMEND
	;;#ASMSTART
	v_dot2_f32_f16 v81, v98, v106, v81
	;;#ASMEND
	;;#ASMSTART
	v_dot2_f32_f16 v81, v99, v107, v81
	;;#ASMEND
	;;#ASMSTART
	v_dot2_f32_f16 v81, v100, v108, v81
	;;#ASMEND
	;; [unrolled: 13-line block ×8, first 2 shown]
	;;#ASMSTART
	v_dot2_f32_f16 v83, v117, v101, v83
	;;#ASMEND
	;;#ASMSTART
	v_dot2_f32_f16 v83, v118, v102, v83
	;;#ASMEND
	;; [unrolled: 3-line block ×32, first 2 shown]
	ds_load_b128 v[97:100], v19 offset:16464
	ds_load_b128 v[101:104], v64 offset:80
	;; [unrolled: 1-line block ×10, first 2 shown]
	s_wait_dscnt 0x8
	;;#ASMSTART
	v_dot2_f32_f16 v80, v97, v101, v80
	;;#ASMEND
	;;#ASMSTART
	v_dot2_f32_f16 v80, v98, v102, v80
	;;#ASMEND
	;;#ASMSTART
	v_dot2_f32_f16 v80, v99, v103, v80
	;;#ASMEND
	;;#ASMSTART
	v_dot2_f32_f16 v80, v100, v104, v80
	;;#ASMEND
	s_wait_dscnt 0x7
	;;#ASMSTART
	v_dot2_f32_f16 v81, v97, v105, v81
	;;#ASMEND
	;;#ASMSTART
	v_dot2_f32_f16 v81, v98, v106, v81
	;;#ASMEND
	;;#ASMSTART
	v_dot2_f32_f16 v81, v99, v107, v81
	;;#ASMEND
	;;#ASMSTART
	v_dot2_f32_f16 v81, v100, v108, v81
	;;#ASMEND
	s_wait_dscnt 0x6
	;;#ASMSTART
	v_dot2_f32_f16 v93, v97, v109, v93
	;;#ASMEND
	;;#ASMSTART
	v_dot2_f32_f16 v93, v98, v110, v93
	;;#ASMEND
	;;#ASMSTART
	v_dot2_f32_f16 v93, v99, v111, v93
	;;#ASMEND
	;;#ASMSTART
	v_dot2_f32_f16 v93, v100, v112, v93
	;;#ASMEND
	s_wait_dscnt 0x5
	;;#ASMSTART
	v_dot2_f32_f16 v94, v97, v113, v94
	;;#ASMEND
	;;#ASMSTART
	v_dot2_f32_f16 v94, v98, v114, v94
	;;#ASMEND
	;;#ASMSTART
	v_dot2_f32_f16 v94, v99, v115, v94
	;;#ASMEND
	;;#ASMSTART
	v_dot2_f32_f16 v94, v100, v116, v94
	;;#ASMEND
	s_wait_dscnt 0x3
	;;#ASMSTART
	v_dot2_f32_f16 v95, v97, v121, v95
	;;#ASMEND
	;;#ASMSTART
	v_dot2_f32_f16 v95, v98, v122, v95
	;;#ASMEND
	;;#ASMSTART
	v_dot2_f32_f16 v95, v99, v123, v95
	;;#ASMEND
	;;#ASMSTART
	v_dot2_f32_f16 v95, v100, v124, v95
	;;#ASMEND
	s_wait_dscnt 0x2
	;;#ASMSTART
	v_dot2_f32_f16 v96, v97, v125, v96
	;;#ASMEND
	;;#ASMSTART
	v_dot2_f32_f16 v96, v98, v126, v96
	;;#ASMEND
	;;#ASMSTART
	v_dot2_f32_f16 v96, v99, v127, v96
	;;#ASMEND
	;;#ASMSTART
	v_dot2_f32_f16 v96, v100, v128, v96
	;;#ASMEND
	s_wait_dscnt 0x1
	;;#ASMSTART
	v_dot2_f32_f16 v87, v97, v129, v87
	;;#ASMEND
	;;#ASMSTART
	v_dot2_f32_f16 v87, v98, v130, v87
	;;#ASMEND
	;;#ASMSTART
	v_dot2_f32_f16 v87, v99, v131, v87
	;;#ASMEND
	;;#ASMSTART
	v_dot2_f32_f16 v87, v100, v132, v87
	;;#ASMEND
	s_wait_dscnt 0x0
	;;#ASMSTART
	v_dot2_f32_f16 v88, v97, v133, v88
	;;#ASMEND
	;;#ASMSTART
	v_dot2_f32_f16 v88, v98, v134, v88
	;;#ASMEND
	;;#ASMSTART
	v_dot2_f32_f16 v88, v99, v135, v88
	;;#ASMEND
	;;#ASMSTART
	v_dot2_f32_f16 v88, v100, v136, v88
	;;#ASMEND
	;;#ASMSTART
	v_dot2_f32_f16 v83, v117, v101, v83
	;;#ASMEND
	;;#ASMSTART
	v_dot2_f32_f16 v83, v118, v102, v83
	;;#ASMEND
	;;#ASMSTART
	v_dot2_f32_f16 v83, v119, v103, v83
	;;#ASMEND
	;;#ASMSTART
	v_dot2_f32_f16 v83, v120, v104, v83
	;;#ASMEND
	;;#ASMSTART
	v_dot2_f32_f16 v84, v117, v105, v84
	;;#ASMEND
	;;#ASMSTART
	v_dot2_f32_f16 v84, v118, v106, v84
	;;#ASMEND
	;;#ASMSTART
	v_dot2_f32_f16 v84, v119, v107, v84
	;;#ASMEND
	;;#ASMSTART
	v_dot2_f32_f16 v84, v120, v108, v84
	;;#ASMEND
	;;#ASMSTART
	v_dot2_f32_f16 v85, v117, v109, v85
	;;#ASMEND
	;;#ASMSTART
	v_dot2_f32_f16 v85, v118, v110, v85
	;;#ASMEND
	;;#ASMSTART
	v_dot2_f32_f16 v85, v119, v111, v85
	;;#ASMEND
	;;#ASMSTART
	v_dot2_f32_f16 v85, v120, v112, v85
	;;#ASMEND
	;;#ASMSTART
	v_dot2_f32_f16 v86, v117, v113, v86
	;;#ASMEND
	;;#ASMSTART
	v_dot2_f32_f16 v86, v118, v114, v86
	;;#ASMEND
	;;#ASMSTART
	v_dot2_f32_f16 v86, v119, v115, v86
	;;#ASMEND
	;;#ASMSTART
	v_dot2_f32_f16 v86, v120, v116, v86
	;;#ASMEND
	;;#ASMSTART
	v_dot2_f32_f16 v89, v117, v121, v89
	;;#ASMEND
	;;#ASMSTART
	v_dot2_f32_f16 v89, v118, v122, v89
	;;#ASMEND
	;;#ASMSTART
	v_dot2_f32_f16 v89, v119, v123, v89
	;;#ASMEND
	;;#ASMSTART
	v_dot2_f32_f16 v89, v120, v124, v89
	;;#ASMEND
	;;#ASMSTART
	v_dot2_f32_f16 v91, v117, v125, v91
	;;#ASMEND
	;;#ASMSTART
	v_dot2_f32_f16 v91, v118, v126, v91
	;;#ASMEND
	;;#ASMSTART
	v_dot2_f32_f16 v91, v119, v127, v91
	;;#ASMEND
	;;#ASMSTART
	v_dot2_f32_f16 v91, v120, v128, v91
	;;#ASMEND
	;;#ASMSTART
	v_dot2_f32_f16 v92, v117, v129, v92
	;;#ASMEND
	;;#ASMSTART
	v_dot2_f32_f16 v92, v118, v130, v92
	;;#ASMEND
	;;#ASMSTART
	v_dot2_f32_f16 v92, v119, v131, v92
	;;#ASMEND
	;;#ASMSTART
	v_dot2_f32_f16 v92, v120, v132, v92
	;;#ASMEND
	;;#ASMSTART
	v_dot2_f32_f16 v90, v117, v133, v90
	;;#ASMEND
	;;#ASMSTART
	v_dot2_f32_f16 v90, v118, v134, v90
	;;#ASMEND
	;;#ASMSTART
	v_dot2_f32_f16 v90, v119, v135, v90
	;;#ASMEND
	;;#ASMSTART
	v_dot2_f32_f16 v90, v120, v136, v90
	;;#ASMEND
	ds_load_b128 v[97:100], v19 offset:16480
	ds_load_b128 v[101:104], v64 offset:96
	;; [unrolled: 1-line block ×10, first 2 shown]
	s_wait_dscnt 0x8
	;;#ASMSTART
	v_dot2_f32_f16 v80, v97, v101, v80
	;;#ASMEND
	;;#ASMSTART
	v_dot2_f32_f16 v80, v98, v102, v80
	;;#ASMEND
	;;#ASMSTART
	v_dot2_f32_f16 v80, v99, v103, v80
	;;#ASMEND
	;;#ASMSTART
	v_dot2_f32_f16 v80, v100, v104, v80
	;;#ASMEND
	s_wait_dscnt 0x7
	;;#ASMSTART
	v_dot2_f32_f16 v81, v97, v105, v81
	;;#ASMEND
	;;#ASMSTART
	v_dot2_f32_f16 v81, v98, v106, v81
	;;#ASMEND
	;;#ASMSTART
	v_dot2_f32_f16 v81, v99, v107, v81
	;;#ASMEND
	;;#ASMSTART
	v_dot2_f32_f16 v81, v100, v108, v81
	;;#ASMEND
	;; [unrolled: 13-line block ×8, first 2 shown]
	;;#ASMSTART
	v_dot2_f32_f16 v83, v117, v101, v83
	;;#ASMEND
	;;#ASMSTART
	v_dot2_f32_f16 v83, v118, v102, v83
	;;#ASMEND
	;; [unrolled: 3-line block ×32, first 2 shown]
	ds_load_b128 v[97:100], v19 offset:16496
	ds_load_b128 v[101:104], v64 offset:112
	;; [unrolled: 1-line block ×10, first 2 shown]
	s_wait_dscnt 0x8
	;;#ASMSTART
	v_dot2_f32_f16 v80, v97, v101, v80
	;;#ASMEND
	;;#ASMSTART
	v_dot2_f32_f16 v80, v98, v102, v80
	;;#ASMEND
	;;#ASMSTART
	v_dot2_f32_f16 v80, v99, v103, v80
	;;#ASMEND
	;;#ASMSTART
	v_dot2_f32_f16 v80, v100, v104, v80
	;;#ASMEND
	s_wait_dscnt 0x7
	;;#ASMSTART
	v_dot2_f32_f16 v81, v97, v105, v81
	;;#ASMEND
	;;#ASMSTART
	v_dot2_f32_f16 v81, v98, v106, v81
	;;#ASMEND
	;;#ASMSTART
	v_dot2_f32_f16 v81, v99, v107, v81
	;;#ASMEND
	;;#ASMSTART
	v_dot2_f32_f16 v81, v100, v108, v81
	;;#ASMEND
	;; [unrolled: 13-line block ×8, first 2 shown]
	;;#ASMSTART
	v_dot2_f32_f16 v83, v113, v101, v83
	;;#ASMEND
	;;#ASMSTART
	v_dot2_f32_f16 v83, v114, v102, v83
	;;#ASMEND
	;; [unrolled: 3-line block ×32, first 2 shown]
	s_wait_loadcnt 0x0
	s_barrier_signal -1
	s_barrier_wait -1
	global_inv scope:SCOPE_SE
	s_clause 0x1
	scratch_store_b32 off, v18, off
	scratch_store_b96 off, v[8:10], off offset:4
	flat_load_b128 v[14:17], v[77:78]
	s_clause 0x1
	scratch_store_b32 off, v18, off
	scratch_store_b96 off, v[8:10], off offset:4
	s_wait_loadcnt_dscnt 0x0
	ds_store_b128 v11, v[14:17] offset:16384
	flat_load_b128 v[12:15], v[12:13]
	v_mad_co_u64_u32 v[16:17], null, v60, s14, s[38:39]
	s_wait_alu 0xfffe
	v_cndmask_b32_e64 v60, 0, 1, s3
	s_wait_loadcnt_dscnt 0x0
	ds_store_b128 v11, v[12:15] offset:20992
	s_wait_storecnt_dscnt 0x0
	s_barrier_signal -1
	s_barrier_wait -1
	global_inv scope:SCOPE_SE
	ds_load_b128 v[8:11], v19 offset:16384
	ds_load_b128 v[12:15], v64 offset:128
	ds_load_b128 v[97:100], v64 offset:384
	ds_load_b128 v[101:104], v64 offset:640
	ds_load_b128 v[105:108], v64 offset:896
	ds_load_b128 v[109:112], v19 offset:20992
	ds_load_b128 v[113:116], v64 offset:1152
	ds_load_b128 v[117:120], v64 offset:1408
	ds_load_b128 v[121:124], v64 offset:1664
	ds_load_b128 v[125:128], v64 offset:1920
	s_wait_dscnt 0x8
	;;#ASMSTART
	v_dot2_f32_f16 v80, v8, v12, v80
	;;#ASMEND
	;;#ASMSTART
	v_dot2_f32_f16 v80, v9, v13, v80
	;;#ASMEND
	;;#ASMSTART
	v_dot2_f32_f16 v80, v10, v14, v80
	;;#ASMEND
	;;#ASMSTART
	v_dot2_f32_f16 v80, v11, v15, v80
	;;#ASMEND
	s_wait_dscnt 0x7
	;;#ASMSTART
	v_dot2_f32_f16 v81, v8, v97, v81
	;;#ASMEND
	;;#ASMSTART
	v_dot2_f32_f16 v81, v9, v98, v81
	;;#ASMEND
	;;#ASMSTART
	v_dot2_f32_f16 v81, v10, v99, v81
	;;#ASMEND
	;;#ASMSTART
	v_dot2_f32_f16 v81, v11, v100, v81
	;;#ASMEND
	;; [unrolled: 13-line block ×8, first 2 shown]
	;;#ASMSTART
	v_dot2_f32_f16 v83, v109, v12, v83
	;;#ASMEND
	;;#ASMSTART
	v_dot2_f32_f16 v83, v110, v13, v83
	;;#ASMEND
	;; [unrolled: 3-line block ×32, first 2 shown]
	ds_load_b128 v[8:11], v19 offset:16400
	ds_load_b128 v[12:15], v64 offset:144
	;; [unrolled: 1-line block ×10, first 2 shown]
	s_wait_dscnt 0x8
	;;#ASMSTART
	v_dot2_f32_f16 v80, v8, v12, v80
	;;#ASMEND
	;;#ASMSTART
	v_dot2_f32_f16 v80, v9, v13, v80
	;;#ASMEND
	;;#ASMSTART
	v_dot2_f32_f16 v80, v10, v14, v80
	;;#ASMEND
	;;#ASMSTART
	v_dot2_f32_f16 v80, v11, v15, v80
	;;#ASMEND
	s_wait_dscnt 0x7
	;;#ASMSTART
	v_dot2_f32_f16 v81, v8, v97, v81
	;;#ASMEND
	;;#ASMSTART
	v_dot2_f32_f16 v81, v9, v98, v81
	;;#ASMEND
	;;#ASMSTART
	v_dot2_f32_f16 v81, v10, v99, v81
	;;#ASMEND
	;;#ASMSTART
	v_dot2_f32_f16 v81, v11, v100, v81
	;;#ASMEND
	;; [unrolled: 13-line block ×8, first 2 shown]
	;;#ASMSTART
	v_dot2_f32_f16 v83, v109, v12, v83
	;;#ASMEND
	;;#ASMSTART
	v_dot2_f32_f16 v83, v110, v13, v83
	;;#ASMEND
	;; [unrolled: 3-line block ×32, first 2 shown]
	ds_load_b128 v[8:11], v19 offset:16416
	ds_load_b128 v[12:15], v64 offset:160
	;; [unrolled: 1-line block ×10, first 2 shown]
	s_wait_dscnt 0x8
	;;#ASMSTART
	v_dot2_f32_f16 v80, v8, v12, v80
	;;#ASMEND
	;;#ASMSTART
	v_dot2_f32_f16 v80, v9, v13, v80
	;;#ASMEND
	;;#ASMSTART
	v_dot2_f32_f16 v80, v10, v14, v80
	;;#ASMEND
	;;#ASMSTART
	v_dot2_f32_f16 v80, v11, v15, v80
	;;#ASMEND
	s_wait_dscnt 0x7
	;;#ASMSTART
	v_dot2_f32_f16 v81, v8, v97, v81
	;;#ASMEND
	;;#ASMSTART
	v_dot2_f32_f16 v81, v9, v98, v81
	;;#ASMEND
	;;#ASMSTART
	v_dot2_f32_f16 v81, v10, v99, v81
	;;#ASMEND
	;;#ASMSTART
	v_dot2_f32_f16 v81, v11, v100, v81
	;;#ASMEND
	;; [unrolled: 13-line block ×8, first 2 shown]
	;;#ASMSTART
	v_dot2_f32_f16 v83, v109, v12, v83
	;;#ASMEND
	;;#ASMSTART
	v_dot2_f32_f16 v83, v110, v13, v83
	;;#ASMEND
	;; [unrolled: 3-line block ×32, first 2 shown]
	ds_load_b128 v[8:11], v19 offset:16432
	ds_load_b128 v[12:15], v64 offset:176
	ds_load_b128 v[97:100], v64 offset:432
	ds_load_b128 v[101:104], v64 offset:688
	ds_load_b128 v[105:108], v64 offset:944
	ds_load_b128 v[109:112], v19 offset:21040
	ds_load_b128 v[113:116], v64 offset:1200
	ds_load_b128 v[117:120], v64 offset:1456
	ds_load_b128 v[121:124], v64 offset:1712
	ds_load_b128 v[125:128], v64 offset:1968
	s_wait_dscnt 0x8
	;;#ASMSTART
	v_dot2_f32_f16 v80, v8, v12, v80
	;;#ASMEND
	;;#ASMSTART
	v_dot2_f32_f16 v80, v9, v13, v80
	;;#ASMEND
	;;#ASMSTART
	v_dot2_f32_f16 v80, v10, v14, v80
	;;#ASMEND
	;;#ASMSTART
	v_dot2_f32_f16 v80, v11, v15, v80
	;;#ASMEND
	s_wait_dscnt 0x7
	;;#ASMSTART
	v_dot2_f32_f16 v81, v8, v97, v81
	;;#ASMEND
	;;#ASMSTART
	v_dot2_f32_f16 v81, v9, v98, v81
	;;#ASMEND
	;;#ASMSTART
	v_dot2_f32_f16 v81, v10, v99, v81
	;;#ASMEND
	;;#ASMSTART
	v_dot2_f32_f16 v81, v11, v100, v81
	;;#ASMEND
	;; [unrolled: 13-line block ×8, first 2 shown]
	;;#ASMSTART
	v_dot2_f32_f16 v83, v109, v12, v83
	;;#ASMEND
	;;#ASMSTART
	v_dot2_f32_f16 v83, v110, v13, v83
	;;#ASMEND
	;;#ASMSTART
	v_dot2_f32_f16 v83, v111, v14, v83
	;;#ASMEND
	;;#ASMSTART
	v_dot2_f32_f16 v83, v112, v15, v83
	;;#ASMEND
	;;#ASMSTART
	v_dot2_f32_f16 v84, v109, v97, v84
	;;#ASMEND
	;;#ASMSTART
	v_dot2_f32_f16 v84, v110, v98, v84
	;;#ASMEND
	;;#ASMSTART
	v_dot2_f32_f16 v84, v111, v99, v84
	;;#ASMEND
	;;#ASMSTART
	v_dot2_f32_f16 v84, v112, v100, v84
	;;#ASMEND
	;;#ASMSTART
	v_dot2_f32_f16 v85, v109, v101, v85
	;;#ASMEND
	;;#ASMSTART
	v_dot2_f32_f16 v85, v110, v102, v85
	;;#ASMEND
	;;#ASMSTART
	v_dot2_f32_f16 v85, v111, v103, v85
	;;#ASMEND
	;;#ASMSTART
	v_dot2_f32_f16 v85, v112, v104, v85
	;;#ASMEND
	;;#ASMSTART
	v_dot2_f32_f16 v86, v109, v105, v86
	;;#ASMEND
	;;#ASMSTART
	v_dot2_f32_f16 v86, v110, v106, v86
	;;#ASMEND
	;;#ASMSTART
	v_dot2_f32_f16 v86, v111, v107, v86
	;;#ASMEND
	;;#ASMSTART
	v_dot2_f32_f16 v86, v112, v108, v86
	;;#ASMEND
	;;#ASMSTART
	v_dot2_f32_f16 v89, v109, v113, v89
	;;#ASMEND
	;;#ASMSTART
	v_dot2_f32_f16 v89, v110, v114, v89
	;;#ASMEND
	;;#ASMSTART
	v_dot2_f32_f16 v89, v111, v115, v89
	;;#ASMEND
	;;#ASMSTART
	v_dot2_f32_f16 v89, v112, v116, v89
	;;#ASMEND
	;;#ASMSTART
	v_dot2_f32_f16 v91, v109, v117, v91
	;;#ASMEND
	;;#ASMSTART
	v_dot2_f32_f16 v91, v110, v118, v91
	;;#ASMEND
	;;#ASMSTART
	v_dot2_f32_f16 v91, v111, v119, v91
	;;#ASMEND
	;;#ASMSTART
	v_dot2_f32_f16 v91, v112, v120, v91
	;;#ASMEND
	;;#ASMSTART
	v_dot2_f32_f16 v92, v109, v121, v92
	;;#ASMEND
	;;#ASMSTART
	v_dot2_f32_f16 v92, v110, v122, v92
	;;#ASMEND
	;;#ASMSTART
	v_dot2_f32_f16 v92, v111, v123, v92
	;;#ASMEND
	;;#ASMSTART
	v_dot2_f32_f16 v92, v112, v124, v92
	;;#ASMEND
	;;#ASMSTART
	v_dot2_f32_f16 v90, v109, v125, v90
	;;#ASMEND
	;;#ASMSTART
	v_dot2_f32_f16 v90, v110, v126, v90
	;;#ASMEND
	;;#ASMSTART
	v_dot2_f32_f16 v90, v111, v127, v90
	;;#ASMEND
	;;#ASMSTART
	v_dot2_f32_f16 v90, v112, v128, v90
	;;#ASMEND
	ds_load_b128 v[8:11], v19 offset:16448
	ds_load_b128 v[12:15], v64 offset:192
	;; [unrolled: 1-line block ×10, first 2 shown]
	s_wait_dscnt 0x8
	;;#ASMSTART
	v_dot2_f32_f16 v80, v8, v12, v80
	;;#ASMEND
	;;#ASMSTART
	v_dot2_f32_f16 v80, v9, v13, v80
	;;#ASMEND
	;;#ASMSTART
	v_dot2_f32_f16 v80, v10, v14, v80
	;;#ASMEND
	;;#ASMSTART
	v_dot2_f32_f16 v80, v11, v15, v80
	;;#ASMEND
	s_wait_dscnt 0x7
	;;#ASMSTART
	v_dot2_f32_f16 v81, v8, v97, v81
	;;#ASMEND
	;;#ASMSTART
	v_dot2_f32_f16 v81, v9, v98, v81
	;;#ASMEND
	;;#ASMSTART
	v_dot2_f32_f16 v81, v10, v99, v81
	;;#ASMEND
	;;#ASMSTART
	v_dot2_f32_f16 v81, v11, v100, v81
	;;#ASMEND
	;; [unrolled: 13-line block ×8, first 2 shown]
	;;#ASMSTART
	v_dot2_f32_f16 v83, v109, v12, v83
	;;#ASMEND
	;;#ASMSTART
	v_dot2_f32_f16 v83, v110, v13, v83
	;;#ASMEND
	;;#ASMSTART
	v_dot2_f32_f16 v83, v111, v14, v83
	;;#ASMEND
	;;#ASMSTART
	v_dot2_f32_f16 v83, v112, v15, v83
	;;#ASMEND
	;;#ASMSTART
	v_dot2_f32_f16 v84, v109, v97, v84
	;;#ASMEND
	;;#ASMSTART
	v_dot2_f32_f16 v84, v110, v98, v84
	;;#ASMEND
	;;#ASMSTART
	v_dot2_f32_f16 v84, v111, v99, v84
	;;#ASMEND
	;;#ASMSTART
	v_dot2_f32_f16 v84, v112, v100, v84
	;;#ASMEND
	;;#ASMSTART
	v_dot2_f32_f16 v85, v109, v101, v85
	;;#ASMEND
	;;#ASMSTART
	v_dot2_f32_f16 v85, v110, v102, v85
	;;#ASMEND
	;;#ASMSTART
	v_dot2_f32_f16 v85, v111, v103, v85
	;;#ASMEND
	;;#ASMSTART
	v_dot2_f32_f16 v85, v112, v104, v85
	;;#ASMEND
	;;#ASMSTART
	v_dot2_f32_f16 v86, v109, v105, v86
	;;#ASMEND
	;;#ASMSTART
	v_dot2_f32_f16 v86, v110, v106, v86
	;;#ASMEND
	;;#ASMSTART
	v_dot2_f32_f16 v86, v111, v107, v86
	;;#ASMEND
	;;#ASMSTART
	v_dot2_f32_f16 v86, v112, v108, v86
	;;#ASMEND
	;;#ASMSTART
	v_dot2_f32_f16 v89, v109, v113, v89
	;;#ASMEND
	;;#ASMSTART
	v_dot2_f32_f16 v89, v110, v114, v89
	;;#ASMEND
	;;#ASMSTART
	v_dot2_f32_f16 v89, v111, v115, v89
	;;#ASMEND
	;;#ASMSTART
	v_dot2_f32_f16 v89, v112, v116, v89
	;;#ASMEND
	;;#ASMSTART
	v_dot2_f32_f16 v91, v109, v117, v91
	;;#ASMEND
	;;#ASMSTART
	v_dot2_f32_f16 v91, v110, v118, v91
	;;#ASMEND
	;;#ASMSTART
	v_dot2_f32_f16 v91, v111, v119, v91
	;;#ASMEND
	;;#ASMSTART
	v_dot2_f32_f16 v91, v112, v120, v91
	;;#ASMEND
	;;#ASMSTART
	v_dot2_f32_f16 v92, v109, v121, v92
	;;#ASMEND
	;;#ASMSTART
	v_dot2_f32_f16 v92, v110, v122, v92
	;;#ASMEND
	;;#ASMSTART
	v_dot2_f32_f16 v92, v111, v123, v92
	;;#ASMEND
	;;#ASMSTART
	v_dot2_f32_f16 v92, v112, v124, v92
	;;#ASMEND
	;;#ASMSTART
	v_dot2_f32_f16 v90, v109, v125, v90
	;;#ASMEND
	;;#ASMSTART
	v_dot2_f32_f16 v90, v110, v126, v90
	;;#ASMEND
	;;#ASMSTART
	v_dot2_f32_f16 v90, v111, v127, v90
	;;#ASMEND
	;;#ASMSTART
	v_dot2_f32_f16 v90, v112, v128, v90
	;;#ASMEND
	ds_load_b128 v[8:11], v19 offset:16464
	ds_load_b128 v[12:15], v64 offset:208
	;; [unrolled: 1-line block ×10, first 2 shown]
	s_wait_dscnt 0x8
	;;#ASMSTART
	v_dot2_f32_f16 v80, v8, v12, v80
	;;#ASMEND
	;;#ASMSTART
	v_dot2_f32_f16 v80, v9, v13, v80
	;;#ASMEND
	;;#ASMSTART
	v_dot2_f32_f16 v80, v10, v14, v80
	;;#ASMEND
	;;#ASMSTART
	v_dot2_f32_f16 v80, v11, v15, v80
	;;#ASMEND
	s_wait_dscnt 0x7
	;;#ASMSTART
	v_dot2_f32_f16 v81, v8, v97, v81
	;;#ASMEND
	;;#ASMSTART
	v_dot2_f32_f16 v81, v9, v98, v81
	;;#ASMEND
	;;#ASMSTART
	v_dot2_f32_f16 v81, v10, v99, v81
	;;#ASMEND
	;;#ASMSTART
	v_dot2_f32_f16 v81, v11, v100, v81
	;;#ASMEND
	;; [unrolled: 13-line block ×8, first 2 shown]
	;;#ASMSTART
	v_dot2_f32_f16 v83, v109, v12, v83
	;;#ASMEND
	;;#ASMSTART
	v_dot2_f32_f16 v83, v110, v13, v83
	;;#ASMEND
	;; [unrolled: 3-line block ×32, first 2 shown]
	ds_load_b128 v[8:11], v19 offset:16480
	ds_load_b128 v[12:15], v64 offset:224
	;; [unrolled: 1-line block ×10, first 2 shown]
	s_wait_dscnt 0x8
	;;#ASMSTART
	v_dot2_f32_f16 v80, v8, v12, v80
	;;#ASMEND
	;;#ASMSTART
	v_dot2_f32_f16 v80, v9, v13, v80
	;;#ASMEND
	;;#ASMSTART
	v_dot2_f32_f16 v80, v10, v14, v80
	;;#ASMEND
	;;#ASMSTART
	v_dot2_f32_f16 v80, v11, v15, v80
	;;#ASMEND
	s_wait_dscnt 0x7
	;;#ASMSTART
	v_dot2_f32_f16 v81, v8, v97, v81
	;;#ASMEND
	;;#ASMSTART
	v_dot2_f32_f16 v81, v9, v98, v81
	;;#ASMEND
	;;#ASMSTART
	v_dot2_f32_f16 v81, v10, v99, v81
	;;#ASMEND
	;;#ASMSTART
	v_dot2_f32_f16 v81, v11, v100, v81
	;;#ASMEND
	;; [unrolled: 13-line block ×8, first 2 shown]
	;;#ASMSTART
	v_dot2_f32_f16 v83, v109, v12, v83
	;;#ASMEND
	;;#ASMSTART
	v_dot2_f32_f16 v83, v110, v13, v83
	;;#ASMEND
	;; [unrolled: 3-line block ×32, first 2 shown]
	ds_load_b128 v[97:100], v19 offset:16496
	ds_load_b128 v[101:104], v64 offset:240
	ds_load_b128 v[105:108], v64 offset:496
	ds_load_b128 v[109:112], v64 offset:752
	ds_load_b128 v[113:116], v64 offset:1008
	ds_load_b128 v[117:120], v19 offset:21104
	ds_load_b128 v[121:124], v64 offset:1264
	ds_load_b128 v[125:128], v64 offset:1520
	ds_load_b128 v[129:132], v64 offset:1776
	ds_load_b128 v[133:136], v64 offset:2032
	s_wait_dscnt 0x8
	;;#ASMSTART
	v_dot2_f32_f16 v80, v97, v101, v80
	;;#ASMEND
	;;#ASMSTART
	v_dot2_f32_f16 v80, v98, v102, v80
	;;#ASMEND
	;;#ASMSTART
	v_dot2_f32_f16 v80, v99, v103, v80
	;;#ASMEND
	;;#ASMSTART
	v_dot2_f32_f16 v80, v100, v104, v80
	;;#ASMEND
	s_wait_dscnt 0x7
	;;#ASMSTART
	v_dot2_f32_f16 v81, v97, v105, v81
	;;#ASMEND
	;;#ASMSTART
	v_dot2_f32_f16 v81, v98, v106, v81
	;;#ASMEND
	;;#ASMSTART
	v_dot2_f32_f16 v81, v99, v107, v81
	;;#ASMEND
	;;#ASMSTART
	v_dot2_f32_f16 v81, v100, v108, v81
	;;#ASMEND
	;; [unrolled: 13-line block ×8, first 2 shown]
	;;#ASMSTART
	v_dot2_f32_f16 v83, v117, v101, v83
	;;#ASMEND
	;;#ASMSTART
	v_dot2_f32_f16 v83, v118, v102, v83
	;;#ASMEND
	;; [unrolled: 3-line block ×23, first 2 shown]
	v_dual_mov_b32 v15, v7 :: v_dual_mov_b32 v12, v4
	;;#ASMSTART
	v_dot2_f32_f16 v91, v120, v128, v91
	;;#ASMEND
	;;#ASMSTART
	v_dot2_f32_f16 v92, v117, v129, v92
	;;#ASMEND
	v_dual_mov_b32 v14, v6 :: v_dual_mov_b32 v13, v5
	v_dual_mov_b32 v11, v3 :: v_dual_mov_b32 v10, v2
	;; [unrolled: 1-line block ×3, first 2 shown]
	;;#ASMSTART
	v_dot2_f32_f16 v92, v118, v130, v92
	;;#ASMEND
	;;#ASMSTART
	v_dot2_f32_f16 v92, v119, v131, v92
	;;#ASMEND
	;; [unrolled: 3-line block ×7, first 2 shown]
	s_and_saveexec_b32 s4, s2
	s_cbranch_execz .LBB52_52
; %bb.49:
	s_and_not1_b32 vcc_lo, exec_lo, s3
	s_wait_alu 0xfffe
	s_cbranch_vccnz .LBB52_51
; %bb.50:
	v_add_nc_u32_e32 v8, v16, v40
	s_delay_alu instid0(VALU_DEP_1) | instskip(NEXT) | instid1(VALU_DEP_1)
	v_ashrrev_i32_e32 v9, 31, v8
	v_lshlrev_b64_e32 v[8:9], 1, v[8:9]
	s_delay_alu instid0(VALU_DEP_1) | instskip(SKIP_1) | instid1(VALU_DEP_2)
	v_add_co_u32 v8, vcc_lo, s40, v8
	s_wait_alu 0xfffd
	v_add_co_ci_u32_e64 v9, null, s41, v9, vcc_lo
	global_load_u16 v8, v[8:9], off
	s_wait_loadcnt 0x0
	v_cvt_f32_f16_e32 v8, v8
	s_delay_alu instid0(VALU_DEP_1)
	v_mul_f32_e32 v18, v51, v8
.LBB52_51:
	v_max_num_f32_e32 v9, v0, v0
	s_delay_alu instid0(VALU_DEP_2) | instskip(NEXT) | instid1(VALU_DEP_1)
	v_add_f32_e32 v80, v80, v18
	v_add_f32_e32 v8, 0x40051340, v80
	s_delay_alu instid0(VALU_DEP_1)
	v_max_num_f32_e32 v17, v9, v8
	v_dual_mov_b32 v15, v7 :: v_dual_mov_b32 v12, v4
	v_dual_mov_b32 v9, v1 :: v_dual_mov_b32 v8, v0
	;; [unrolled: 1-line block ×4, first 2 shown]
	v_mov_b32_e32 v8, v17
.LBB52_52:
	s_wait_alu 0xfffe
	s_or_b32 exec_lo, exec_lo, s4
	v_add_nc_u32_e32 v97, 32, v40
	s_delay_alu instid0(VALU_DEP_1)
	v_cmp_gt_i32_e64 s3, s19, v97
	s_and_saveexec_b32 s4, s3
	s_cbranch_execz .LBB52_57
; %bb.53:
	v_cmp_ne_u32_e32 vcc_lo, 1, v60
	s_cbranch_vccnz .LBB52_55
; %bb.54:
	v_ashrrev_i32_e32 v17, 31, v16
	v_add_co_u32 v16, vcc_lo, v16, v40
	s_wait_alu 0xfffd
	s_delay_alu instid0(VALU_DEP_2) | instskip(NEXT) | instid1(VALU_DEP_1)
	v_add_co_ci_u32_e64 v17, null, 0, v17, vcc_lo
	v_lshlrev_b64_e32 v[16:17], 1, v[16:17]
	s_delay_alu instid0(VALU_DEP_1) | instskip(SKIP_1) | instid1(VALU_DEP_2)
	v_add_co_u32 v16, vcc_lo, s40, v16
	s_wait_alu 0xfffd
	v_add_co_ci_u32_e64 v17, null, s41, v17, vcc_lo
	global_load_u16 v16, v[16:17], off offset:64
	s_wait_loadcnt 0x0
	v_cvt_f32_f16_e32 v16, v16
	s_delay_alu instid0(VALU_DEP_1)
	v_mul_f32_e32 v16, v51, v16
	s_branch .LBB52_56
.LBB52_55:
	v_mov_b32_e32 v16, 0
.LBB52_56:
	s_delay_alu instid0(VALU_DEP_1) | instskip(SKIP_1) | instid1(VALU_DEP_2)
	v_add_f32_e32 v83, v83, v16
	v_max_num_f32_e32 v8, v8, v8
	v_add_f32_e32 v16, 0x40051340, v83
	s_delay_alu instid0(VALU_DEP_1)
	v_max_num_f32_e32 v8, v8, v16
.LBB52_57:
	s_wait_alu 0xfffe
	s_or_b32 exec_lo, exec_lo, s4
	v_xor_b32_e32 v82, 16, v20
	v_xor_b32_e32 v79, 8, v20
	;; [unrolled: 1-line block ×3, first 2 shown]
	v_mul_hi_u32 v77, s24, v62
	v_xor_b32_e32 v19, 2, v20
	v_cmp_gt_i32_e32 vcc_lo, 32, v82
	v_xor_b32_e32 v18, 1, v20
	s_wait_alu 0xfffd
	v_cndmask_b32_e32 v16, v20, v82, vcc_lo
	v_cmp_gt_i32_e32 vcc_lo, 32, v79
	s_wait_alu 0xfffd
	v_cndmask_b32_e32 v17, v20, v79, vcc_lo
	v_cmp_gt_i32_e32 vcc_lo, 32, v78
	s_wait_alu 0xfffd
	s_delay_alu instid0(VALU_DEP_2) | instskip(SKIP_1) | instid1(VALU_DEP_2)
	v_dual_cndmask_b32 v17, v20, v78 :: v_dual_lshlrev_b32 v98, 2, v17
	v_cmp_gt_i32_e32 vcc_lo, 32, v19
	v_lshlrev_b32_e32 v99, 2, v17
	s_wait_alu 0xfffd
	v_dual_cndmask_b32 v17, v20, v19 :: v_dual_lshlrev_b32 v64, 2, v16
	v_cmp_gt_i32_e32 vcc_lo, 32, v18
	ds_bpermute_b32 v16, v64, v8
	v_max_num_f32_e32 v8, v8, v8
	s_wait_alu 0xfffd
	v_dual_cndmask_b32 v17, v20, v18 :: v_dual_lshlrev_b32 v100, 2, v17
	s_wait_dscnt 0x0
	s_delay_alu instid0(VALU_DEP_1) | instskip(NEXT) | instid1(VALU_DEP_1)
	v_dual_max_num_f32 v16, v16, v16 :: v_dual_lshlrev_b32 v101, 2, v17
	v_max_num_f32_e32 v8, v8, v16
	ds_bpermute_b32 v16, v98, v8
	s_wait_dscnt 0x0
	v_max_num_f32_e32 v16, v16, v16
	s_delay_alu instid0(VALU_DEP_1) | instskip(SKIP_3) | instid1(VALU_DEP_1)
	v_max_num_f32_e32 v8, v8, v16
	ds_bpermute_b32 v16, v99, v8
	s_wait_dscnt 0x0
	v_max_num_f32_e32 v16, v16, v16
	v_max_num_f32_e32 v8, v8, v16
	ds_bpermute_b32 v16, v100, v8
	s_wait_dscnt 0x0
	v_max_num_f32_e32 v16, v16, v16
	s_delay_alu instid0(VALU_DEP_1) | instskip(SKIP_3) | instid1(VALU_DEP_1)
	v_max_num_f32_e32 v8, v8, v16
	v_dual_mov_b32 v77, 32 :: v_dual_add_nc_u32 v16, v62, v77
	ds_bpermute_b32 v17, v101, v8
	v_lshrrev_b32_e32 v16, s25, v16
	v_mul_lo_u32 v16, v16, s26
	s_delay_alu instid0(VALU_DEP_1) | instskip(SKIP_2) | instid1(VALU_DEP_2)
	v_sub_nc_u32_e32 v16, v62, v16
	s_wait_dscnt 0x0
	v_max_num_f32_e32 v62, v17, v17
	v_mad_co_u64_u32 v[16:17], null, v16, s14, s[38:39]
	s_delay_alu instid0(VALU_DEP_2)
	v_max_num_f32_e32 v8, v8, v62
	s_and_saveexec_b32 s4, s2
	s_cbranch_execz .LBB52_62
; %bb.58:
	v_cmp_ne_u32_e32 vcc_lo, 1, v60
	s_cbranch_vccnz .LBB52_60
; %bb.59:
	s_delay_alu instid0(VALU_DEP_3) | instskip(NEXT) | instid1(VALU_DEP_1)
	v_add_nc_u32_e32 v102, v16, v40
	v_ashrrev_i32_e32 v103, 31, v102
	s_delay_alu instid0(VALU_DEP_1) | instskip(NEXT) | instid1(VALU_DEP_1)
	v_lshlrev_b64_e32 v[102:103], 1, v[102:103]
	v_add_co_u32 v102, vcc_lo, s40, v102
	s_wait_alu 0xfffd
	s_delay_alu instid0(VALU_DEP_2) | instskip(SKIP_3) | instid1(VALU_DEP_1)
	v_add_co_ci_u32_e64 v103, null, s41, v103, vcc_lo
	global_load_u16 v17, v[102:103], off
	s_wait_loadcnt 0x0
	v_cvt_f32_f16_e32 v17, v17
	v_mul_f32_e32 v17, v51, v17
	s_branch .LBB52_61
.LBB52_60:
	v_mov_b32_e32 v17, 0
.LBB52_61:
	s_delay_alu instid0(VALU_DEP_1) | instskip(SKIP_1) | instid1(VALU_DEP_2)
	v_add_f32_e32 v81, v81, v17
	v_max_num_f32_e32 v9, v9, v9
	v_add_f32_e32 v17, 0x40051340, v81
	s_delay_alu instid0(VALU_DEP_1)
	v_max_num_f32_e32 v9, v9, v17
.LBB52_62:
	s_wait_alu 0xfffe
	s_or_b32 exec_lo, exec_lo, s4
	s_and_saveexec_b32 s4, s3
	s_cbranch_execz .LBB52_67
; %bb.63:
	v_cmp_ne_u32_e32 vcc_lo, 1, v60
	s_cbranch_vccnz .LBB52_65
; %bb.64:
	v_ashrrev_i32_e32 v17, 31, v16
	v_add_co_u32 v16, vcc_lo, v16, v40
	s_wait_alu 0xfffd
	s_delay_alu instid0(VALU_DEP_2) | instskip(NEXT) | instid1(VALU_DEP_1)
	v_add_co_ci_u32_e64 v17, null, 0, v17, vcc_lo
	v_lshlrev_b64_e32 v[16:17], 1, v[16:17]
	s_delay_alu instid0(VALU_DEP_1) | instskip(SKIP_1) | instid1(VALU_DEP_2)
	v_add_co_u32 v16, vcc_lo, s40, v16
	s_wait_alu 0xfffd
	v_add_co_ci_u32_e64 v17, null, s41, v17, vcc_lo
	global_load_u16 v16, v[16:17], off offset:64
	s_wait_loadcnt 0x0
	v_cvt_f32_f16_e32 v16, v16
	s_delay_alu instid0(VALU_DEP_1)
	v_mul_f32_e32 v16, v51, v16
	s_branch .LBB52_66
.LBB52_65:
	v_mov_b32_e32 v16, 0
.LBB52_66:
	s_delay_alu instid0(VALU_DEP_1) | instskip(NEXT) | instid1(VALU_DEP_1)
	v_dual_add_f32 v84, v84, v16 :: v_dual_max_num_f32 v9, v9, v9
	v_add_f32_e32 v16, 0x40051340, v84
	s_delay_alu instid0(VALU_DEP_1)
	v_max_num_f32_e32 v9, v9, v16
.LBB52_67:
	s_wait_alu 0xfffe
	s_or_b32 exec_lo, exec_lo, s4
	ds_bpermute_b32 v16, v64, v9
	v_mul_hi_u32 v17, s24, v58
	s_wait_dscnt 0x0
	v_dual_max_num_f32 v9, v9, v9 :: v_dual_max_num_f32 v16, v16, v16
	s_delay_alu instid0(VALU_DEP_1) | instskip(SKIP_3) | instid1(VALU_DEP_1)
	v_max_num_f32_e32 v9, v9, v16
	ds_bpermute_b32 v16, v98, v9
	s_wait_dscnt 0x0
	v_max_num_f32_e32 v16, v16, v16
	v_max_num_f32_e32 v9, v9, v16
	ds_bpermute_b32 v16, v99, v9
	s_wait_dscnt 0x0
	v_max_num_f32_e32 v16, v16, v16
	s_delay_alu instid0(VALU_DEP_1) | instskip(SKIP_3) | instid1(VALU_DEP_1)
	v_max_num_f32_e32 v9, v9, v16
	ds_bpermute_b32 v16, v100, v9
	s_wait_dscnt 0x0
	v_max_num_f32_e32 v16, v16, v16
	v_dual_max_num_f32 v9, v9, v16 :: v_dual_add_nc_u32 v16, v58, v17
	ds_bpermute_b32 v17, v101, v9
	v_lshrrev_b32_e32 v16, s25, v16
	s_delay_alu instid0(VALU_DEP_1) | instskip(NEXT) | instid1(VALU_DEP_1)
	v_mul_lo_u32 v16, v16, s26
	v_sub_nc_u32_e32 v16, v58, v16
	s_wait_dscnt 0x0
	v_max_num_f32_e32 v58, v17, v17
	s_delay_alu instid0(VALU_DEP_2) | instskip(NEXT) | instid1(VALU_DEP_2)
	v_mad_co_u64_u32 v[16:17], null, v16, s14, s[38:39]
	v_max_num_f32_e32 v9, v9, v58
	s_and_saveexec_b32 s4, s2
	s_cbranch_execz .LBB52_72
; %bb.68:
	v_cmp_ne_u32_e32 vcc_lo, 1, v60
	s_cbranch_vccnz .LBB52_70
; %bb.69:
	s_delay_alu instid0(VALU_DEP_3) | instskip(NEXT) | instid1(VALU_DEP_1)
	v_add_nc_u32_e32 v102, v16, v40
	v_ashrrev_i32_e32 v103, 31, v102
	s_delay_alu instid0(VALU_DEP_1) | instskip(NEXT) | instid1(VALU_DEP_1)
	v_lshlrev_b64_e32 v[102:103], 1, v[102:103]
	v_add_co_u32 v102, vcc_lo, s40, v102
	s_wait_alu 0xfffd
	s_delay_alu instid0(VALU_DEP_2) | instskip(SKIP_3) | instid1(VALU_DEP_1)
	v_add_co_ci_u32_e64 v103, null, s41, v103, vcc_lo
	global_load_u16 v17, v[102:103], off
	s_wait_loadcnt 0x0
	v_cvt_f32_f16_e32 v17, v17
	v_mul_f32_e32 v17, v51, v17
	s_branch .LBB52_71
.LBB52_70:
	v_mov_b32_e32 v17, 0
.LBB52_71:
	s_delay_alu instid0(VALU_DEP_1) | instskip(NEXT) | instid1(VALU_DEP_1)
	v_dual_add_f32 v93, v93, v17 :: v_dual_max_num_f32 v10, v10, v10
	v_add_f32_e32 v17, 0x40051340, v93
	s_delay_alu instid0(VALU_DEP_1)
	v_max_num_f32_e32 v10, v10, v17
.LBB52_72:
	s_wait_alu 0xfffe
	s_or_b32 exec_lo, exec_lo, s4
	s_and_saveexec_b32 s4, s3
	s_cbranch_execz .LBB52_77
; %bb.73:
	v_cmp_ne_u32_e32 vcc_lo, 1, v60
	s_cbranch_vccnz .LBB52_75
; %bb.74:
	v_ashrrev_i32_e32 v17, 31, v16
	v_add_co_u32 v16, vcc_lo, v16, v40
	s_wait_alu 0xfffd
	s_delay_alu instid0(VALU_DEP_2) | instskip(NEXT) | instid1(VALU_DEP_1)
	v_add_co_ci_u32_e64 v17, null, 0, v17, vcc_lo
	v_lshlrev_b64_e32 v[16:17], 1, v[16:17]
	s_delay_alu instid0(VALU_DEP_1) | instskip(SKIP_1) | instid1(VALU_DEP_2)
	v_add_co_u32 v16, vcc_lo, s40, v16
	s_wait_alu 0xfffd
	v_add_co_ci_u32_e64 v17, null, s41, v17, vcc_lo
	global_load_u16 v16, v[16:17], off offset:64
	s_wait_loadcnt 0x0
	v_cvt_f32_f16_e32 v16, v16
	s_delay_alu instid0(VALU_DEP_1)
	v_mul_f32_e32 v16, v51, v16
	s_branch .LBB52_76
.LBB52_75:
	v_mov_b32_e32 v16, 0
.LBB52_76:
	s_delay_alu instid0(VALU_DEP_1) | instskip(NEXT) | instid1(VALU_DEP_1)
	v_dual_add_f32 v85, v85, v16 :: v_dual_max_num_f32 v10, v10, v10
	v_add_f32_e32 v16, 0x40051340, v85
	s_delay_alu instid0(VALU_DEP_1)
	v_max_num_f32_e32 v10, v10, v16
.LBB52_77:
	s_wait_alu 0xfffe
	s_or_b32 exec_lo, exec_lo, s4
	ds_bpermute_b32 v16, v64, v10
	v_max_num_f32_e32 v10, v10, v10
	v_mul_hi_u32 v17, s24, v56
	s_wait_dscnt 0x0
	v_max_num_f32_e32 v16, v16, v16
	s_delay_alu instid0(VALU_DEP_1) | instskip(SKIP_3) | instid1(VALU_DEP_1)
	v_max_num_f32_e32 v10, v10, v16
	ds_bpermute_b32 v16, v98, v10
	s_wait_dscnt 0x0
	v_max_num_f32_e32 v16, v16, v16
	v_max_num_f32_e32 v10, v10, v16
	ds_bpermute_b32 v16, v99, v10
	s_wait_dscnt 0x0
	v_max_num_f32_e32 v16, v16, v16
	s_delay_alu instid0(VALU_DEP_1) | instskip(SKIP_3) | instid1(VALU_DEP_1)
	v_max_num_f32_e32 v10, v10, v16
	ds_bpermute_b32 v16, v100, v10
	s_wait_dscnt 0x0
	v_max_num_f32_e32 v16, v16, v16
	v_max_num_f32_e32 v10, v10, v16
	v_add_nc_u32_e32 v16, v56, v17
	ds_bpermute_b32 v17, v101, v10
	v_lshrrev_b32_e32 v16, s25, v16
	s_delay_alu instid0(VALU_DEP_1) | instskip(NEXT) | instid1(VALU_DEP_1)
	v_mul_lo_u32 v16, v16, s26
	v_sub_nc_u32_e32 v16, v56, v16
	s_wait_dscnt 0x0
	v_max_num_f32_e32 v56, v17, v17
	s_delay_alu instid0(VALU_DEP_2) | instskip(NEXT) | instid1(VALU_DEP_2)
	v_mad_co_u64_u32 v[16:17], null, v16, s14, s[38:39]
	v_max_num_f32_e32 v10, v10, v56
	s_and_saveexec_b32 s4, s2
	s_cbranch_execz .LBB52_82
; %bb.78:
	v_cmp_ne_u32_e32 vcc_lo, 1, v60
	s_cbranch_vccnz .LBB52_80
; %bb.79:
	s_delay_alu instid0(VALU_DEP_3) | instskip(NEXT) | instid1(VALU_DEP_1)
	v_add_nc_u32_e32 v102, v16, v40
	v_ashrrev_i32_e32 v103, 31, v102
	s_delay_alu instid0(VALU_DEP_1) | instskip(NEXT) | instid1(VALU_DEP_1)
	v_lshlrev_b64_e32 v[102:103], 1, v[102:103]
	v_add_co_u32 v102, vcc_lo, s40, v102
	s_wait_alu 0xfffd
	s_delay_alu instid0(VALU_DEP_2) | instskip(SKIP_3) | instid1(VALU_DEP_1)
	v_add_co_ci_u32_e64 v103, null, s41, v103, vcc_lo
	global_load_u16 v17, v[102:103], off
	s_wait_loadcnt 0x0
	v_cvt_f32_f16_e32 v17, v17
	v_mul_f32_e32 v17, v51, v17
	s_branch .LBB52_81
.LBB52_80:
	v_mov_b32_e32 v17, 0
.LBB52_81:
	s_delay_alu instid0(VALU_DEP_1) | instskip(NEXT) | instid1(VALU_DEP_1)
	v_dual_add_f32 v94, v94, v17 :: v_dual_max_num_f32 v11, v11, v11
	v_add_f32_e32 v17, 0x40051340, v94
	s_delay_alu instid0(VALU_DEP_1)
	v_max_num_f32_e32 v11, v11, v17
.LBB52_82:
	s_wait_alu 0xfffe
	s_or_b32 exec_lo, exec_lo, s4
	s_and_saveexec_b32 s4, s3
	s_cbranch_execz .LBB52_87
; %bb.83:
	v_cmp_ne_u32_e32 vcc_lo, 1, v60
	s_cbranch_vccnz .LBB52_85
; %bb.84:
	v_ashrrev_i32_e32 v17, 31, v16
	v_add_co_u32 v16, vcc_lo, v16, v40
	s_wait_alu 0xfffd
	s_delay_alu instid0(VALU_DEP_2) | instskip(NEXT) | instid1(VALU_DEP_1)
	v_add_co_ci_u32_e64 v17, null, 0, v17, vcc_lo
	v_lshlrev_b64_e32 v[16:17], 1, v[16:17]
	s_delay_alu instid0(VALU_DEP_1) | instskip(SKIP_1) | instid1(VALU_DEP_2)
	v_add_co_u32 v16, vcc_lo, s40, v16
	s_wait_alu 0xfffd
	v_add_co_ci_u32_e64 v17, null, s41, v17, vcc_lo
	global_load_u16 v16, v[16:17], off offset:64
	s_wait_loadcnt 0x0
	v_cvt_f32_f16_e32 v16, v16
	s_delay_alu instid0(VALU_DEP_1)
	v_mul_f32_e32 v16, v51, v16
	s_branch .LBB52_86
.LBB52_85:
	v_mov_b32_e32 v16, 0
.LBB52_86:
	s_delay_alu instid0(VALU_DEP_1) | instskip(NEXT) | instid1(VALU_DEP_1)
	v_dual_add_f32 v86, v86, v16 :: v_dual_max_num_f32 v11, v11, v11
	v_add_f32_e32 v16, 0x40051340, v86
	s_delay_alu instid0(VALU_DEP_1)
	v_max_num_f32_e32 v11, v11, v16
.LBB52_87:
	s_wait_alu 0xfffe
	s_or_b32 exec_lo, exec_lo, s4
	ds_bpermute_b32 v16, v64, v11
	v_mul_hi_u32 v17, s24, v55
	s_wait_dscnt 0x0
	v_dual_max_num_f32 v11, v11, v11 :: v_dual_max_num_f32 v16, v16, v16
	s_delay_alu instid0(VALU_DEP_1) | instskip(SKIP_3) | instid1(VALU_DEP_1)
	v_max_num_f32_e32 v11, v11, v16
	ds_bpermute_b32 v16, v98, v11
	s_wait_dscnt 0x0
	v_max_num_f32_e32 v16, v16, v16
	v_max_num_f32_e32 v11, v11, v16
	ds_bpermute_b32 v16, v99, v11
	s_wait_dscnt 0x0
	v_max_num_f32_e32 v16, v16, v16
	s_delay_alu instid0(VALU_DEP_1) | instskip(SKIP_3) | instid1(VALU_DEP_1)
	v_max_num_f32_e32 v11, v11, v16
	ds_bpermute_b32 v16, v100, v11
	s_wait_dscnt 0x0
	v_max_num_f32_e32 v16, v16, v16
	v_max_num_f32_e32 v11, v11, v16
	v_add_nc_u32_e32 v16, v55, v17
	ds_bpermute_b32 v17, v101, v11
	v_lshrrev_b32_e32 v16, s25, v16
	s_delay_alu instid0(VALU_DEP_1) | instskip(NEXT) | instid1(VALU_DEP_1)
	v_mul_lo_u32 v16, v16, s26
	v_sub_nc_u32_e32 v16, v55, v16
	s_wait_dscnt 0x0
	v_max_num_f32_e32 v55, v17, v17
	s_delay_alu instid0(VALU_DEP_2) | instskip(NEXT) | instid1(VALU_DEP_2)
	v_mad_co_u64_u32 v[16:17], null, v16, s14, s[38:39]
	v_max_num_f32_e32 v11, v11, v55
	s_and_saveexec_b32 s4, s2
	s_cbranch_execz .LBB52_92
; %bb.88:
	v_cmp_ne_u32_e32 vcc_lo, 1, v60
	s_cbranch_vccnz .LBB52_90
; %bb.89:
	s_delay_alu instid0(VALU_DEP_3) | instskip(NEXT) | instid1(VALU_DEP_1)
	v_add_nc_u32_e32 v55, v16, v40
	v_ashrrev_i32_e32 v56, 31, v55
	s_delay_alu instid0(VALU_DEP_1) | instskip(NEXT) | instid1(VALU_DEP_1)
	v_lshlrev_b64_e32 v[55:56], 1, v[55:56]
	v_add_co_u32 v55, vcc_lo, s40, v55
	s_wait_alu 0xfffd
	s_delay_alu instid0(VALU_DEP_2) | instskip(SKIP_3) | instid1(VALU_DEP_1)
	v_add_co_ci_u32_e64 v56, null, s41, v56, vcc_lo
	global_load_u16 v17, v[55:56], off
	s_wait_loadcnt 0x0
	v_cvt_f32_f16_e32 v17, v17
	v_mul_f32_e32 v17, v51, v17
	s_branch .LBB52_91
.LBB52_90:
	v_mov_b32_e32 v17, 0
.LBB52_91:
	s_delay_alu instid0(VALU_DEP_1) | instskip(NEXT) | instid1(VALU_DEP_1)
	v_dual_add_f32 v95, v95, v17 :: v_dual_max_num_f32 v12, v12, v12
	v_add_f32_e32 v17, 0x40051340, v95
	s_delay_alu instid0(VALU_DEP_1)
	v_max_num_f32_e32 v12, v12, v17
.LBB52_92:
	s_wait_alu 0xfffe
	s_or_b32 exec_lo, exec_lo, s4
	s_and_saveexec_b32 s4, s3
	s_cbranch_execz .LBB52_97
; %bb.93:
	v_cmp_ne_u32_e32 vcc_lo, 1, v60
	s_cbranch_vccnz .LBB52_95
; %bb.94:
	v_ashrrev_i32_e32 v17, 31, v16
	v_add_co_u32 v16, vcc_lo, v16, v40
	s_wait_alu 0xfffd
	s_delay_alu instid0(VALU_DEP_2) | instskip(NEXT) | instid1(VALU_DEP_1)
	v_add_co_ci_u32_e64 v17, null, 0, v17, vcc_lo
	v_lshlrev_b64_e32 v[16:17], 1, v[16:17]
	s_delay_alu instid0(VALU_DEP_1) | instskip(SKIP_1) | instid1(VALU_DEP_2)
	v_add_co_u32 v16, vcc_lo, s40, v16
	s_wait_alu 0xfffd
	v_add_co_ci_u32_e64 v17, null, s41, v17, vcc_lo
	global_load_u16 v16, v[16:17], off offset:64
	s_wait_loadcnt 0x0
	v_cvt_f32_f16_e32 v16, v16
	s_delay_alu instid0(VALU_DEP_1)
	v_mul_f32_e32 v16, v51, v16
	s_branch .LBB52_96
.LBB52_95:
	v_mov_b32_e32 v16, 0
.LBB52_96:
	s_delay_alu instid0(VALU_DEP_1) | instskip(SKIP_1) | instid1(VALU_DEP_2)
	v_add_f32_e32 v89, v89, v16
	v_max_num_f32_e32 v12, v12, v12
	v_add_f32_e32 v16, 0x40051340, v89
	s_delay_alu instid0(VALU_DEP_1)
	v_max_num_f32_e32 v12, v12, v16
.LBB52_97:
	s_wait_alu 0xfffe
	s_or_b32 exec_lo, exec_lo, s4
	ds_bpermute_b32 v16, v64, v12
	v_max_num_f32_e32 v12, v12, v12
	v_mul_hi_u32 v17, s24, v54
	s_wait_dscnt 0x0
	v_max_num_f32_e32 v16, v16, v16
	s_delay_alu instid0(VALU_DEP_1) | instskip(SKIP_3) | instid1(VALU_DEP_1)
	v_max_num_f32_e32 v12, v12, v16
	ds_bpermute_b32 v16, v98, v12
	s_wait_dscnt 0x0
	v_max_num_f32_e32 v16, v16, v16
	v_max_num_f32_e32 v12, v12, v16
	ds_bpermute_b32 v16, v99, v12
	s_wait_dscnt 0x0
	v_max_num_f32_e32 v16, v16, v16
	s_delay_alu instid0(VALU_DEP_1) | instskip(SKIP_3) | instid1(VALU_DEP_1)
	v_max_num_f32_e32 v12, v12, v16
	ds_bpermute_b32 v16, v100, v12
	s_wait_dscnt 0x0
	v_max_num_f32_e32 v16, v16, v16
	v_max_num_f32_e32 v12, v12, v16
	v_add_nc_u32_e32 v16, v54, v17
	ds_bpermute_b32 v17, v101, v12
	v_lshrrev_b32_e32 v16, s25, v16
	s_delay_alu instid0(VALU_DEP_1) | instskip(NEXT) | instid1(VALU_DEP_1)
	v_mul_lo_u32 v16, v16, s26
	v_sub_nc_u32_e32 v16, v54, v16
	s_wait_dscnt 0x0
	v_max_num_f32_e32 v54, v17, v17
	s_delay_alu instid0(VALU_DEP_2) | instskip(NEXT) | instid1(VALU_DEP_2)
	v_mad_co_u64_u32 v[16:17], null, v16, s14, s[38:39]
	v_max_num_f32_e32 v12, v12, v54
	s_and_saveexec_b32 s4, s2
	s_cbranch_execz .LBB52_102
; %bb.98:
	v_cmp_ne_u32_e32 vcc_lo, 1, v60
	s_cbranch_vccnz .LBB52_100
; %bb.99:
	s_delay_alu instid0(VALU_DEP_3) | instskip(NEXT) | instid1(VALU_DEP_1)
	v_add_nc_u32_e32 v54, v16, v40
	v_ashrrev_i32_e32 v55, 31, v54
	s_delay_alu instid0(VALU_DEP_1) | instskip(NEXT) | instid1(VALU_DEP_1)
	v_lshlrev_b64_e32 v[54:55], 1, v[54:55]
	v_add_co_u32 v54, vcc_lo, s40, v54
	s_wait_alu 0xfffd
	s_delay_alu instid0(VALU_DEP_2) | instskip(SKIP_3) | instid1(VALU_DEP_1)
	v_add_co_ci_u32_e64 v55, null, s41, v55, vcc_lo
	global_load_u16 v17, v[54:55], off
	s_wait_loadcnt 0x0
	v_cvt_f32_f16_e32 v17, v17
	v_mul_f32_e32 v17, v51, v17
	s_branch .LBB52_101
.LBB52_100:
	v_mov_b32_e32 v17, 0
.LBB52_101:
	s_delay_alu instid0(VALU_DEP_1) | instskip(SKIP_1) | instid1(VALU_DEP_2)
	v_add_f32_e32 v96, v96, v17
	v_max_num_f32_e32 v13, v13, v13
	v_add_f32_e32 v17, 0x40051340, v96
	s_delay_alu instid0(VALU_DEP_1)
	v_max_num_f32_e32 v13, v13, v17
.LBB52_102:
	s_wait_alu 0xfffe
	s_or_b32 exec_lo, exec_lo, s4
	s_and_saveexec_b32 s4, s3
	s_cbranch_execz .LBB52_107
; %bb.103:
	v_cmp_ne_u32_e32 vcc_lo, 1, v60
	s_cbranch_vccnz .LBB52_105
; %bb.104:
	v_ashrrev_i32_e32 v17, 31, v16
	v_add_co_u32 v16, vcc_lo, v16, v40
	s_wait_alu 0xfffd
	s_delay_alu instid0(VALU_DEP_2) | instskip(NEXT) | instid1(VALU_DEP_1)
	v_add_co_ci_u32_e64 v17, null, 0, v17, vcc_lo
	v_lshlrev_b64_e32 v[16:17], 1, v[16:17]
	s_delay_alu instid0(VALU_DEP_1) | instskip(SKIP_1) | instid1(VALU_DEP_2)
	v_add_co_u32 v16, vcc_lo, s40, v16
	s_wait_alu 0xfffd
	v_add_co_ci_u32_e64 v17, null, s41, v17, vcc_lo
	global_load_u16 v16, v[16:17], off offset:64
	s_wait_loadcnt 0x0
	v_cvt_f32_f16_e32 v16, v16
	s_delay_alu instid0(VALU_DEP_1)
	v_mul_f32_e32 v16, v51, v16
	s_branch .LBB52_106
.LBB52_105:
	v_mov_b32_e32 v16, 0
.LBB52_106:
	s_delay_alu instid0(VALU_DEP_1) | instskip(NEXT) | instid1(VALU_DEP_1)
	v_add_f32_e32 v91, v91, v16
	v_dual_max_num_f32 v13, v13, v13 :: v_dual_add_f32 v16, 0x40051340, v91
	s_delay_alu instid0(VALU_DEP_1)
	v_max_num_f32_e32 v13, v13, v16
.LBB52_107:
	s_wait_alu 0xfffe
	s_or_b32 exec_lo, exec_lo, s4
	ds_bpermute_b32 v16, v64, v13
	v_mul_hi_u32 v17, s24, v53
	s_wait_dscnt 0x0
	v_dual_max_num_f32 v13, v13, v13 :: v_dual_max_num_f32 v16, v16, v16
	s_delay_alu instid0(VALU_DEP_1) | instskip(SKIP_3) | instid1(VALU_DEP_1)
	v_max_num_f32_e32 v13, v13, v16
	ds_bpermute_b32 v16, v98, v13
	s_wait_dscnt 0x0
	v_max_num_f32_e32 v16, v16, v16
	v_max_num_f32_e32 v13, v13, v16
	ds_bpermute_b32 v16, v99, v13
	s_wait_dscnt 0x0
	v_max_num_f32_e32 v16, v16, v16
	s_delay_alu instid0(VALU_DEP_1) | instskip(SKIP_3) | instid1(VALU_DEP_1)
	v_max_num_f32_e32 v13, v13, v16
	ds_bpermute_b32 v16, v100, v13
	s_wait_dscnt 0x0
	v_max_num_f32_e32 v16, v16, v16
	v_max_num_f32_e32 v13, v13, v16
	v_add_nc_u32_e32 v16, v53, v17
	ds_bpermute_b32 v17, v101, v13
	v_lshrrev_b32_e32 v16, s25, v16
	s_delay_alu instid0(VALU_DEP_1) | instskip(NEXT) | instid1(VALU_DEP_1)
	v_mul_lo_u32 v16, v16, s26
	v_sub_nc_u32_e32 v16, v53, v16
	s_wait_dscnt 0x0
	v_max_num_f32_e32 v53, v17, v17
	s_delay_alu instid0(VALU_DEP_2) | instskip(NEXT) | instid1(VALU_DEP_2)
	v_mad_co_u64_u32 v[16:17], null, v16, s14, s[38:39]
	v_max_num_f32_e32 v13, v13, v53
	s_and_saveexec_b32 s4, s2
	s_cbranch_execz .LBB52_112
; %bb.108:
	v_cmp_ne_u32_e32 vcc_lo, 1, v60
	s_cbranch_vccnz .LBB52_110
; %bb.109:
	s_delay_alu instid0(VALU_DEP_3) | instskip(NEXT) | instid1(VALU_DEP_1)
	v_add_nc_u32_e32 v53, v16, v40
	v_ashrrev_i32_e32 v54, 31, v53
	s_delay_alu instid0(VALU_DEP_1) | instskip(NEXT) | instid1(VALU_DEP_1)
	v_lshlrev_b64_e32 v[53:54], 1, v[53:54]
	v_add_co_u32 v53, vcc_lo, s40, v53
	s_wait_alu 0xfffd
	s_delay_alu instid0(VALU_DEP_2) | instskip(SKIP_3) | instid1(VALU_DEP_1)
	v_add_co_ci_u32_e64 v54, null, s41, v54, vcc_lo
	global_load_u16 v17, v[53:54], off
	s_wait_loadcnt 0x0
	v_cvt_f32_f16_e32 v17, v17
	v_mul_f32_e32 v17, v51, v17
	s_branch .LBB52_111
.LBB52_110:
	v_mov_b32_e32 v17, 0
.LBB52_111:
	s_delay_alu instid0(VALU_DEP_1) | instskip(NEXT) | instid1(VALU_DEP_1)
	v_dual_add_f32 v87, v87, v17 :: v_dual_max_num_f32 v14, v14, v14
	v_add_f32_e32 v17, 0x40051340, v87
	s_delay_alu instid0(VALU_DEP_1)
	v_max_num_f32_e32 v14, v14, v17
.LBB52_112:
	s_wait_alu 0xfffe
	s_or_b32 exec_lo, exec_lo, s4
	s_and_saveexec_b32 s4, s3
	s_cbranch_execz .LBB52_117
; %bb.113:
	v_cmp_ne_u32_e32 vcc_lo, 1, v60
	s_cbranch_vccnz .LBB52_115
; %bb.114:
	v_ashrrev_i32_e32 v17, 31, v16
	v_add_co_u32 v16, vcc_lo, v16, v40
	s_wait_alu 0xfffd
	s_delay_alu instid0(VALU_DEP_2) | instskip(NEXT) | instid1(VALU_DEP_1)
	v_add_co_ci_u32_e64 v17, null, 0, v17, vcc_lo
	v_lshlrev_b64_e32 v[16:17], 1, v[16:17]
	s_delay_alu instid0(VALU_DEP_1) | instskip(SKIP_1) | instid1(VALU_DEP_2)
	v_add_co_u32 v16, vcc_lo, s40, v16
	s_wait_alu 0xfffd
	v_add_co_ci_u32_e64 v17, null, s41, v17, vcc_lo
	global_load_u16 v16, v[16:17], off offset:64
	s_wait_loadcnt 0x0
	v_cvt_f32_f16_e32 v16, v16
	s_delay_alu instid0(VALU_DEP_1)
	v_mul_f32_e32 v16, v51, v16
	s_branch .LBB52_116
.LBB52_115:
	v_mov_b32_e32 v16, 0
.LBB52_116:
	s_delay_alu instid0(VALU_DEP_1) | instskip(SKIP_1) | instid1(VALU_DEP_2)
	v_add_f32_e32 v92, v92, v16
	v_max_num_f32_e32 v14, v14, v14
	v_add_f32_e32 v16, 0x40051340, v92
	s_delay_alu instid0(VALU_DEP_1)
	v_max_num_f32_e32 v14, v14, v16
.LBB52_117:
	s_wait_alu 0xfffe
	s_or_b32 exec_lo, exec_lo, s4
	ds_bpermute_b32 v16, v64, v14
	v_max_num_f32_e32 v14, v14, v14
	v_mul_hi_u32 v17, s24, v52
	s_wait_dscnt 0x0
	v_max_num_f32_e32 v16, v16, v16
	s_delay_alu instid0(VALU_DEP_1) | instskip(SKIP_3) | instid1(VALU_DEP_1)
	v_max_num_f32_e32 v14, v14, v16
	ds_bpermute_b32 v16, v98, v14
	s_wait_dscnt 0x0
	v_max_num_f32_e32 v16, v16, v16
	v_max_num_f32_e32 v14, v14, v16
	ds_bpermute_b32 v16, v99, v14
	s_wait_dscnt 0x0
	v_max_num_f32_e32 v16, v16, v16
	s_delay_alu instid0(VALU_DEP_1) | instskip(SKIP_3) | instid1(VALU_DEP_1)
	v_max_num_f32_e32 v14, v14, v16
	ds_bpermute_b32 v16, v100, v14
	s_wait_dscnt 0x0
	v_max_num_f32_e32 v16, v16, v16
	v_max_num_f32_e32 v14, v14, v16
	v_add_nc_u32_e32 v16, v52, v17
	ds_bpermute_b32 v17, v101, v14
	v_lshrrev_b32_e32 v16, s25, v16
	s_delay_alu instid0(VALU_DEP_1) | instskip(NEXT) | instid1(VALU_DEP_1)
	v_mul_lo_u32 v16, v16, s26
	v_sub_nc_u32_e32 v16, v52, v16
	s_wait_dscnt 0x0
	v_max_num_f32_e32 v52, v17, v17
	s_delay_alu instid0(VALU_DEP_2) | instskip(NEXT) | instid1(VALU_DEP_2)
	v_mad_co_u64_u32 v[16:17], null, v16, s14, s[38:39]
	v_max_num_f32_e32 v14, v14, v52
	s_and_saveexec_b32 s4, s2
	s_cbranch_execz .LBB52_122
; %bb.118:
	v_cmp_ne_u32_e32 vcc_lo, 1, v60
	s_cbranch_vccnz .LBB52_120
; %bb.119:
	s_delay_alu instid0(VALU_DEP_3) | instskip(NEXT) | instid1(VALU_DEP_1)
	v_add_nc_u32_e32 v52, v16, v40
	v_ashrrev_i32_e32 v53, 31, v52
	s_delay_alu instid0(VALU_DEP_1) | instskip(NEXT) | instid1(VALU_DEP_1)
	v_lshlrev_b64_e32 v[52:53], 1, v[52:53]
	v_add_co_u32 v52, vcc_lo, s40, v52
	s_wait_alu 0xfffd
	s_delay_alu instid0(VALU_DEP_2) | instskip(SKIP_3) | instid1(VALU_DEP_1)
	v_add_co_ci_u32_e64 v53, null, s41, v53, vcc_lo
	global_load_u16 v17, v[52:53], off
	s_wait_loadcnt 0x0
	v_cvt_f32_f16_e32 v17, v17
	v_mul_f32_e32 v17, v51, v17
	s_branch .LBB52_121
.LBB52_120:
	v_mov_b32_e32 v17, 0
.LBB52_121:
	s_delay_alu instid0(VALU_DEP_1) | instskip(NEXT) | instid1(VALU_DEP_1)
	v_dual_add_f32 v88, v88, v17 :: v_dual_max_num_f32 v15, v15, v15
	v_add_f32_e32 v17, 0x40051340, v88
	s_delay_alu instid0(VALU_DEP_1)
	v_max_num_f32_e32 v15, v15, v17
.LBB52_122:
	s_wait_alu 0xfffe
	s_or_b32 exec_lo, exec_lo, s4
	s_and_saveexec_b32 s2, s3
	s_cbranch_execz .LBB52_127
; %bb.123:
	v_cmp_ne_u32_e32 vcc_lo, 1, v60
	s_cbranch_vccnz .LBB52_125
; %bb.124:
	v_ashrrev_i32_e32 v17, 31, v16
	v_add_co_u32 v16, vcc_lo, v16, v40
	s_wait_alu 0xfffd
	s_delay_alu instid0(VALU_DEP_2) | instskip(NEXT) | instid1(VALU_DEP_1)
	v_add_co_ci_u32_e64 v17, null, 0, v17, vcc_lo
	v_lshlrev_b64_e32 v[16:17], 1, v[16:17]
	s_delay_alu instid0(VALU_DEP_1) | instskip(SKIP_1) | instid1(VALU_DEP_2)
	v_add_co_u32 v16, vcc_lo, s40, v16
	s_wait_alu 0xfffd
	v_add_co_ci_u32_e64 v17, null, s41, v17, vcc_lo
	global_load_u16 v16, v[16:17], off offset:64
	s_wait_loadcnt 0x0
	v_cvt_f32_f16_e32 v16, v16
	s_delay_alu instid0(VALU_DEP_1)
	v_mul_f32_e32 v16, v51, v16
	s_branch .LBB52_126
.LBB52_125:
	v_mov_b32_e32 v16, 0
.LBB52_126:
	s_delay_alu instid0(VALU_DEP_1) | instskip(NEXT) | instid1(VALU_DEP_1)
	v_dual_add_f32 v90, v90, v16 :: v_dual_max_num_f32 v15, v15, v15
	v_add_f32_e32 v16, 0x40051340, v90
	s_delay_alu instid0(VALU_DEP_1)
	v_max_num_f32_e32 v15, v15, v16
.LBB52_127:
	s_wait_alu 0xfffe
	s_or_b32 exec_lo, exec_lo, s2
	ds_bpermute_b32 v16, v64, v15
	v_max_num_f32_e32 v15, v15, v15
	s_wait_loadcnt_dscnt 0x0
	s_barrier_signal -1
	s_barrier_wait -1
	global_inv scope:SCOPE_SE
	s_mov_b64 s[14:15], src_private_base
	s_ashr_i32 s29, s28, 31
	v_dual_sub_f32 v104, v5, v13 :: v_dual_sub_f32 v105, v6, v14
	s_delay_alu instid0(VALU_DEP_1) | instskip(SKIP_1) | instid1(VALU_DEP_3)
	v_cmp_ngt_f32_e64 s11, 0xc2ce8ed0, v104
	v_cmp_nlt_f32_e64 s12, 0x42b17218, v104
	v_cmp_ngt_f32_e64 s13, 0xc2ce8ed0, v105
	v_cmp_nlt_f32_e64 s14, 0x42b17218, v105
	v_max_num_f32_e32 v16, v16, v16
	s_delay_alu instid0(VALU_DEP_1) | instskip(SKIP_3) | instid1(VALU_DEP_1)
	v_max_num_f32_e32 v15, v15, v16
	ds_bpermute_b32 v16, v98, v15
	v_sub_f32_e32 v98, v0, v8
	v_sub_f32_e32 v0, v93, v10
	v_cmp_ngt_f32_e32 vcc_lo, 0xc2ce8ed0, v0
	v_cmp_nlt_f32_e64 s2, 0x42b17218, v0
	s_wait_dscnt 0x0
	v_max_num_f32_e32 v16, v16, v16
	s_delay_alu instid0(VALU_DEP_1)
	v_max_num_f32_e32 v15, v15, v16
	ds_bpermute_b32 v16, v99, v15
	v_sub_f32_e32 v99, v1, v9
	v_mul_f32_e32 v1, 0x3fb8aa3b, v0
	s_wait_dscnt 0x0
	v_max_num_f32_e32 v16, v16, v16
	s_delay_alu instid0(VALU_DEP_1) | instskip(SKIP_3) | instid1(VALU_DEP_1)
	v_max_num_f32_e32 v15, v15, v16
	ds_bpermute_b32 v16, v100, v15
	v_sub_f32_e32 v100, v2, v10
	v_fma_f32 v2, 0x3fb8aa3b, v0, -v1
	v_fmac_f32_e32 v2, 0x32a5705f, v0
	v_sub_f32_e32 v0, v94, v11
	v_lshl_add_u32 v94, v48, 1, v50
	v_mul_f32_e32 v50, 0x3fb8aa3b, v99
	s_delay_alu instid0(VALU_DEP_3) | instskip(SKIP_3) | instid1(VALU_DEP_1)
	v_cmp_ngt_f32_e64 s3, 0xc2ce8ed0, v0
	v_cmp_nlt_f32_e64 s4, 0x42b17218, v0
	s_wait_dscnt 0x0
	v_dual_max_num_f32 v16, v16, v16 :: v_dual_add_nc_u32 v93, 16, v94
	v_max_num_f32_e32 v15, v15, v16
	ds_bpermute_b32 v16, v101, v15
	v_sub_f32_e32 v101, v3, v11
	v_mul_f32_e32 v3, 0x3fb8aa3b, v0
	v_sub_f32_e32 v102, v4, v12
	s_delay_alu instid0(VALU_DEP_2) | instskip(NEXT) | instid1(VALU_DEP_1)
	v_fma_f32 v4, 0x3fb8aa3b, v0, -v3
	v_fmac_f32_e32 v4, 0x32a5705f, v0
	v_sub_f32_e32 v0, v95, v12
	s_delay_alu instid0(VALU_DEP_1)
	v_mul_f32_e32 v5, 0x3fb8aa3b, v0
	v_cmp_ngt_f32_e64 s5, 0xc2ce8ed0, v0
	v_cmp_nlt_f32_e64 s6, 0x42b17218, v0
	s_wait_dscnt 0x0
	v_max_num_f32_e32 v16, v16, v16
	v_fma_f32 v6, 0x3fb8aa3b, v0, -v5
	s_delay_alu instid0(VALU_DEP_2) | instskip(NEXT) | instid1(VALU_DEP_2)
	v_max_num_f32_e32 v15, v15, v16
	v_fmac_f32_e32 v6, 0x32a5705f, v0
	v_rndne_f32_e32 v0, v1
	s_delay_alu instid0(VALU_DEP_1) | instskip(SKIP_1) | instid1(VALU_DEP_2)
	v_sub_f32_e32 v1, v1, v0
	v_cvt_i32_f32_e32 v0, v0
	v_add_f32_e32 v1, v1, v2
	v_rndne_f32_e32 v2, v3
	s_delay_alu instid0(VALU_DEP_2) | instskip(NEXT) | instid1(VALU_DEP_1)
	v_exp_f32_e32 v1, v1
	v_sub_f32_e32 v3, v3, v2
	v_cvt_i32_f32_e32 v2, v2
	v_cmp_nlt_f32_e64 s10, 0x42b17218, v102
	s_delay_alu instid0(VALU_DEP_3) | instskip(SKIP_1) | instid1(TRANS32_DEP_1)
	v_add_f32_e32 v3, v3, v4
	v_rndne_f32_e32 v4, v5
	v_ldexp_f32 v0, v1, v0
	s_delay_alu instid0(VALU_DEP_3) | instskip(NEXT) | instid1(VALU_DEP_2)
	v_exp_f32_e32 v1, v3
	v_sub_f32_e32 v5, v5, v4
	v_cvt_i32_f32_e32 v3, v4
	s_delay_alu instid0(VALU_DEP_2) | instskip(SKIP_1) | instid1(TRANS32_DEP_1)
	v_dual_add_f32 v5, v5, v6 :: v_dual_sub_f32 v6, v96, v13
	v_sub_f32_e32 v103, v7, v15
	v_ldexp_f32 v1, v1, v2
	s_delay_alu instid0(VALU_DEP_3) | instskip(NEXT) | instid1(VALU_DEP_3)
	v_exp_f32_e32 v2, v5
	v_mul_f32_e32 v7, 0x3fb8aa3b, v6
	v_cmp_ngt_f32_e64 s7, 0xc2ce8ed0, v6
	v_cmp_nlt_f32_e64 s8, 0x42b17218, v6
	s_wait_alu 0xf1ff
	v_cndmask_b32_e64 v1, 0, v1, s3
	v_fma_f32 v16, 0x3fb8aa3b, v6, -v7
	v_rndne_f32_e32 v17, v7
	s_delay_alu instid0(VALU_DEP_3) | instskip(NEXT) | instid1(TRANS32_DEP_1)
	v_cndmask_b32_e64 v1, 0x7f800000, v1, s4
	v_ldexp_f32 v2, v2, v3
	s_delay_alu instid0(VALU_DEP_3)
	v_dual_fmac_f32 v16, 0x32a5705f, v6 :: v_dual_sub_f32 v7, v7, v17
	v_cvt_i32_f32_e32 v4, v17
	s_wait_alu 0xfffd
	v_cndmask_b32_e32 v0, 0, v0, vcc_lo
	v_cndmask_b32_e64 v2, 0, v2, s5
	v_cmp_gt_u32_e32 vcc_lo, s19, v40
	v_add_f32_e32 v7, v7, v16
	s_delay_alu instid0(VALU_DEP_3) | instskip(NEXT) | instid1(VALU_DEP_2)
	v_cndmask_b32_e64 v2, 0x7f800000, v2, s6
	v_exp_f32_e32 v3, v7
	s_wait_alu 0xfffd
	v_cndmask_b32_e32 v7, 0, v1, vcc_lo
	v_cndmask_b32_e64 v0, 0x7f800000, v0, s2
	v_cndmask_b32_e32 v17, 0, v2, vcc_lo
	s_delay_alu instid0(VALU_DEP_2) | instskip(NEXT) | instid1(VALU_DEP_2)
	v_cndmask_b32_e32 v51, 0, v0, vcc_lo
	v_cvt_f16_f32_e32 v1, v17
	s_delay_alu instid0(TRANS32_DEP_1) | instskip(NEXT) | instid1(VALU_DEP_3)
	v_ldexp_f32 v3, v3, v4
	v_cvt_f16_f32_e32 v0, v51
	s_delay_alu instid0(VALU_DEP_2) | instskip(NEXT) | instid1(VALU_DEP_1)
	v_cndmask_b32_e64 v3, 0, v3, s7
	v_cndmask_b32_e64 v3, 0x7f800000, v3, s8
	s_delay_alu instid0(VALU_DEP_1) | instskip(SKIP_1) | instid1(VALU_DEP_2)
	v_cndmask_b32_e32 v16, 0, v3, vcc_lo
	v_cvt_f16_f32_e32 v3, v7
	v_cvt_f16_f32_e32 v2, v16
	s_delay_alu instid0(VALU_DEP_1) | instskip(NEXT) | instid1(VALU_DEP_3)
	v_pack_b32_f16 v2, v1, v2
	v_pack_b32_f16 v1, v0, v3
	v_sub_f32_e32 v0, v80, v8
	s_delay_alu instid0(VALU_DEP_1) | instskip(SKIP_2) | instid1(VALU_DEP_3)
	v_mul_f32_e32 v3, 0x3fb8aa3b, v0
	v_cmp_ngt_f32_e64 s2, 0xc2ce8ed0, v0
	v_cmp_nlt_f32_e64 s3, 0x42b17218, v0
	v_fma_f32 v4, 0x3fb8aa3b, v0, -v3
	s_delay_alu instid0(VALU_DEP_1) | instskip(SKIP_1) | instid1(VALU_DEP_1)
	v_fmac_f32_e32 v4, 0x32a5705f, v0
	v_rndne_f32_e32 v0, v3
	v_sub_f32_e32 v3, v3, v0
	v_cvt_i32_f32_e32 v0, v0
	s_delay_alu instid0(VALU_DEP_2) | instskip(SKIP_1) | instid1(VALU_DEP_2)
	v_dual_add_f32 v3, v3, v4 :: v_dual_sub_f32 v4, v81, v9
	v_lshlrev_b32_e32 v81, 10, v48
	v_exp_f32_e32 v3, v3
	s_delay_alu instid0(VALU_DEP_2) | instskip(SKIP_2) | instid1(VALU_DEP_3)
	v_mul_f32_e32 v5, 0x3fb8aa3b, v4
	v_cmp_ngt_f32_e64 s4, 0xc2ce8ed0, v4
	v_cmp_nlt_f32_e64 s5, 0x42b17218, v4
	v_fma_f32 v6, 0x3fb8aa3b, v4, -v5
	v_rndne_f32_e32 v52, v5
	s_delay_alu instid0(TRANS32_DEP_1) | instskip(NEXT) | instid1(VALU_DEP_3)
	v_ldexp_f32 v0, v3, v0
	v_fmac_f32_e32 v6, 0x32a5705f, v4
	s_delay_alu instid0(VALU_DEP_3) | instskip(SKIP_1) | instid1(VALU_DEP_3)
	v_sub_f32_e32 v5, v5, v52
	s_wait_alu 0xf1ff
	v_cndmask_b32_e64 v0, 0, v0, s2
	s_delay_alu instid0(VALU_DEP_2) | instskip(NEXT) | instid1(VALU_DEP_2)
	v_add_f32_e32 v5, v5, v6
	v_cndmask_b32_e64 v0, 0x7f800000, v0, s3
	s_delay_alu instid0(VALU_DEP_2) | instskip(SKIP_1) | instid1(VALU_DEP_2)
	v_exp_f32_e32 v3, v5
	v_cvt_i32_f32_e32 v5, v52
	v_cndmask_b32_e32 v53, 0, v0, vcc_lo
	s_delay_alu instid0(VALU_DEP_1)
	v_cvt_f16_f32_e32 v0, v53
	s_delay_alu instid0(TRANS32_DEP_1) | instid1(VALU_DEP_3)
	v_ldexp_f32 v3, v3, v5
	s_delay_alu instid0(VALU_DEP_1) | instskip(NEXT) | instid1(VALU_DEP_1)
	v_cndmask_b32_e64 v3, 0, v3, s4
	v_cndmask_b32_e64 v3, 0x7f800000, v3, s5
	s_delay_alu instid0(VALU_DEP_1) | instskip(NEXT) | instid1(VALU_DEP_1)
	v_cndmask_b32_e32 v52, 0, v3, vcc_lo
	v_cvt_f16_f32_e32 v3, v52
	s_delay_alu instid0(VALU_DEP_1) | instskip(SKIP_1) | instid1(VALU_DEP_1)
	v_pack_b32_f16 v0, v0, v3
	v_sub_f32_e32 v3, v87, v14
	v_mul_f32_e32 v4, 0x3fb8aa3b, v3
	v_cmp_ngt_f32_e64 s2, 0xc2ce8ed0, v3
	v_cmp_nlt_f32_e64 s3, 0x42b17218, v3
	s_delay_alu instid0(VALU_DEP_3) | instskip(NEXT) | instid1(VALU_DEP_1)
	v_fma_f32 v5, 0x3fb8aa3b, v3, -v4
	v_fmac_f32_e32 v5, 0x32a5705f, v3
	v_rndne_f32_e32 v3, v4
	s_delay_alu instid0(VALU_DEP_1) | instskip(SKIP_1) | instid1(VALU_DEP_2)
	v_sub_f32_e32 v4, v4, v3
	v_cvt_i32_f32_e32 v3, v3
	v_add_f32_e32 v4, v4, v5
	v_sub_f32_e32 v5, v88, v15
	s_delay_alu instid0(VALU_DEP_2) | instskip(NEXT) | instid1(VALU_DEP_1)
	v_exp_f32_e32 v4, v4
	v_mul_f32_e32 v6, 0x3fb8aa3b, v5
	v_cmp_ngt_f32_e64 s4, 0xc2ce8ed0, v5
	v_cmp_nlt_f32_e64 s5, 0x42b17218, v5
	s_delay_alu instid0(VALU_DEP_3) | instskip(SKIP_1) | instid1(TRANS32_DEP_1)
	v_fma_f32 v54, 0x3fb8aa3b, v5, -v6
	v_rndne_f32_e32 v55, v6
	v_ldexp_f32 v3, v4, v3
	s_delay_alu instid0(VALU_DEP_3) | instskip(NEXT) | instid1(VALU_DEP_3)
	v_fmac_f32_e32 v54, 0x32a5705f, v5
	v_sub_f32_e32 v6, v6, v55
	s_wait_alu 0xf1ff
	s_delay_alu instid0(VALU_DEP_3) | instskip(NEXT) | instid1(VALU_DEP_2)
	v_cndmask_b32_e64 v3, 0, v3, s2
	v_add_f32_e32 v6, v6, v54
	s_delay_alu instid0(VALU_DEP_2) | instskip(NEXT) | instid1(VALU_DEP_2)
	v_cndmask_b32_e64 v3, 0x7f800000, v3, s3
	v_exp_f32_e32 v4, v6
	v_cvt_i32_f32_e32 v6, v55
	s_delay_alu instid0(VALU_DEP_2) | instskip(NEXT) | instid1(VALU_DEP_1)
	v_cndmask_b32_e32 v55, 0, v3, vcc_lo
	v_cvt_f16_f32_e32 v3, v55
	s_delay_alu instid0(TRANS32_DEP_1) | instid1(VALU_DEP_3)
	v_ldexp_f32 v4, v4, v6
	s_delay_alu instid0(VALU_DEP_1) | instskip(NEXT) | instid1(VALU_DEP_1)
	v_cndmask_b32_e64 v4, 0, v4, s4
	v_cndmask_b32_e64 v4, 0x7f800000, v4, s5
	s_delay_alu instid0(VALU_DEP_1) | instskip(NEXT) | instid1(VALU_DEP_1)
	v_cndmask_b32_e32 v54, 0, v4, vcc_lo
	v_cvt_f16_f32_e32 v4, v54
	s_delay_alu instid0(VALU_DEP_1) | instskip(SKIP_1) | instid1(VALU_DEP_1)
	v_pack_b32_f16 v3, v3, v4
	v_add_nc_u32_e32 v4, 0x6400, v81
	v_lshl_add_u32 v5, v40, 4, v4
	v_lshl_add_u32 v4, v97, 4, v4
	ds_store_b128 v5, v[0:3]
	v_sub_f32_e32 v0, v89, v12
	s_delay_alu instid0(VALU_DEP_1) | instskip(SKIP_2) | instid1(VALU_DEP_3)
	v_mul_f32_e32 v1, 0x3fb8aa3b, v0
	v_cmp_ngt_f32_e32 vcc_lo, 0xc2ce8ed0, v0
	v_cmp_nlt_f32_e64 s2, 0x42b17218, v0
	v_fma_f32 v2, 0x3fb8aa3b, v0, -v1
	s_delay_alu instid0(VALU_DEP_1) | instskip(SKIP_2) | instid1(VALU_DEP_2)
	v_fmac_f32_e32 v2, 0x32a5705f, v0
	v_sub_f32_e32 v0, v91, v13
	v_lshlrev_b32_e32 v91, 2, v49
	v_mul_f32_e32 v3, 0x3fb8aa3b, v0
	v_cmp_ngt_f32_e64 s3, 0xc2ce8ed0, v0
	v_cmp_nlt_f32_e64 s4, 0x42b17218, v0
	s_delay_alu instid0(VALU_DEP_4) | instskip(NEXT) | instid1(VALU_DEP_4)
	v_lshl_or_b32 v95, v94, 8, v91
	v_fma_f32 v5, 0x3fb8aa3b, v0, -v3
	s_delay_alu instid0(VALU_DEP_1) | instskip(NEXT) | instid1(VALU_DEP_1)
	v_dual_fmac_f32 v5, 0x32a5705f, v0 :: v_dual_sub_f32 v0, v92, v14
	v_mul_f32_e32 v6, 0x3fb8aa3b, v0
	v_cmp_ngt_f32_e64 s5, 0xc2ce8ed0, v0
	v_cmp_nlt_f32_e64 s6, 0x42b17218, v0
	s_delay_alu instid0(VALU_DEP_3) | instskip(NEXT) | instid1(VALU_DEP_1)
	v_fma_f32 v56, 0x3fb8aa3b, v0, -v6
	v_fmac_f32_e32 v56, 0x32a5705f, v0
	v_rndne_f32_e32 v0, v1
	s_delay_alu instid0(VALU_DEP_1) | instskip(SKIP_1) | instid1(VALU_DEP_2)
	v_sub_f32_e32 v1, v1, v0
	v_cvt_i32_f32_e32 v0, v0
	v_add_f32_e32 v1, v1, v2
	v_rndne_f32_e32 v2, v3
	s_delay_alu instid0(VALU_DEP_2) | instskip(NEXT) | instid1(VALU_DEP_1)
	v_exp_f32_e32 v1, v1
	v_sub_f32_e32 v3, v3, v2
	v_cvt_i32_f32_e32 v2, v2
	s_delay_alu instid0(VALU_DEP_2) | instskip(SKIP_1) | instid1(TRANS32_DEP_1)
	v_add_f32_e32 v3, v3, v5
	v_rndne_f32_e32 v5, v6
	v_ldexp_f32 v0, v1, v0
	s_delay_alu instid0(VALU_DEP_3) | instskip(NEXT) | instid1(VALU_DEP_2)
	v_exp_f32_e32 v1, v3
	v_sub_f32_e32 v6, v6, v5
	v_cvt_i32_f32_e32 v5, v5
	s_wait_alu 0xfffd
	v_cndmask_b32_e32 v0, 0, v0, vcc_lo
	v_cmp_gt_u32_e32 vcc_lo, s19, v97
	s_wait_alu 0xf1ff
	s_delay_alu instid0(VALU_DEP_2) | instskip(NEXT) | instid1(TRANS32_DEP_1)
	v_cndmask_b32_e64 v0, 0x7f800000, v0, s2
	v_ldexp_f32 v1, v1, v2
	v_sub_f32_e32 v2, v90, v15
	v_add_f32_e32 v6, v6, v56
	v_lshl_or_b32 v90, v93, 8, v91
	s_wait_alu 0xfffd
	v_cndmask_b32_e32 v60, 0, v0, vcc_lo
	v_cndmask_b32_e64 v1, 0, v1, s3
	v_mul_f32_e32 v3, 0x3fb8aa3b, v2
	v_exp_f32_e32 v6, v6
	v_cmp_ngt_f32_e64 s7, 0xc2ce8ed0, v2
	v_cmp_nlt_f32_e64 s8, 0x42b17218, v2
	v_cndmask_b32_e64 v1, 0x7f800000, v1, s4
	v_fma_f32 v56, 0x3fb8aa3b, v2, -v3
	v_rndne_f32_e32 v58, v3
	v_cvt_f16_f32_e32 v0, v60
	s_delay_alu instid0(VALU_DEP_4) | instskip(NEXT) | instid1(VALU_DEP_4)
	v_cndmask_b32_e32 v62, 0, v1, vcc_lo
	v_fmac_f32_e32 v56, 0x32a5705f, v2
	s_delay_alu instid0(VALU_DEP_4) | instskip(SKIP_2) | instid1(VALU_DEP_3)
	v_sub_f32_e32 v3, v3, v58
	v_ldexp_f32 v5, v6, v5
	v_cvt_i32_f32_e32 v6, v58
	v_add_f32_e32 v3, v3, v56
	s_delay_alu instid0(VALU_DEP_3) | instskip(SKIP_1) | instid1(VALU_DEP_3)
	v_cndmask_b32_e64 v2, 0, v5, s5
	v_cvt_f16_f32_e32 v5, v62
	v_exp_f32_e32 v3, v3
	s_delay_alu instid0(VALU_DEP_2) | instskip(NEXT) | instid1(VALU_DEP_1)
	v_cndmask_b32_e64 v2, 0x7f800000, v2, s6
	v_cndmask_b32_e32 v58, 0, v2, vcc_lo
	s_delay_alu instid0(TRANS32_DEP_1) | instskip(NEXT) | instid1(VALU_DEP_2)
	v_ldexp_f32 v3, v3, v6
	v_cvt_f16_f32_e32 v1, v58
	s_wait_alu 0xf1ff
	s_delay_alu instid0(VALU_DEP_2) | instskip(SKIP_1) | instid1(VALU_DEP_2)
	v_cndmask_b32_e64 v3, 0, v3, s7
	v_cmp_ngt_f32_e64 s7, 0xc2ce8ed0, v101
	v_cndmask_b32_e64 v3, 0x7f800000, v3, s8
	s_delay_alu instid0(VALU_DEP_1) | instskip(NEXT) | instid1(VALU_DEP_1)
	v_cndmask_b32_e32 v56, 0, v3, vcc_lo
	v_cvt_f16_f32_e32 v2, v56
	s_delay_alu instid0(VALU_DEP_1) | instskip(SKIP_2) | instid1(VALU_DEP_1)
	v_pack_b32_f16 v3, v1, v2
	v_pack_b32_f16 v2, v0, v5
	v_sub_f32_e32 v0, v85, v10
	v_mul_f32_e32 v1, 0x3fb8aa3b, v0
	s_delay_alu instid0(VALU_DEP_1) | instskip(SKIP_1) | instid1(VALU_DEP_2)
	v_fma_f32 v5, 0x3fb8aa3b, v0, -v1
	v_rndne_f32_e32 v6, v1
	v_fmac_f32_e32 v5, 0x32a5705f, v0
	s_delay_alu instid0(VALU_DEP_2) | instskip(SKIP_1) | instid1(VALU_DEP_2)
	v_sub_f32_e32 v1, v1, v6
	v_cvt_i32_f32_e32 v6, v6
	v_add_f32_e32 v1, v1, v5
	v_sub_f32_e32 v5, v86, v11
	v_cmp_ngt_f32_e64 s2, 0xc2ce8ed0, v0
	v_cmp_nlt_f32_e64 s3, 0x42b17218, v0
	s_delay_alu instid0(VALU_DEP_3) | instskip(SKIP_2) | instid1(VALU_DEP_3)
	v_mul_f32_e32 v64, 0x3fb8aa3b, v5
	v_cmp_ngt_f32_e64 s4, 0xc2ce8ed0, v5
	v_cmp_nlt_f32_e64 s5, 0x42b17218, v5
	v_fma_f32 v80, 0x3fb8aa3b, v5, -v64
	v_rndne_f32_e32 v85, v64
	s_delay_alu instid0(VALU_DEP_2) | instskip(NEXT) | instid1(VALU_DEP_2)
	v_fmac_f32_e32 v80, 0x32a5705f, v5
	v_sub_f32_e32 v64, v64, v85
	s_delay_alu instid0(VALU_DEP_1) | instskip(SKIP_1) | instid1(VALU_DEP_1)
	v_add_f32_e32 v64, v64, v80
	v_exp_f32_e32 v1, v1
	v_exp_f32_e32 v0, v64
	s_delay_alu instid0(TRANS32_DEP_2) | instskip(SKIP_2) | instid1(VALU_DEP_2)
	v_ldexp_f32 v1, v1, v6
	v_cvt_i32_f32_e32 v6, v85
	s_wait_alu 0xf1ff
	v_cndmask_b32_e64 v1, 0, v1, s2
	s_delay_alu instid0(TRANS32_DEP_1) | instid1(VALU_DEP_2)
	v_ldexp_f32 v0, v0, v6
	s_delay_alu instid0(VALU_DEP_2) | instskip(NEXT) | instid1(VALU_DEP_2)
	v_cndmask_b32_e64 v1, 0x7f800000, v1, s3
	v_cndmask_b32_e64 v0, 0, v0, s4
	s_delay_alu instid0(VALU_DEP_2) | instskip(NEXT) | instid1(VALU_DEP_2)
	v_cndmask_b32_e32 v80, 0, v1, vcc_lo
	v_cndmask_b32_e64 v0, 0x7f800000, v0, s5
	s_delay_alu instid0(VALU_DEP_1) | instskip(NEXT) | instid1(VALU_DEP_3)
	v_cndmask_b32_e32 v64, 0, v0, vcc_lo
	v_cvt_f16_f32_e32 v0, v80
	s_delay_alu instid0(VALU_DEP_2) | instskip(NEXT) | instid1(VALU_DEP_1)
	v_cvt_f16_f32_e32 v1, v64
	v_pack_b32_f16 v1, v0, v1
	v_sub_f32_e32 v0, v83, v8
	s_delay_alu instid0(VALU_DEP_1) | instskip(NEXT) | instid1(VALU_DEP_1)
	v_mul_f32_e32 v5, 0x3fb8aa3b, v0
	v_fma_f32 v6, 0x3fb8aa3b, v0, -v5
	v_rndne_f32_e32 v83, v5
	s_delay_alu instid0(VALU_DEP_1) | instskip(SKIP_1) | instid1(VALU_DEP_2)
	v_dual_fmac_f32 v6, 0x32a5705f, v0 :: v_dual_sub_f32 v5, v5, v83
	v_cvt_i32_f32_e32 v83, v83
	v_dual_add_f32 v5, v5, v6 :: v_dual_sub_f32 v6, v84, v9
	v_add_f32_e32 v7, v7, v64
	s_delay_alu instid0(VALU_DEP_2) | instskip(NEXT) | instid1(VALU_DEP_2)
	v_exp_f32_e32 v5, v5
	v_mul_f32_e32 v84, 0x3fb8aa3b, v6
	v_cmp_ngt_f32_e64 s4, 0xc2ce8ed0, v6
	v_cmp_nlt_f32_e64 s5, 0x42b17218, v6
	s_delay_alu instid0(VALU_DEP_3) | instskip(SKIP_1) | instid1(TRANS32_DEP_1)
	v_fma_f32 v85, 0x3fb8aa3b, v6, -v84
	v_rndne_f32_e32 v86, v84
	v_ldexp_f32 v5, v5, v83
	s_delay_alu instid0(VALU_DEP_3) | instskip(NEXT) | instid1(VALU_DEP_3)
	v_fmac_f32_e32 v85, 0x32a5705f, v6
	v_sub_f32_e32 v84, v84, v86
	v_cmp_ngt_f32_e64 s2, 0xc2ce8ed0, v0
	v_cmp_nlt_f32_e64 s3, 0x42b17218, v0
	v_cvt_i32_f32_e32 v83, v86
	s_delay_alu instid0(VALU_DEP_4) | instskip(SKIP_2) | instid1(VALU_DEP_2)
	v_add_f32_e32 v84, v84, v85
	s_wait_alu 0xf1ff
	v_cndmask_b32_e64 v5, 0, v5, s2
	v_exp_f32_e32 v0, v84
	s_delay_alu instid0(VALU_DEP_1)
	v_cndmask_b32_e64 v5, 0x7f800000, v5, s3
	s_wait_alu 0xfffe
	s_mul_u64 s[2:3], s[38:39], s[28:29]
	s_wait_alu 0xfffe
	s_lshl_b64 s[2:3], s[2:3], 2
	v_cndmask_b32_e32 v84, 0, v5, vcc_lo
	s_wait_alu 0xfffe
	s_add_nc_u64 s[8:9], s[30:31], s[2:3]
	s_delay_alu instid0(TRANS32_DEP_1) | instskip(NEXT) | instid1(VALU_DEP_1)
	v_ldexp_f32 v0, v0, v83
	v_cndmask_b32_e64 v0, 0, v0, s4
	s_mov_b32 s4, 0
	s_wait_alu 0xfffe
	s_mov_b32 s6, s4
	s_delay_alu instid0(VALU_DEP_1) | instskip(SKIP_1) | instid1(VALU_DEP_1)
	v_cndmask_b32_e64 v0, 0x7f800000, v0, s5
	s_mov_b32 s5, s4
	v_cndmask_b32_e32 v83, 0, v0, vcc_lo
	v_cvt_f16_f32_e32 v0, v84
	v_cmp_gt_i32_e32 vcc_lo, s19, v94
	s_delay_alu instid0(VALU_DEP_3) | instskip(NEXT) | instid1(VALU_DEP_1)
	v_cvt_f16_f32_e32 v5, v83
	v_pack_b32_f16 v0, v0, v5
	ds_store_b128 v4, v[0:3]
	v_mul_lo_u32 v3, s28, v94
	s_delay_alu instid0(VALU_DEP_1) | instskip(NEXT) | instid1(VALU_DEP_1)
	v_ashrrev_i32_e32 v4, 31, v3
	v_lshlrev_b64_e32 v[5:6], 2, v[3:4]
	v_lshl_add_u32 v3, s28, 4, v3
	s_delay_alu instid0(VALU_DEP_2) | instskip(SKIP_1) | instid1(VALU_DEP_3)
	v_add_co_u32 v0, s2, s8, v5
	s_wait_alu 0xf1ff
	v_add_co_ci_u32_e64 v1, null, s9, v6, s2
	s_delay_alu instid0(VALU_DEP_3) | instskip(NEXT) | instid1(VALU_DEP_3)
	v_ashrrev_i32_e32 v4, 31, v3
	v_add_co_u32 v0, s3, v0, v91
	s_wait_alu 0xf1ff
	s_delay_alu instid0(VALU_DEP_3) | instskip(NEXT) | instid1(VALU_DEP_3)
	v_add_co_ci_u32_e64 v1, null, 0, v1, s3
	v_lshlrev_b64_e32 v[3:4], 2, v[3:4]
	s_wait_alu 0xfffd
	v_cndmask_b32_e32 v48, 0, v0, vcc_lo
	s_delay_alu instid0(VALU_DEP_3)
	v_cndmask_b32_e32 v49, s15, v1, vcc_lo
	s_wait_alu 0xfffe
	v_dual_mov_b32 v0, s4 :: v_dual_mov_b32 v1, s5
	v_mov_b32_e32 v2, s6
	v_cmp_gt_i32_e32 vcc_lo, s19, v93
	v_mov_b32_e32 v92, 0
	v_cmp_nlt_f32_e64 s4, 0x42b17218, v99
	v_cmp_ngt_f32_e64 s5, 0xc2ce8ed0, v100
	scratch_store_b96 off, v[0:2], off offset:4
	v_cmp_nlt_f32_e64 s6, 0x42b17218, v100
	scratch_store_b32 off, v92, off
	flat_load_b128 v[85:88], v[48:49]
	v_add_co_u32 v48, s2, s8, v3
	s_wait_alu 0xf1ff
	v_add_co_ci_u32_e64 v49, null, s9, v4, s2
	v_cmp_nlt_f32_e64 s2, 0x42b17218, v98
	s_delay_alu instid0(VALU_DEP_3) | instskip(SKIP_1) | instid1(VALU_DEP_3)
	v_add_co_u32 v48, s3, v48, v91
	s_wait_alu 0xf1ff
	v_add_co_ci_u32_e64 v49, null, 0, v49, s3
	v_cmp_ngt_f32_e64 s3, 0xc2ce8ed0, v99
	s_wait_alu 0xfffd
	v_cndmask_b32_e32 v48, 0, v48, vcc_lo
	v_cmp_nlt_f32_e64 s8, 0x42b17218, v101
	v_cndmask_b32_e32 v49, s15, v49, vcc_lo
	v_cmp_ngt_f32_e32 vcc_lo, 0xc2ce8ed0, v98
	v_cmp_ngt_f32_e64 s9, 0xc2ce8ed0, v102
	s_wait_loadcnt_dscnt 0x0
	ds_store_b128 v95, v[85:88] offset:16384
	s_clause 0x1
	scratch_store_b32 off, v92, off
	scratch_store_b96 off, v[0:2], off offset:4
	flat_load_b128 v[85:88], v[48:49]
	v_mul_f32_e32 v48, 0x3fb8aa3b, v98
	s_delay_alu instid0(VALU_DEP_1) | instskip(NEXT) | instid1(VALU_DEP_1)
	v_fma_f32 v49, 0x3fb8aa3b, v98, -v48
	v_fmac_f32_e32 v49, 0x32a5705f, v98
	v_mul_f32_e32 v98, 0x3fb8aa3b, v102
	s_wait_loadcnt_dscnt 0x0
	ds_store_b128 v90, v[85:88] offset:16384
	s_wait_storecnt_dscnt 0x0
	s_barrier_signal -1
	s_barrier_wait -1
	global_inv scope:SCOPE_SE
	ds_load_b128 v[85:88], v81 offset:25600
	s_wait_dscnt 0x0
	v_lshrrev_b32_e32 v96, 16, v85
	v_lshrrev_b32_e32 v97, 16, v86
	v_lshrrev_b32_e32 v106, 16, v87
	v_lshrrev_b32_e32 v107, 16, v88
	v_and_b32_e32 v108, 0xffff, v85
	v_and_b32_e32 v109, 0xffff, v86
	;; [unrolled: 1-line block ×4, first 2 shown]
	ds_load_b128 v[85:88], v81 offset:25616
	v_mul_u32_u24_e32 v96, 0x10001, v96
	s_wait_dscnt 0x0
	v_lshrrev_b32_e32 v113, 16, v86
	v_and_b32_e32 v117, 0xffff, v86
	v_mul_f32_e32 v86, 0x3fb8aa3b, v100
	v_lshrrev_b32_e32 v112, 16, v85
	v_lshrrev_b32_e32 v114, 16, v87
	;; [unrolled: 1-line block ×3, first 2 shown]
	v_and_b32_e32 v116, 0xffff, v85
	v_and_b32_e32 v118, 0xffff, v87
	;; [unrolled: 1-line block ×3, first 2 shown]
	v_fma_f32 v85, 0x3fb8aa3b, v99, -v50
	v_fma_f32 v87, 0x3fb8aa3b, v100, -v86
	v_mul_f32_e32 v88, 0x3fb8aa3b, v101
	s_delay_alu instid0(VALU_DEP_3) | instskip(NEXT) | instid1(VALU_DEP_3)
	v_fmac_f32_e32 v85, 0x32a5705f, v99
	v_fmac_f32_e32 v87, 0x32a5705f, v100
	s_delay_alu instid0(VALU_DEP_3) | instskip(SKIP_2) | instid1(VALU_DEP_3)
	v_fma_f32 v89, 0x3fb8aa3b, v101, -v88
	v_fma_f32 v99, 0x3fb8aa3b, v102, -v98
	v_mul_f32_e32 v100, 0x3fb8aa3b, v104
	v_fmac_f32_e32 v89, 0x32a5705f, v101
	s_delay_alu instid0(VALU_DEP_3) | instskip(NEXT) | instid1(VALU_DEP_3)
	v_fmac_f32_e32 v99, 0x32a5705f, v102
	v_fma_f32 v101, 0x3fb8aa3b, v104, -v100
	v_mul_f32_e32 v102, 0x3fb8aa3b, v105
	s_delay_alu instid0(VALU_DEP_2) | instskip(NEXT) | instid1(VALU_DEP_2)
	v_fmac_f32_e32 v101, 0x32a5705f, v104
	v_fma_f32 v104, 0x3fb8aa3b, v105, -v102
	s_delay_alu instid0(VALU_DEP_1) | instskip(SKIP_1) | instid1(VALU_DEP_1)
	v_fmac_f32_e32 v104, 0x32a5705f, v105
	v_rndne_f32_e32 v105, v48
	v_sub_f32_e32 v48, v48, v105
	s_delay_alu instid0(VALU_DEP_1) | instskip(SKIP_1) | instid1(VALU_DEP_2)
	v_add_f32_e32 v48, v48, v49
	v_rndne_f32_e32 v49, v50
	v_exp_f32_e32 v48, v48
	s_delay_alu instid0(VALU_DEP_1) | instskip(SKIP_1) | instid1(VALU_DEP_2)
	v_sub_f32_e32 v50, v50, v49
	v_cvt_i32_f32_e32 v49, v49
	v_add_f32_e32 v50, v50, v85
	v_rndne_f32_e32 v85, v86
	s_delay_alu instid0(VALU_DEP_2) | instskip(NEXT) | instid1(VALU_DEP_1)
	v_exp_f32_e32 v50, v50
	v_sub_f32_e32 v86, v86, v85
	v_cvt_i32_f32_e32 v85, v85
	s_delay_alu instid0(VALU_DEP_2) | instskip(SKIP_1) | instid1(TRANS32_DEP_1)
	v_add_f32_e32 v86, v86, v87
	v_rndne_f32_e32 v87, v88
	v_ldexp_f32 v49, v50, v49
	s_delay_alu instid0(VALU_DEP_3) | instskip(NEXT) | instid1(VALU_DEP_2)
	v_exp_f32_e32 v50, v86
	v_sub_f32_e32 v88, v88, v87
	v_cvt_i32_f32_e32 v86, v87
	s_wait_alu 0xf1ff
	v_cndmask_b32_e64 v49, 0, v49, s3
	s_delay_alu instid0(VALU_DEP_3) | instskip(SKIP_1) | instid1(VALU_DEP_3)
	v_add_f32_e32 v88, v88, v89
	v_rndne_f32_e32 v89, v98
	v_cndmask_b32_e64 v49, 0x7f800000, v49, s4
	s_delay_alu instid0(TRANS32_DEP_1) | instskip(NEXT) | instid1(VALU_DEP_4)
	v_ldexp_f32 v50, v50, v85
	v_exp_f32_e32 v85, v88
	s_delay_alu instid0(VALU_DEP_3) | instskip(SKIP_1) | instid1(VALU_DEP_3)
	v_sub_f32_e32 v98, v98, v89
	v_cvt_i32_f32_e32 v87, v89
	v_cndmask_b32_e64 v50, 0, v50, s5
	s_delay_alu instid0(VALU_DEP_3) | instskip(SKIP_1) | instid1(TRANS32_DEP_1)
	v_add_f32_e32 v98, v98, v99
	v_rndne_f32_e32 v99, v100
	v_ldexp_f32 v86, v85, v86
	s_delay_alu instid0(VALU_DEP_3) | instskip(NEXT) | instid1(VALU_DEP_2)
	v_exp_f32_e32 v85, v98
	v_sub_f32_e32 v100, v100, v99
	v_cvt_i32_f32_e32 v88, v99
	s_delay_alu instid0(VALU_DEP_2) | instskip(SKIP_1) | instid1(TRANS32_DEP_1)
	v_add_f32_e32 v100, v100, v101
	v_rndne_f32_e32 v101, v102
	v_ldexp_f32 v87, v85, v87
	s_delay_alu instid0(VALU_DEP_3) | instskip(NEXT) | instid1(VALU_DEP_2)
	v_exp_f32_e32 v85, v100
	v_sub_f32_e32 v102, v102, v101
	v_cvt_i32_f32_e32 v89, v101
	s_delay_alu instid0(VALU_DEP_2) | instskip(SKIP_1) | instid1(TRANS32_DEP_1)
	v_add_f32_e32 v102, v102, v104
	v_cvt_i32_f32_e32 v104, v105
	v_ldexp_f32 v88, v85, v88
	s_delay_alu instid0(VALU_DEP_3) | instskip(NEXT) | instid1(VALU_DEP_2)
	v_exp_f32_e32 v85, v102
	v_ldexp_f32 v48, v48, v104
	s_wait_alu 0xfffd
	s_delay_alu instid0(VALU_DEP_1) | instskip(SKIP_1) | instid1(TRANS32_DEP_1)
	v_cndmask_b32_e32 v48, 0, v48, vcc_lo
	v_cmp_ngt_f32_e32 vcc_lo, 0xc2ce8ed0, v103
	v_ldexp_f32 v89, v85, v89
	s_delay_alu instid0(VALU_DEP_3) | instskip(SKIP_1) | instid1(VALU_DEP_2)
	v_cndmask_b32_e64 v48, 0x7f800000, v48, s2
	v_cmp_nlt_f32_e64 s2, 0x42b17218, v103
	v_cvt_f16_f32_e32 v85, v48
	s_delay_alu instid0(VALU_DEP_1) | instskip(NEXT) | instid1(VALU_DEP_1)
	v_and_b32_e32 v85, 0xffff, v85
	v_mul_u32_u24_e32 v85, 0x10001, v85
	s_delay_alu instid0(VALU_DEP_1) | instskip(SKIP_2) | instid1(VALU_DEP_1)
	v_pk_mul_f16 v75, v75, v85
	v_pk_mul_f16 v76, v76, v85
	v_cvt_f16_f32_e32 v85, v49
	v_and_b32_e32 v85, 0xffff, v85
	s_delay_alu instid0(VALU_DEP_1) | instskip(NEXT) | instid1(VALU_DEP_1)
	v_mul_u32_u24_e32 v85, 0x10001, v85
	v_pk_mul_f16 v73, v73, v85
	v_pk_mul_f16 v74, v74, v85
	v_cndmask_b32_e64 v85, 0x7f800000, v50, s6
	s_delay_alu instid0(VALU_DEP_1) | instskip(NEXT) | instid1(VALU_DEP_1)
	v_cvt_f16_f32_e32 v50, v85
	v_and_b32_e32 v50, 0xffff, v50
	s_delay_alu instid0(VALU_DEP_1) | instskip(NEXT) | instid1(VALU_DEP_1)
	v_mul_u32_u24_e32 v50, 0x10001, v50
	v_pk_mul_f16 v72, v72, v50
	v_pk_mul_f16 v71, v71, v50
	v_cndmask_b32_e64 v50, 0, v86, s7
	s_delay_alu instid0(VALU_DEP_1) | instskip(NEXT) | instid1(VALU_DEP_1)
	v_cndmask_b32_e64 v50, 0x7f800000, v50, s8
	v_cvt_f16_f32_e32 v86, v50
	v_fmac_f32_e32 v7, v44, v50
	s_delay_alu instid0(VALU_DEP_2) | instskip(NEXT) | instid1(VALU_DEP_2)
	v_and_b32_e32 v86, 0xffff, v86
	v_mov_b32_e32 v44, v7
	s_delay_alu instid0(VALU_DEP_2) | instskip(NEXT) | instid1(VALU_DEP_1)
	v_mul_u32_u24_e32 v86, 0x10001, v86
	v_pk_mul_f16 v69, v69, v86
	v_pk_mul_f16 v70, v70, v86
	v_cndmask_b32_e64 v86, 0, v87, s9
	s_delay_alu instid0(VALU_DEP_1) | instskip(NEXT) | instid1(VALU_DEP_1)
	v_cndmask_b32_e64 v86, 0x7f800000, v86, s10
	v_cvt_f16_f32_e32 v87, v86
	s_delay_alu instid0(VALU_DEP_1) | instskip(NEXT) | instid1(VALU_DEP_1)
	v_and_b32_e32 v87, 0xffff, v87
	v_mul_u32_u24_e32 v87, 0x10001, v87
	s_delay_alu instid0(VALU_DEP_1) | instskip(SKIP_2) | instid1(VALU_DEP_2)
	v_pk_mul_f16 v98, v67, v87
	v_cndmask_b32_e64 v67, 0, v88, s11
	v_pk_mul_f16 v99, v68, v87
	v_cndmask_b32_e64 v87, 0x7f800000, v67, s12
	s_delay_alu instid0(VALU_DEP_1) | instskip(NEXT) | instid1(VALU_DEP_1)
	v_cvt_f16_f32_e32 v67, v87
	v_and_b32_e32 v67, 0xffff, v67
	s_delay_alu instid0(VALU_DEP_1) | instskip(NEXT) | instid1(VALU_DEP_1)
	v_mul_u32_u24_e32 v67, 0x10001, v67
	v_pk_mul_f16 v100, v65, v67
	v_mul_f32_e32 v65, 0x3fb8aa3b, v103
	v_pk_mul_f16 v101, v66, v67
	s_delay_alu instid0(VALU_DEP_2) | instskip(SKIP_1) | instid1(VALU_DEP_2)
	v_fma_f32 v66, 0x3fb8aa3b, v103, -v65
	v_rndne_f32_e32 v67, v65
	v_fmac_f32_e32 v66, 0x32a5705f, v103
	s_delay_alu instid0(VALU_DEP_2) | instskip(SKIP_1) | instid1(VALU_DEP_2)
	v_sub_f32_e32 v65, v65, v67
	v_mul_u32_u24_e32 v103, 0x10001, v108
	v_add_f32_e32 v65, v65, v66
	v_cndmask_b32_e64 v66, 0, v89, s13
	s_delay_alu instid0(VALU_DEP_1) | instskip(NEXT) | instid1(VALU_DEP_1)
	v_cndmask_b32_e64 v88, 0x7f800000, v66, s14
	v_cvt_f16_f32_e32 v66, v88
	s_delay_alu instid0(VALU_DEP_1) | instskip(NEXT) | instid1(VALU_DEP_1)
	v_and_b32_e32 v66, 0xffff, v66
	v_mul_u32_u24_e32 v66, 0x10001, v66
	s_delay_alu instid0(VALU_DEP_1)
	v_pk_mul_f16 v102, v61, v66
	v_exp_f32_e32 v61, v65
	v_cvt_i32_f32_e32 v65, v67
	v_pk_mul_f16 v63, v63, v66
	s_delay_alu instid0(TRANS32_DEP_1) | instid1(VALU_DEP_2)
	v_ldexp_f32 v61, v61, v65
	s_wait_alu 0xfffd
	s_delay_alu instid0(VALU_DEP_1) | instskip(SKIP_1) | instid1(VALU_DEP_1)
	v_cndmask_b32_e32 v61, 0, v61, vcc_lo
	s_wait_alu 0xf1ff
	v_cndmask_b32_e64 v89, 0x7f800000, v61, s2
	s_or_b32 s2, s38, 32
	s_wait_alu 0xfffe
	s_ashr_i32 s3, s2, 31
	s_delay_alu instid0(VALU_DEP_1)
	v_cvt_f16_f32_e32 v61, v89
	s_wait_alu 0xfffe
	s_mul_u64 s[2:3], s[2:3], s[28:29]
	s_wait_alu 0xfffe
	s_lshl_b64 s[2:3], s[2:3], 2
	v_and_b32_e32 v61, 0xffff, v61
	s_wait_alu 0xfffe
	s_add_nc_u64 s[4:5], s[30:31], s[2:3]
	s_sub_co_i32 s3, s19, 32
	s_wait_alu 0xfffe
	v_add_co_u32 v5, vcc_lo, s4, v5
	v_mul_u32_u24_e32 v61, 0x10001, v61
	s_wait_alu 0xfffd
	v_add_co_ci_u32_e64 v6, null, s5, v6, vcc_lo
	s_delay_alu instid0(VALU_DEP_3) | instskip(NEXT) | instid1(VALU_DEP_3)
	v_add_co_u32 v5, s2, v5, v91
	v_pk_mul_f16 v59, v59, v61
	v_pk_mul_f16 v57, v57, v61
	v_add_nc_u32_e32 v61, 0x4000, v21
	v_cmp_gt_i32_e32 vcc_lo, s3, v94
	s_wait_alu 0xf1ff
	v_add_co_ci_u32_e64 v6, null, 0, v6, s2
	ds_load_2addr_b64 v[65:68], v61 offset1:32
	s_wait_alu 0xfffd
	v_cndmask_b32_e32 v5, 0, v5, vcc_lo
	v_cndmask_b32_e32 v6, s15, v6, vcc_lo
	s_wait_dscnt 0x0
	v_pk_fma_f16 v73, v65, v96, v73
	v_pk_fma_f16 v74, v66, v96, v74
	v_mul_u32_u24_e32 v96, 0x10001, v109
	v_pk_fma_f16 v75, v65, v103, v75
	v_pk_fma_f16 v76, v66, v103, v76
	s_delay_alu instid0(VALU_DEP_3) | instskip(SKIP_2) | instid1(VALU_DEP_1)
	v_pk_fma_f16 v72, v65, v96, v72
	v_pk_fma_f16 v71, v66, v96, v71
	v_mul_u32_u24_e32 v96, 0x10001, v97
	v_pk_fma_f16 v69, v65, v96, v69
	v_pk_fma_f16 v70, v66, v96, v70
	v_mul_u32_u24_e32 v96, 0x10001, v110
	s_delay_alu instid0(VALU_DEP_1) | instskip(SKIP_2) | instid1(VALU_DEP_2)
	v_pk_fma_f16 v97, v65, v96, v98
	v_mul_u32_u24_e32 v98, 0x10001, v106
	v_pk_fma_f16 v96, v66, v96, v99
	v_pk_fma_f16 v99, v65, v98, v100
	v_mul_u32_u24_e32 v100, 0x10001, v111
	v_pk_fma_f16 v98, v66, v98, v101
	s_delay_alu instid0(VALU_DEP_2) | instskip(SKIP_2) | instid1(VALU_DEP_1)
	v_pk_fma_f16 v101, v65, v100, v102
	v_pk_fma_f16 v63, v66, v100, v63
	v_mul_u32_u24_e32 v100, 0x10001, v107
	v_pk_fma_f16 v59, v65, v100, v59
	v_mul_u32_u24_e32 v65, 0x10001, v116
	v_pk_fma_f16 v57, v66, v100, v57
	s_delay_alu instid0(VALU_DEP_2) | instskip(SKIP_2) | instid1(VALU_DEP_1)
	v_pk_fma_f16 v75, v67, v65, v75
	v_pk_fma_f16 v76, v68, v65, v76
	v_mul_u32_u24_e32 v65, 0x10001, v112
	v_pk_fma_f16 v73, v67, v65, v73
	v_pk_fma_f16 v74, v68, v65, v74
	v_mul_u32_u24_e32 v65, 0x10001, v117
	s_delay_alu instid0(VALU_DEP_1) | instskip(SKIP_2) | instid1(VALU_DEP_1)
	v_pk_fma_f16 v72, v67, v65, v72
	v_pk_fma_f16 v71, v68, v65, v71
	v_mul_u32_u24_e32 v65, 0x10001, v113
	v_pk_fma_f16 v69, v67, v65, v69
	v_pk_fma_f16 v70, v68, v65, v70
	v_mul_u32_u24_e32 v65, 0x10001, v118
	s_delay_alu instid0(VALU_DEP_1) | instskip(SKIP_2) | instid1(VALU_DEP_1)
	v_pk_fma_f16 v97, v67, v65, v97
	v_pk_fma_f16 v96, v68, v65, v96
	v_mul_u32_u24_e32 v65, 0x10001, v114
	v_pk_fma_f16 v99, v67, v65, v99
	v_pk_fma_f16 v98, v68, v65, v98
	v_mul_u32_u24_e32 v65, 0x10001, v119
	s_delay_alu instid0(VALU_DEP_1) | instskip(SKIP_2) | instid1(VALU_DEP_1)
	v_pk_fma_f16 v100, v67, v65, v101
	v_pk_fma_f16 v63, v68, v65, v63
	v_mul_u32_u24_e32 v65, 0x10001, v115
	v_pk_fma_f16 v59, v67, v65, v59
	v_pk_fma_f16 v57, v68, v65, v57
	ds_load_b128 v[65:68], v81 offset:25632
	s_wait_dscnt 0x0
	v_lshrrev_b32_e32 v101, 16, v65
	v_lshrrev_b32_e32 v102, 16, v66
	;; [unrolled: 1-line block ×4, first 2 shown]
	v_and_b32_e32 v105, 0xffff, v65
	v_and_b32_e32 v106, 0xffff, v66
	;; [unrolled: 1-line block ×4, first 2 shown]
	ds_load_b128 v[65:68], v81 offset:25648
	v_mul_u32_u24_e32 v101, 0x10001, v101
	v_mul_u32_u24_e32 v105, 0x10001, v105
	s_wait_dscnt 0x0
	v_lshrrev_b32_e32 v109, 16, v65
	v_lshrrev_b32_e32 v110, 16, v66
	;; [unrolled: 1-line block ×4, first 2 shown]
	v_and_b32_e32 v113, 0xffff, v65
	v_and_b32_e32 v114, 0xffff, v66
	;; [unrolled: 1-line block ×4, first 2 shown]
	ds_load_2addr_b64 v[65:68], v61 offset0:64 offset1:96
	s_wait_dscnt 0x0
	v_pk_fma_f16 v73, v65, v101, v73
	v_pk_fma_f16 v74, v66, v101, v74
	v_mul_u32_u24_e32 v101, 0x10001, v106
	v_pk_fma_f16 v75, v65, v105, v75
	v_pk_fma_f16 v76, v66, v105, v76
	s_delay_alu instid0(VALU_DEP_3) | instskip(SKIP_2) | instid1(VALU_DEP_1)
	v_pk_fma_f16 v72, v65, v101, v72
	v_pk_fma_f16 v71, v66, v101, v71
	v_mul_u32_u24_e32 v101, 0x10001, v102
	v_pk_fma_f16 v69, v65, v101, v69
	v_pk_fma_f16 v70, v66, v101, v70
	v_mul_u32_u24_e32 v101, 0x10001, v107
	s_delay_alu instid0(VALU_DEP_1) | instskip(SKIP_2) | instid1(VALU_DEP_1)
	v_pk_fma_f16 v97, v65, v101, v97
	v_pk_fma_f16 v96, v66, v101, v96
	v_mul_u32_u24_e32 v101, 0x10001, v103
	v_pk_fma_f16 v99, v65, v101, v99
	v_pk_fma_f16 v98, v66, v101, v98
	v_mul_u32_u24_e32 v101, 0x10001, v108
	s_delay_alu instid0(VALU_DEP_1) | instskip(SKIP_2) | instid1(VALU_DEP_1)
	v_pk_fma_f16 v100, v65, v101, v100
	v_pk_fma_f16 v63, v66, v101, v63
	v_mul_u32_u24_e32 v101, 0x10001, v104
	v_pk_fma_f16 v59, v65, v101, v59
	v_mul_u32_u24_e32 v65, 0x10001, v113
	v_pk_fma_f16 v57, v66, v101, v57
	s_delay_alu instid0(VALU_DEP_2) | instskip(SKIP_2) | instid1(VALU_DEP_1)
	v_pk_fma_f16 v75, v67, v65, v75
	v_pk_fma_f16 v76, v68, v65, v76
	v_mul_u32_u24_e32 v65, 0x10001, v109
	v_pk_fma_f16 v73, v67, v65, v73
	v_pk_fma_f16 v74, v68, v65, v74
	v_mul_u32_u24_e32 v65, 0x10001, v114
	s_delay_alu instid0(VALU_DEP_1) | instskip(SKIP_2) | instid1(VALU_DEP_1)
	v_pk_fma_f16 v72, v67, v65, v72
	v_pk_fma_f16 v71, v68, v65, v71
	v_mul_u32_u24_e32 v65, 0x10001, v110
	v_pk_fma_f16 v69, v67, v65, v69
	v_pk_fma_f16 v70, v68, v65, v70
	v_mul_u32_u24_e32 v65, 0x10001, v115
	s_delay_alu instid0(VALU_DEP_1) | instskip(SKIP_2) | instid1(VALU_DEP_1)
	;; [unrolled: 7-line block ×3, first 2 shown]
	v_pk_fma_f16 v100, v67, v65, v100
	v_pk_fma_f16 v63, v68, v65, v63
	v_mul_u32_u24_e32 v65, 0x10001, v112
	v_pk_fma_f16 v59, v67, v65, v59
	v_pk_fma_f16 v57, v68, v65, v57
	ds_load_b128 v[65:68], v81 offset:25664
	s_wait_dscnt 0x0
	v_lshrrev_b32_e32 v101, 16, v65
	v_lshrrev_b32_e32 v102, 16, v66
	;; [unrolled: 1-line block ×4, first 2 shown]
	v_and_b32_e32 v105, 0xffff, v65
	v_and_b32_e32 v106, 0xffff, v66
	;; [unrolled: 1-line block ×4, first 2 shown]
	ds_load_b128 v[65:68], v81 offset:25680
	v_mul_u32_u24_e32 v101, 0x10001, v101
	v_mul_u32_u24_e32 v105, 0x10001, v105
	s_wait_dscnt 0x0
	v_lshrrev_b32_e32 v109, 16, v65
	v_lshrrev_b32_e32 v110, 16, v66
	;; [unrolled: 1-line block ×4, first 2 shown]
	v_and_b32_e32 v113, 0xffff, v65
	v_and_b32_e32 v114, 0xffff, v66
	;; [unrolled: 1-line block ×4, first 2 shown]
	ds_load_2addr_b64 v[65:68], v61 offset0:128 offset1:160
	s_wait_dscnt 0x0
	v_pk_fma_f16 v73, v65, v101, v73
	v_pk_fma_f16 v74, v66, v101, v74
	v_mul_u32_u24_e32 v101, 0x10001, v106
	v_pk_fma_f16 v75, v65, v105, v75
	v_pk_fma_f16 v76, v66, v105, v76
	s_delay_alu instid0(VALU_DEP_3) | instskip(SKIP_2) | instid1(VALU_DEP_1)
	v_pk_fma_f16 v72, v65, v101, v72
	v_pk_fma_f16 v71, v66, v101, v71
	v_mul_u32_u24_e32 v101, 0x10001, v102
	v_pk_fma_f16 v69, v65, v101, v69
	v_pk_fma_f16 v70, v66, v101, v70
	v_mul_u32_u24_e32 v101, 0x10001, v107
	s_delay_alu instid0(VALU_DEP_1) | instskip(SKIP_2) | instid1(VALU_DEP_1)
	v_pk_fma_f16 v97, v65, v101, v97
	v_pk_fma_f16 v96, v66, v101, v96
	v_mul_u32_u24_e32 v101, 0x10001, v103
	v_pk_fma_f16 v99, v65, v101, v99
	v_pk_fma_f16 v98, v66, v101, v98
	v_mul_u32_u24_e32 v101, 0x10001, v108
	s_delay_alu instid0(VALU_DEP_1) | instskip(SKIP_2) | instid1(VALU_DEP_1)
	v_pk_fma_f16 v100, v65, v101, v100
	v_pk_fma_f16 v63, v66, v101, v63
	v_mul_u32_u24_e32 v101, 0x10001, v104
	v_pk_fma_f16 v59, v65, v101, v59
	v_mul_u32_u24_e32 v65, 0x10001, v113
	v_pk_fma_f16 v57, v66, v101, v57
	s_delay_alu instid0(VALU_DEP_2) | instskip(SKIP_2) | instid1(VALU_DEP_1)
	v_pk_fma_f16 v75, v67, v65, v75
	v_pk_fma_f16 v76, v68, v65, v76
	v_mul_u32_u24_e32 v65, 0x10001, v109
	v_pk_fma_f16 v73, v67, v65, v73
	v_pk_fma_f16 v74, v68, v65, v74
	v_mul_u32_u24_e32 v65, 0x10001, v114
	s_delay_alu instid0(VALU_DEP_1) | instskip(SKIP_2) | instid1(VALU_DEP_1)
	v_pk_fma_f16 v72, v67, v65, v72
	v_pk_fma_f16 v71, v68, v65, v71
	v_mul_u32_u24_e32 v65, 0x10001, v110
	v_pk_fma_f16 v69, v67, v65, v69
	v_pk_fma_f16 v70, v68, v65, v70
	v_mul_u32_u24_e32 v65, 0x10001, v115
	s_delay_alu instid0(VALU_DEP_1) | instskip(SKIP_2) | instid1(VALU_DEP_1)
	;; [unrolled: 7-line block ×3, first 2 shown]
	v_pk_fma_f16 v100, v67, v65, v100
	v_pk_fma_f16 v63, v68, v65, v63
	v_mul_u32_u24_e32 v65, 0x10001, v112
	v_pk_fma_f16 v59, v67, v65, v59
	v_pk_fma_f16 v57, v68, v65, v57
	ds_load_b128 v[65:68], v81 offset:25696
	s_wait_dscnt 0x0
	v_lshrrev_b32_e32 v101, 16, v65
	v_lshrrev_b32_e32 v102, 16, v66
	;; [unrolled: 1-line block ×4, first 2 shown]
	v_and_b32_e32 v105, 0xffff, v65
	v_and_b32_e32 v106, 0xffff, v66
	;; [unrolled: 1-line block ×4, first 2 shown]
	ds_load_b128 v[65:68], v81 offset:25712
	v_mul_u32_u24_e32 v101, 0x10001, v101
	v_mul_u32_u24_e32 v105, 0x10001, v105
	s_wait_dscnt 0x0
	v_lshrrev_b32_e32 v109, 16, v65
	v_lshrrev_b32_e32 v110, 16, v66
	;; [unrolled: 1-line block ×4, first 2 shown]
	v_and_b32_e32 v113, 0xffff, v65
	v_and_b32_e32 v114, 0xffff, v66
	;; [unrolled: 1-line block ×4, first 2 shown]
	ds_load_2addr_b64 v[65:68], v61 offset0:192 offset1:224
	s_wait_dscnt 0x0
	v_pk_fma_f16 v73, v65, v101, v73
	v_pk_fma_f16 v74, v66, v101, v74
	v_mul_u32_u24_e32 v101, 0x10001, v106
	v_pk_fma_f16 v75, v65, v105, v75
	v_pk_fma_f16 v76, v66, v105, v76
	s_delay_alu instid0(VALU_DEP_3) | instskip(SKIP_2) | instid1(VALU_DEP_1)
	v_pk_fma_f16 v72, v65, v101, v72
	v_pk_fma_f16 v71, v66, v101, v71
	v_mul_u32_u24_e32 v101, 0x10001, v102
	v_pk_fma_f16 v69, v65, v101, v69
	v_pk_fma_f16 v70, v66, v101, v70
	v_mul_u32_u24_e32 v101, 0x10001, v107
	s_delay_alu instid0(VALU_DEP_1) | instskip(SKIP_2) | instid1(VALU_DEP_1)
	v_pk_fma_f16 v97, v65, v101, v97
	v_pk_fma_f16 v96, v66, v101, v96
	v_mul_u32_u24_e32 v101, 0x10001, v103
	v_pk_fma_f16 v99, v65, v101, v99
	v_pk_fma_f16 v98, v66, v101, v98
	v_mul_u32_u24_e32 v101, 0x10001, v108
	s_delay_alu instid0(VALU_DEP_1) | instskip(SKIP_2) | instid1(VALU_DEP_1)
	v_pk_fma_f16 v100, v65, v101, v100
	v_pk_fma_f16 v63, v66, v101, v63
	v_mul_u32_u24_e32 v101, 0x10001, v104
	v_pk_fma_f16 v59, v65, v101, v59
	v_mul_u32_u24_e32 v65, 0x10001, v113
	v_pk_fma_f16 v57, v66, v101, v57
	s_delay_alu instid0(VALU_DEP_2) | instskip(SKIP_2) | instid1(VALU_DEP_1)
	v_pk_fma_f16 v75, v67, v65, v75
	v_pk_fma_f16 v76, v68, v65, v76
	v_mul_u32_u24_e32 v65, 0x10001, v109
	v_pk_fma_f16 v73, v67, v65, v73
	v_pk_fma_f16 v74, v68, v65, v74
	v_mul_u32_u24_e32 v65, 0x10001, v114
	s_delay_alu instid0(VALU_DEP_1) | instskip(SKIP_2) | instid1(VALU_DEP_1)
	v_pk_fma_f16 v72, v67, v65, v72
	v_pk_fma_f16 v71, v68, v65, v71
	v_mul_u32_u24_e32 v65, 0x10001, v110
	v_pk_fma_f16 v69, v67, v65, v69
	v_pk_fma_f16 v70, v68, v65, v70
	v_mul_u32_u24_e32 v65, 0x10001, v115
	s_delay_alu instid0(VALU_DEP_1) | instskip(SKIP_2) | instid1(VALU_DEP_1)
	;; [unrolled: 7-line block ×3, first 2 shown]
	v_pk_fma_f16 v100, v67, v65, v100
	v_pk_fma_f16 v63, v68, v65, v63
	v_mul_u32_u24_e32 v65, 0x10001, v112
	v_pk_fma_f16 v101, v67, v65, v59
	v_pk_fma_f16 v57, v68, v65, v57
	ds_load_b128 v[65:68], v81 offset:25728
	s_wait_dscnt 0x0
	v_lshrrev_b32_e32 v102, 16, v65
	v_lshrrev_b32_e32 v103, 16, v66
	;; [unrolled: 1-line block ×4, first 2 shown]
	v_and_b32_e32 v59, 0xffff, v65
	v_and_b32_e32 v106, 0xffff, v66
	;; [unrolled: 1-line block ×4, first 2 shown]
	ds_load_b128 v[65:68], v81 offset:25744
	v_mul_u32_u24_e32 v117, 0x10001, v59
	v_add_nc_u32_e32 v59, 0x4800, v21
	v_mul_u32_u24_e32 v102, 0x10001, v102
	s_wait_dscnt 0x0
	v_lshrrev_b32_e32 v109, 16, v65
	v_lshrrev_b32_e32 v110, 16, v66
	;; [unrolled: 1-line block ×4, first 2 shown]
	v_and_b32_e32 v113, 0xffff, v65
	v_and_b32_e32 v114, 0xffff, v66
	;; [unrolled: 1-line block ×4, first 2 shown]
	ds_load_2addr_b64 v[65:68], v59 offset1:32
	s_wait_dscnt 0x0
	v_pk_fma_f16 v73, v65, v102, v73
	v_pk_fma_f16 v74, v66, v102, v74
	v_mul_u32_u24_e32 v102, 0x10001, v106
	v_pk_fma_f16 v75, v65, v117, v75
	v_pk_fma_f16 v76, v66, v117, v76
	s_delay_alu instid0(VALU_DEP_3) | instskip(SKIP_2) | instid1(VALU_DEP_1)
	v_pk_fma_f16 v72, v65, v102, v72
	v_pk_fma_f16 v71, v66, v102, v71
	v_mul_u32_u24_e32 v102, 0x10001, v103
	v_pk_fma_f16 v69, v65, v102, v69
	v_pk_fma_f16 v70, v66, v102, v70
	v_mul_u32_u24_e32 v102, 0x10001, v107
	s_delay_alu instid0(VALU_DEP_1) | instskip(SKIP_2) | instid1(VALU_DEP_1)
	v_pk_fma_f16 v97, v65, v102, v97
	v_pk_fma_f16 v96, v66, v102, v96
	v_mul_u32_u24_e32 v102, 0x10001, v104
	v_pk_fma_f16 v99, v65, v102, v99
	v_pk_fma_f16 v98, v66, v102, v98
	v_mul_u32_u24_e32 v102, 0x10001, v108
	s_delay_alu instid0(VALU_DEP_1) | instskip(SKIP_2) | instid1(VALU_DEP_1)
	v_pk_fma_f16 v100, v65, v102, v100
	v_pk_fma_f16 v63, v66, v102, v63
	v_mul_u32_u24_e32 v102, 0x10001, v105
	v_pk_fma_f16 v57, v66, v102, v57
	v_mul_u32_u24_e32 v66, 0x10001, v113
	v_pk_fma_f16 v65, v65, v102, v101
	s_delay_alu instid0(VALU_DEP_2) | instskip(SKIP_2) | instid1(VALU_DEP_1)
	v_pk_fma_f16 v75, v67, v66, v75
	v_pk_fma_f16 v76, v68, v66, v76
	v_mul_u32_u24_e32 v66, 0x10001, v109
	v_pk_fma_f16 v73, v67, v66, v73
	v_pk_fma_f16 v74, v68, v66, v74
	v_mul_u32_u24_e32 v66, 0x10001, v114
	s_delay_alu instid0(VALU_DEP_1) | instskip(SKIP_2) | instid1(VALU_DEP_1)
	v_pk_fma_f16 v72, v67, v66, v72
	v_pk_fma_f16 v71, v68, v66, v71
	v_mul_u32_u24_e32 v66, 0x10001, v110
	v_pk_fma_f16 v69, v67, v66, v69
	v_pk_fma_f16 v70, v68, v66, v70
	v_mul_u32_u24_e32 v66, 0x10001, v115
	s_delay_alu instid0(VALU_DEP_1) | instskip(SKIP_2) | instid1(VALU_DEP_1)
	;; [unrolled: 7-line block ×3, first 2 shown]
	v_pk_fma_f16 v100, v67, v66, v100
	v_pk_fma_f16 v63, v68, v66, v63
	v_mul_u32_u24_e32 v66, 0x10001, v112
	v_pk_fma_f16 v101, v67, v66, v65
	v_pk_fma_f16 v57, v68, v66, v57
	ds_load_b128 v[65:68], v81 offset:25760
	s_wait_dscnt 0x0
	v_lshrrev_b32_e32 v102, 16, v65
	v_lshrrev_b32_e32 v103, 16, v66
	;; [unrolled: 1-line block ×4, first 2 shown]
	v_and_b32_e32 v106, 0xffff, v65
	v_and_b32_e32 v107, 0xffff, v66
	;; [unrolled: 1-line block ×4, first 2 shown]
	ds_load_b128 v[65:68], v81 offset:25776
	v_mul_u32_u24_e32 v102, 0x10001, v102
	v_mul_u32_u24_e32 v106, 0x10001, v106
	s_wait_dscnt 0x0
	v_lshrrev_b32_e32 v110, 16, v65
	v_lshrrev_b32_e32 v111, 16, v66
	;; [unrolled: 1-line block ×4, first 2 shown]
	v_and_b32_e32 v114, 0xffff, v65
	v_and_b32_e32 v115, 0xffff, v66
	;; [unrolled: 1-line block ×4, first 2 shown]
	ds_load_2addr_b64 v[65:68], v59 offset0:64 offset1:96
	s_wait_dscnt 0x0
	v_pk_fma_f16 v73, v65, v102, v73
	v_pk_fma_f16 v74, v66, v102, v74
	v_mul_u32_u24_e32 v102, 0x10001, v107
	v_pk_fma_f16 v75, v65, v106, v75
	v_pk_fma_f16 v76, v66, v106, v76
	s_delay_alu instid0(VALU_DEP_3) | instskip(SKIP_2) | instid1(VALU_DEP_1)
	v_pk_fma_f16 v72, v65, v102, v72
	v_pk_fma_f16 v71, v66, v102, v71
	v_mul_u32_u24_e32 v102, 0x10001, v103
	v_pk_fma_f16 v69, v65, v102, v69
	v_pk_fma_f16 v70, v66, v102, v70
	v_mul_u32_u24_e32 v102, 0x10001, v108
	s_delay_alu instid0(VALU_DEP_1) | instskip(SKIP_2) | instid1(VALU_DEP_1)
	v_pk_fma_f16 v97, v65, v102, v97
	v_pk_fma_f16 v96, v66, v102, v96
	v_mul_u32_u24_e32 v102, 0x10001, v104
	v_pk_fma_f16 v99, v65, v102, v99
	v_pk_fma_f16 v98, v66, v102, v98
	v_mul_u32_u24_e32 v102, 0x10001, v109
	s_delay_alu instid0(VALU_DEP_1) | instskip(SKIP_2) | instid1(VALU_DEP_1)
	v_pk_fma_f16 v100, v65, v102, v100
	v_pk_fma_f16 v63, v66, v102, v63
	v_mul_u32_u24_e32 v102, 0x10001, v105
	v_pk_fma_f16 v57, v66, v102, v57
	v_mul_u32_u24_e32 v66, 0x10001, v114
	v_pk_fma_f16 v65, v65, v102, v101
	s_delay_alu instid0(VALU_DEP_2) | instskip(SKIP_2) | instid1(VALU_DEP_1)
	v_pk_fma_f16 v75, v67, v66, v75
	v_pk_fma_f16 v76, v68, v66, v76
	v_mul_u32_u24_e32 v66, 0x10001, v110
	v_pk_fma_f16 v73, v67, v66, v73
	v_pk_fma_f16 v74, v68, v66, v74
	v_mul_u32_u24_e32 v66, 0x10001, v115
	s_delay_alu instid0(VALU_DEP_1) | instskip(SKIP_2) | instid1(VALU_DEP_1)
	v_pk_fma_f16 v72, v67, v66, v72
	v_pk_fma_f16 v71, v68, v66, v71
	v_mul_u32_u24_e32 v66, 0x10001, v111
	v_pk_fma_f16 v69, v67, v66, v69
	v_pk_fma_f16 v70, v68, v66, v70
	v_mul_u32_u24_e32 v66, 0x10001, v116
	s_delay_alu instid0(VALU_DEP_1) | instskip(SKIP_2) | instid1(VALU_DEP_1)
	;; [unrolled: 7-line block ×3, first 2 shown]
	v_pk_fma_f16 v100, v67, v66, v100
	v_pk_fma_f16 v63, v68, v66, v63
	v_mul_u32_u24_e32 v66, 0x10001, v113
	v_pk_fma_f16 v101, v67, v66, v65
	v_pk_fma_f16 v57, v68, v66, v57
	ds_load_b128 v[65:68], v81 offset:25792
	s_wait_dscnt 0x0
	v_lshrrev_b32_e32 v102, 16, v65
	v_lshrrev_b32_e32 v103, 16, v66
	;; [unrolled: 1-line block ×4, first 2 shown]
	v_and_b32_e32 v106, 0xffff, v65
	v_and_b32_e32 v107, 0xffff, v66
	;; [unrolled: 1-line block ×4, first 2 shown]
	ds_load_b128 v[65:68], v81 offset:25808
	v_mul_u32_u24_e32 v102, 0x10001, v102
	v_mul_u32_u24_e32 v106, 0x10001, v106
	s_wait_dscnt 0x0
	v_lshrrev_b32_e32 v110, 16, v65
	v_lshrrev_b32_e32 v111, 16, v66
	;; [unrolled: 1-line block ×4, first 2 shown]
	v_and_b32_e32 v114, 0xffff, v65
	v_and_b32_e32 v115, 0xffff, v66
	;; [unrolled: 1-line block ×4, first 2 shown]
	ds_load_2addr_b64 v[65:68], v59 offset0:128 offset1:160
	s_wait_dscnt 0x0
	v_pk_fma_f16 v73, v65, v102, v73
	v_pk_fma_f16 v74, v66, v102, v74
	v_mul_u32_u24_e32 v102, 0x10001, v107
	v_pk_fma_f16 v75, v65, v106, v75
	v_pk_fma_f16 v76, v66, v106, v76
	s_delay_alu instid0(VALU_DEP_3) | instskip(SKIP_2) | instid1(VALU_DEP_1)
	v_pk_fma_f16 v72, v65, v102, v72
	v_pk_fma_f16 v71, v66, v102, v71
	v_mul_u32_u24_e32 v102, 0x10001, v103
	v_pk_fma_f16 v69, v65, v102, v69
	v_pk_fma_f16 v70, v66, v102, v70
	v_mul_u32_u24_e32 v102, 0x10001, v108
	s_delay_alu instid0(VALU_DEP_1) | instskip(SKIP_2) | instid1(VALU_DEP_1)
	v_pk_fma_f16 v97, v65, v102, v97
	v_pk_fma_f16 v96, v66, v102, v96
	v_mul_u32_u24_e32 v102, 0x10001, v104
	v_pk_fma_f16 v99, v65, v102, v99
	v_pk_fma_f16 v98, v66, v102, v98
	v_mul_u32_u24_e32 v102, 0x10001, v109
	s_delay_alu instid0(VALU_DEP_1) | instskip(SKIP_2) | instid1(VALU_DEP_1)
	v_pk_fma_f16 v100, v65, v102, v100
	v_pk_fma_f16 v63, v66, v102, v63
	v_mul_u32_u24_e32 v102, 0x10001, v105
	v_pk_fma_f16 v57, v66, v102, v57
	v_mul_u32_u24_e32 v66, 0x10001, v114
	v_pk_fma_f16 v65, v65, v102, v101
	s_delay_alu instid0(VALU_DEP_2) | instskip(SKIP_2) | instid1(VALU_DEP_1)
	v_pk_fma_f16 v75, v67, v66, v75
	v_pk_fma_f16 v76, v68, v66, v76
	v_mul_u32_u24_e32 v66, 0x10001, v110
	v_pk_fma_f16 v73, v67, v66, v73
	v_pk_fma_f16 v74, v68, v66, v74
	v_mul_u32_u24_e32 v66, 0x10001, v115
	s_delay_alu instid0(VALU_DEP_1) | instskip(SKIP_2) | instid1(VALU_DEP_1)
	v_pk_fma_f16 v72, v67, v66, v72
	v_pk_fma_f16 v71, v68, v66, v71
	v_mul_u32_u24_e32 v66, 0x10001, v111
	v_pk_fma_f16 v69, v67, v66, v69
	v_pk_fma_f16 v70, v68, v66, v70
	v_mul_u32_u24_e32 v66, 0x10001, v116
	s_delay_alu instid0(VALU_DEP_1) | instskip(SKIP_2) | instid1(VALU_DEP_1)
	;; [unrolled: 7-line block ×3, first 2 shown]
	v_pk_fma_f16 v100, v67, v66, v100
	v_pk_fma_f16 v63, v68, v66, v63
	v_mul_u32_u24_e32 v66, 0x10001, v113
	v_pk_fma_f16 v101, v67, v66, v65
	v_pk_fma_f16 v57, v68, v66, v57
	ds_load_b128 v[65:68], v81 offset:25824
	s_wait_dscnt 0x0
	v_lshrrev_b32_e32 v102, 16, v65
	v_lshrrev_b32_e32 v103, 16, v66
	;; [unrolled: 1-line block ×4, first 2 shown]
	v_and_b32_e32 v106, 0xffff, v65
	v_and_b32_e32 v107, 0xffff, v66
	;; [unrolled: 1-line block ×4, first 2 shown]
	ds_load_b128 v[65:68], v81 offset:25840
	v_mul_u32_u24_e32 v102, 0x10001, v102
	v_mul_u32_u24_e32 v106, 0x10001, v106
	s_wait_dscnt 0x0
	v_lshrrev_b32_e32 v110, 16, v65
	v_lshrrev_b32_e32 v111, 16, v66
	;; [unrolled: 1-line block ×4, first 2 shown]
	v_and_b32_e32 v114, 0xffff, v65
	v_and_b32_e32 v115, 0xffff, v66
	;; [unrolled: 1-line block ×4, first 2 shown]
	ds_load_2addr_b64 v[65:68], v59 offset0:192 offset1:224
	s_wait_dscnt 0x0
	v_pk_fma_f16 v73, v65, v102, v73
	v_pk_fma_f16 v74, v66, v102, v74
	v_mul_u32_u24_e32 v102, 0x10001, v107
	v_pk_fma_f16 v75, v65, v106, v75
	v_pk_fma_f16 v76, v66, v106, v76
	s_delay_alu instid0(VALU_DEP_3) | instskip(SKIP_2) | instid1(VALU_DEP_1)
	v_pk_fma_f16 v72, v65, v102, v72
	v_pk_fma_f16 v71, v66, v102, v71
	v_mul_u32_u24_e32 v102, 0x10001, v103
	v_pk_fma_f16 v69, v65, v102, v69
	v_pk_fma_f16 v70, v66, v102, v70
	v_mul_u32_u24_e32 v102, 0x10001, v108
	s_delay_alu instid0(VALU_DEP_1) | instskip(SKIP_2) | instid1(VALU_DEP_1)
	v_pk_fma_f16 v97, v65, v102, v97
	v_pk_fma_f16 v96, v66, v102, v96
	v_mul_u32_u24_e32 v102, 0x10001, v104
	v_pk_fma_f16 v99, v65, v102, v99
	v_pk_fma_f16 v98, v66, v102, v98
	v_mul_u32_u24_e32 v102, 0x10001, v109
	s_delay_alu instid0(VALU_DEP_1) | instskip(SKIP_2) | instid1(VALU_DEP_1)
	v_pk_fma_f16 v100, v65, v102, v100
	v_pk_fma_f16 v63, v66, v102, v63
	v_mul_u32_u24_e32 v102, 0x10001, v105
	v_pk_fma_f16 v57, v66, v102, v57
	v_mul_u32_u24_e32 v66, 0x10001, v114
	v_pk_fma_f16 v65, v65, v102, v101
	s_delay_alu instid0(VALU_DEP_2) | instskip(SKIP_2) | instid1(VALU_DEP_1)
	v_pk_fma_f16 v75, v67, v66, v75
	v_pk_fma_f16 v76, v68, v66, v76
	v_mul_u32_u24_e32 v66, 0x10001, v110
	v_pk_fma_f16 v73, v67, v66, v73
	v_pk_fma_f16 v74, v68, v66, v74
	v_mul_u32_u24_e32 v66, 0x10001, v115
	s_delay_alu instid0(VALU_DEP_1) | instskip(SKIP_2) | instid1(VALU_DEP_1)
	v_pk_fma_f16 v72, v67, v66, v72
	v_pk_fma_f16 v71, v68, v66, v71
	v_mul_u32_u24_e32 v66, 0x10001, v111
	v_pk_fma_f16 v69, v67, v66, v69
	v_pk_fma_f16 v70, v68, v66, v70
	v_mul_u32_u24_e32 v66, 0x10001, v116
	s_delay_alu instid0(VALU_DEP_1) | instskip(SKIP_2) | instid1(VALU_DEP_1)
	v_pk_fma_f16 v97, v67, v66, v97
	v_pk_fma_f16 v96, v68, v66, v96
	v_mul_u32_u24_e32 v66, 0x10001, v112
	v_pk_fma_f16 v99, v67, v66, v99
	v_pk_fma_f16 v98, v68, v66, v98
	v_mul_u32_u24_e32 v66, 0x10001, v117
	s_delay_alu instid0(VALU_DEP_1) | instskip(SKIP_2) | instid1(VALU_DEP_1)
	v_pk_fma_f16 v100, v67, v66, v100
	v_pk_fma_f16 v63, v68, v66, v63
	v_mul_u32_u24_e32 v66, 0x10001, v113
	v_pk_fma_f16 v101, v67, v66, v65
	v_pk_fma_f16 v102, v68, v66, v57
	ds_load_b128 v[65:68], v81 offset:25856
	s_wait_dscnt 0x0
	v_lshrrev_b32_e32 v103, 16, v65
	v_lshrrev_b32_e32 v104, 16, v66
	;; [unrolled: 1-line block ×4, first 2 shown]
	v_and_b32_e32 v57, 0xffff, v65
	v_and_b32_e32 v107, 0xffff, v66
	;; [unrolled: 1-line block ×4, first 2 shown]
	ds_load_b128 v[65:68], v81 offset:25872
	v_mul_u32_u24_e32 v118, 0x10001, v57
	v_add_nc_u32_e32 v57, 0x5000, v21
	v_mul_u32_u24_e32 v103, 0x10001, v103
	v_add_nc_u32_e32 v21, 0x5800, v21
	s_wait_dscnt 0x0
	v_lshrrev_b32_e32 v110, 16, v65
	v_lshrrev_b32_e32 v111, 16, v66
	v_lshrrev_b32_e32 v112, 16, v67
	v_lshrrev_b32_e32 v113, 16, v68
	v_and_b32_e32 v114, 0xffff, v65
	v_and_b32_e32 v115, 0xffff, v66
	;; [unrolled: 1-line block ×4, first 2 shown]
	ds_load_2addr_b64 v[65:68], v57 offset1:32
	s_wait_dscnt 0x0
	v_pk_fma_f16 v73, v65, v103, v73
	v_pk_fma_f16 v74, v66, v103, v74
	v_mul_u32_u24_e32 v103, 0x10001, v107
	v_pk_fma_f16 v75, v65, v118, v75
	v_pk_fma_f16 v76, v66, v118, v76
	s_delay_alu instid0(VALU_DEP_3) | instskip(SKIP_2) | instid1(VALU_DEP_1)
	v_pk_fma_f16 v72, v65, v103, v72
	v_pk_fma_f16 v71, v66, v103, v71
	v_mul_u32_u24_e32 v103, 0x10001, v104
	v_pk_fma_f16 v69, v65, v103, v69
	v_pk_fma_f16 v70, v66, v103, v70
	v_mul_u32_u24_e32 v103, 0x10001, v108
	s_delay_alu instid0(VALU_DEP_1) | instskip(SKIP_2) | instid1(VALU_DEP_1)
	v_pk_fma_f16 v97, v65, v103, v97
	v_pk_fma_f16 v96, v66, v103, v96
	v_mul_u32_u24_e32 v103, 0x10001, v105
	v_pk_fma_f16 v99, v65, v103, v99
	v_pk_fma_f16 v98, v66, v103, v98
	v_mul_u32_u24_e32 v103, 0x10001, v109
	s_delay_alu instid0(VALU_DEP_1) | instskip(SKIP_2) | instid1(VALU_DEP_1)
	v_pk_fma_f16 v100, v65, v103, v100
	v_pk_fma_f16 v63, v66, v103, v63
	v_mul_u32_u24_e32 v103, 0x10001, v106
	v_pk_fma_f16 v65, v65, v103, v101
	v_mul_u32_u24_e32 v101, 0x10001, v114
	v_pk_fma_f16 v66, v66, v103, v102
	s_delay_alu instid0(VALU_DEP_2) | instskip(SKIP_2) | instid1(VALU_DEP_1)
	v_pk_fma_f16 v75, v67, v101, v75
	v_pk_fma_f16 v76, v68, v101, v76
	v_mul_u32_u24_e32 v101, 0x10001, v110
	v_pk_fma_f16 v73, v67, v101, v73
	v_pk_fma_f16 v74, v68, v101, v74
	v_mul_u32_u24_e32 v101, 0x10001, v115
	s_delay_alu instid0(VALU_DEP_1) | instskip(SKIP_2) | instid1(VALU_DEP_1)
	v_pk_fma_f16 v72, v67, v101, v72
	v_pk_fma_f16 v71, v68, v101, v71
	v_mul_u32_u24_e32 v101, 0x10001, v111
	v_pk_fma_f16 v69, v67, v101, v69
	v_pk_fma_f16 v70, v68, v101, v70
	v_mul_u32_u24_e32 v101, 0x10001, v116
	s_delay_alu instid0(VALU_DEP_1) | instskip(SKIP_2) | instid1(VALU_DEP_1)
	;; [unrolled: 7-line block ×3, first 2 shown]
	v_pk_fma_f16 v100, v67, v101, v100
	v_pk_fma_f16 v63, v68, v101, v63
	v_mul_u32_u24_e32 v101, 0x10001, v113
	v_pk_fma_f16 v102, v67, v101, v65
	v_pk_fma_f16 v101, v68, v101, v66
	ds_load_b128 v[65:68], v81 offset:25888
	s_wait_dscnt 0x0
	v_lshrrev_b32_e32 v103, 16, v65
	v_lshrrev_b32_e32 v104, 16, v66
	;; [unrolled: 1-line block ×4, first 2 shown]
	v_and_b32_e32 v107, 0xffff, v65
	v_and_b32_e32 v108, 0xffff, v66
	;; [unrolled: 1-line block ×4, first 2 shown]
	ds_load_b128 v[65:68], v81 offset:25904
	v_mul_u32_u24_e32 v103, 0x10001, v103
	v_mul_u32_u24_e32 v107, 0x10001, v107
	s_wait_dscnt 0x0
	v_lshrrev_b32_e32 v111, 16, v65
	v_lshrrev_b32_e32 v112, 16, v66
	;; [unrolled: 1-line block ×4, first 2 shown]
	v_and_b32_e32 v115, 0xffff, v65
	v_and_b32_e32 v116, 0xffff, v66
	;; [unrolled: 1-line block ×4, first 2 shown]
	ds_load_2addr_b64 v[65:68], v57 offset0:64 offset1:96
	s_wait_dscnt 0x0
	v_pk_fma_f16 v73, v65, v103, v73
	v_pk_fma_f16 v74, v66, v103, v74
	v_mul_u32_u24_e32 v103, 0x10001, v108
	v_pk_fma_f16 v75, v65, v107, v75
	v_pk_fma_f16 v76, v66, v107, v76
	s_delay_alu instid0(VALU_DEP_3) | instskip(SKIP_2) | instid1(VALU_DEP_1)
	v_pk_fma_f16 v72, v65, v103, v72
	v_pk_fma_f16 v71, v66, v103, v71
	v_mul_u32_u24_e32 v103, 0x10001, v104
	v_pk_fma_f16 v69, v65, v103, v69
	v_pk_fma_f16 v70, v66, v103, v70
	v_mul_u32_u24_e32 v103, 0x10001, v109
	s_delay_alu instid0(VALU_DEP_1) | instskip(SKIP_2) | instid1(VALU_DEP_1)
	v_pk_fma_f16 v97, v65, v103, v97
	v_pk_fma_f16 v96, v66, v103, v96
	v_mul_u32_u24_e32 v103, 0x10001, v105
	v_pk_fma_f16 v99, v65, v103, v99
	v_pk_fma_f16 v98, v66, v103, v98
	v_mul_u32_u24_e32 v103, 0x10001, v110
	s_delay_alu instid0(VALU_DEP_1) | instskip(SKIP_2) | instid1(VALU_DEP_1)
	v_pk_fma_f16 v100, v65, v103, v100
	v_pk_fma_f16 v63, v66, v103, v63
	v_mul_u32_u24_e32 v103, 0x10001, v106
	v_pk_fma_f16 v66, v66, v103, v101
	v_mul_u32_u24_e32 v101, 0x10001, v115
	v_pk_fma_f16 v65, v65, v103, v102
	s_delay_alu instid0(VALU_DEP_2) | instskip(SKIP_2) | instid1(VALU_DEP_1)
	v_pk_fma_f16 v75, v67, v101, v75
	v_pk_fma_f16 v76, v68, v101, v76
	v_mul_u32_u24_e32 v101, 0x10001, v111
	v_pk_fma_f16 v73, v67, v101, v73
	v_pk_fma_f16 v74, v68, v101, v74
	v_mul_u32_u24_e32 v101, 0x10001, v116
	s_delay_alu instid0(VALU_DEP_1) | instskip(SKIP_2) | instid1(VALU_DEP_1)
	v_pk_fma_f16 v72, v67, v101, v72
	v_pk_fma_f16 v71, v68, v101, v71
	v_mul_u32_u24_e32 v101, 0x10001, v112
	v_pk_fma_f16 v69, v67, v101, v69
	v_pk_fma_f16 v70, v68, v101, v70
	v_mul_u32_u24_e32 v101, 0x10001, v117
	s_delay_alu instid0(VALU_DEP_1) | instskip(SKIP_2) | instid1(VALU_DEP_1)
	;; [unrolled: 7-line block ×3, first 2 shown]
	v_pk_fma_f16 v100, v67, v101, v100
	v_pk_fma_f16 v63, v68, v101, v63
	v_mul_u32_u24_e32 v101, 0x10001, v114
	v_pk_fma_f16 v102, v67, v101, v65
	v_pk_fma_f16 v101, v68, v101, v66
	ds_load_b128 v[65:68], v81 offset:25920
	s_wait_dscnt 0x0
	v_lshrrev_b32_e32 v103, 16, v65
	v_lshrrev_b32_e32 v104, 16, v66
	;; [unrolled: 1-line block ×4, first 2 shown]
	v_and_b32_e32 v107, 0xffff, v65
	v_and_b32_e32 v108, 0xffff, v66
	;; [unrolled: 1-line block ×4, first 2 shown]
	ds_load_b128 v[65:68], v81 offset:25936
	v_mul_u32_u24_e32 v103, 0x10001, v103
	v_mul_u32_u24_e32 v107, 0x10001, v107
	s_wait_dscnt 0x0
	v_lshrrev_b32_e32 v111, 16, v65
	v_lshrrev_b32_e32 v112, 16, v66
	v_lshrrev_b32_e32 v113, 16, v67
	v_lshrrev_b32_e32 v114, 16, v68
	v_and_b32_e32 v115, 0xffff, v65
	v_and_b32_e32 v116, 0xffff, v66
	;; [unrolled: 1-line block ×4, first 2 shown]
	ds_load_2addr_b64 v[65:68], v57 offset0:128 offset1:160
	s_wait_dscnt 0x0
	v_pk_fma_f16 v73, v65, v103, v73
	v_pk_fma_f16 v74, v66, v103, v74
	v_mul_u32_u24_e32 v103, 0x10001, v108
	v_pk_fma_f16 v75, v65, v107, v75
	v_pk_fma_f16 v76, v66, v107, v76
	s_delay_alu instid0(VALU_DEP_3) | instskip(SKIP_2) | instid1(VALU_DEP_1)
	v_pk_fma_f16 v72, v65, v103, v72
	v_pk_fma_f16 v71, v66, v103, v71
	v_mul_u32_u24_e32 v103, 0x10001, v104
	v_pk_fma_f16 v69, v65, v103, v69
	v_pk_fma_f16 v70, v66, v103, v70
	v_mul_u32_u24_e32 v103, 0x10001, v109
	s_delay_alu instid0(VALU_DEP_1) | instskip(SKIP_2) | instid1(VALU_DEP_1)
	v_pk_fma_f16 v97, v65, v103, v97
	v_pk_fma_f16 v96, v66, v103, v96
	v_mul_u32_u24_e32 v103, 0x10001, v105
	v_pk_fma_f16 v99, v65, v103, v99
	v_pk_fma_f16 v98, v66, v103, v98
	v_mul_u32_u24_e32 v103, 0x10001, v110
	s_delay_alu instid0(VALU_DEP_1) | instskip(SKIP_2) | instid1(VALU_DEP_1)
	v_pk_fma_f16 v100, v65, v103, v100
	v_pk_fma_f16 v63, v66, v103, v63
	v_mul_u32_u24_e32 v103, 0x10001, v106
	v_pk_fma_f16 v66, v66, v103, v101
	v_mul_u32_u24_e32 v101, 0x10001, v115
	v_pk_fma_f16 v65, v65, v103, v102
	s_delay_alu instid0(VALU_DEP_2) | instskip(SKIP_2) | instid1(VALU_DEP_1)
	v_pk_fma_f16 v75, v67, v101, v75
	v_pk_fma_f16 v76, v68, v101, v76
	v_mul_u32_u24_e32 v101, 0x10001, v111
	v_pk_fma_f16 v73, v67, v101, v73
	v_pk_fma_f16 v74, v68, v101, v74
	v_mul_u32_u24_e32 v101, 0x10001, v116
	s_delay_alu instid0(VALU_DEP_1) | instskip(SKIP_2) | instid1(VALU_DEP_1)
	v_pk_fma_f16 v72, v67, v101, v72
	v_pk_fma_f16 v71, v68, v101, v71
	v_mul_u32_u24_e32 v101, 0x10001, v112
	v_pk_fma_f16 v69, v67, v101, v69
	v_pk_fma_f16 v70, v68, v101, v70
	v_mul_u32_u24_e32 v101, 0x10001, v117
	s_delay_alu instid0(VALU_DEP_1) | instskip(SKIP_2) | instid1(VALU_DEP_1)
	;; [unrolled: 7-line block ×3, first 2 shown]
	v_pk_fma_f16 v100, v67, v101, v100
	v_pk_fma_f16 v63, v68, v101, v63
	v_mul_u32_u24_e32 v101, 0x10001, v114
	v_pk_fma_f16 v102, v67, v101, v65
	v_pk_fma_f16 v101, v68, v101, v66
	ds_load_b128 v[65:68], v81 offset:25952
	s_wait_dscnt 0x0
	v_lshrrev_b32_e32 v103, 16, v65
	v_lshrrev_b32_e32 v104, 16, v66
	;; [unrolled: 1-line block ×4, first 2 shown]
	v_and_b32_e32 v107, 0xffff, v65
	v_and_b32_e32 v108, 0xffff, v66
	;; [unrolled: 1-line block ×4, first 2 shown]
	ds_load_b128 v[65:68], v81 offset:25968
	v_mul_u32_u24_e32 v103, 0x10001, v103
	v_mul_u32_u24_e32 v107, 0x10001, v107
	s_wait_dscnt 0x0
	v_lshrrev_b32_e32 v111, 16, v65
	v_lshrrev_b32_e32 v112, 16, v66
	;; [unrolled: 1-line block ×4, first 2 shown]
	v_and_b32_e32 v115, 0xffff, v65
	v_and_b32_e32 v116, 0xffff, v66
	;; [unrolled: 1-line block ×4, first 2 shown]
	ds_load_2addr_b64 v[65:68], v57 offset0:192 offset1:224
	s_wait_dscnt 0x0
	v_pk_fma_f16 v73, v65, v103, v73
	v_pk_fma_f16 v74, v66, v103, v74
	v_mul_u32_u24_e32 v103, 0x10001, v108
	v_pk_fma_f16 v75, v65, v107, v75
	v_pk_fma_f16 v76, v66, v107, v76
	s_delay_alu instid0(VALU_DEP_3) | instskip(SKIP_2) | instid1(VALU_DEP_1)
	v_pk_fma_f16 v72, v65, v103, v72
	v_pk_fma_f16 v71, v66, v103, v71
	v_mul_u32_u24_e32 v103, 0x10001, v104
	v_pk_fma_f16 v69, v65, v103, v69
	v_pk_fma_f16 v70, v66, v103, v70
	v_mul_u32_u24_e32 v103, 0x10001, v109
	s_delay_alu instid0(VALU_DEP_1) | instskip(SKIP_2) | instid1(VALU_DEP_1)
	v_pk_fma_f16 v97, v65, v103, v97
	v_pk_fma_f16 v96, v66, v103, v96
	v_mul_u32_u24_e32 v103, 0x10001, v105
	v_pk_fma_f16 v99, v65, v103, v99
	v_pk_fma_f16 v98, v66, v103, v98
	v_mul_u32_u24_e32 v103, 0x10001, v110
	s_delay_alu instid0(VALU_DEP_1) | instskip(SKIP_2) | instid1(VALU_DEP_1)
	v_pk_fma_f16 v100, v65, v103, v100
	v_pk_fma_f16 v63, v66, v103, v63
	v_mul_u32_u24_e32 v103, 0x10001, v106
	v_pk_fma_f16 v66, v66, v103, v101
	v_mul_u32_u24_e32 v101, 0x10001, v115
	v_pk_fma_f16 v65, v65, v103, v102
	s_delay_alu instid0(VALU_DEP_2) | instskip(SKIP_2) | instid1(VALU_DEP_1)
	v_pk_fma_f16 v75, v67, v101, v75
	v_pk_fma_f16 v76, v68, v101, v76
	v_mul_u32_u24_e32 v101, 0x10001, v111
	v_pk_fma_f16 v73, v67, v101, v73
	v_pk_fma_f16 v74, v68, v101, v74
	v_mul_u32_u24_e32 v101, 0x10001, v116
	s_delay_alu instid0(VALU_DEP_1) | instskip(SKIP_2) | instid1(VALU_DEP_1)
	v_pk_fma_f16 v72, v67, v101, v72
	v_pk_fma_f16 v71, v68, v101, v71
	v_mul_u32_u24_e32 v101, 0x10001, v112
	v_pk_fma_f16 v69, v67, v101, v69
	v_pk_fma_f16 v70, v68, v101, v70
	v_mul_u32_u24_e32 v101, 0x10001, v117
	s_delay_alu instid0(VALU_DEP_1) | instskip(SKIP_2) | instid1(VALU_DEP_1)
	v_pk_fma_f16 v97, v67, v101, v97
	v_pk_fma_f16 v96, v68, v101, v96
	v_mul_u32_u24_e32 v101, 0x10001, v113
	v_pk_fma_f16 v99, v67, v101, v99
	v_pk_fma_f16 v98, v68, v101, v98
	v_mul_u32_u24_e32 v101, 0x10001, v118
	s_delay_alu instid0(VALU_DEP_1) | instskip(SKIP_2) | instid1(VALU_DEP_1)
	v_pk_fma_f16 v100, v67, v101, v100
	v_pk_fma_f16 v63, v68, v101, v63
	v_mul_u32_u24_e32 v101, 0x10001, v114
	v_pk_fma_f16 v102, v67, v101, v65
	v_pk_fma_f16 v101, v68, v101, v66
	ds_load_b128 v[65:68], v81 offset:25984
	s_wait_dscnt 0x0
	v_lshrrev_b32_e32 v103, 16, v65
	v_lshrrev_b32_e32 v104, 16, v66
	;; [unrolled: 1-line block ×4, first 2 shown]
	v_and_b32_e32 v107, 0xffff, v65
	v_and_b32_e32 v108, 0xffff, v66
	;; [unrolled: 1-line block ×4, first 2 shown]
	ds_load_b128 v[65:68], v81 offset:26000
	v_mul_u32_u24_e32 v103, 0x10001, v103
	v_mul_u32_u24_e32 v107, 0x10001, v107
	s_wait_dscnt 0x0
	v_lshrrev_b32_e32 v111, 16, v65
	v_lshrrev_b32_e32 v112, 16, v66
	v_lshrrev_b32_e32 v113, 16, v67
	v_lshrrev_b32_e32 v114, 16, v68
	v_and_b32_e32 v115, 0xffff, v65
	v_and_b32_e32 v116, 0xffff, v66
	;; [unrolled: 1-line block ×4, first 2 shown]
	ds_load_2addr_b64 v[65:68], v21 offset1:32
	s_wait_dscnt 0x0
	v_pk_fma_f16 v73, v65, v103, v73
	v_pk_fma_f16 v74, v66, v103, v74
	v_mul_u32_u24_e32 v103, 0x10001, v108
	v_pk_fma_f16 v75, v65, v107, v75
	v_pk_fma_f16 v76, v66, v107, v76
	s_delay_alu instid0(VALU_DEP_3) | instskip(SKIP_2) | instid1(VALU_DEP_1)
	v_pk_fma_f16 v72, v65, v103, v72
	v_pk_fma_f16 v71, v66, v103, v71
	v_mul_u32_u24_e32 v103, 0x10001, v104
	v_pk_fma_f16 v69, v65, v103, v69
	v_pk_fma_f16 v70, v66, v103, v70
	v_mul_u32_u24_e32 v103, 0x10001, v109
	s_delay_alu instid0(VALU_DEP_1) | instskip(SKIP_2) | instid1(VALU_DEP_1)
	v_pk_fma_f16 v97, v65, v103, v97
	v_pk_fma_f16 v96, v66, v103, v96
	v_mul_u32_u24_e32 v103, 0x10001, v105
	v_pk_fma_f16 v99, v65, v103, v99
	v_pk_fma_f16 v98, v66, v103, v98
	v_mul_u32_u24_e32 v103, 0x10001, v110
	s_delay_alu instid0(VALU_DEP_1) | instskip(SKIP_2) | instid1(VALU_DEP_1)
	v_pk_fma_f16 v100, v65, v103, v100
	v_pk_fma_f16 v63, v66, v103, v63
	v_mul_u32_u24_e32 v103, 0x10001, v106
	v_pk_fma_f16 v66, v66, v103, v101
	v_mul_u32_u24_e32 v101, 0x10001, v115
	v_pk_fma_f16 v65, v65, v103, v102
	s_delay_alu instid0(VALU_DEP_2) | instskip(SKIP_2) | instid1(VALU_DEP_1)
	v_pk_fma_f16 v75, v67, v101, v75
	v_pk_fma_f16 v76, v68, v101, v76
	v_mul_u32_u24_e32 v101, 0x10001, v111
	v_pk_fma_f16 v73, v67, v101, v73
	v_pk_fma_f16 v74, v68, v101, v74
	v_mul_u32_u24_e32 v101, 0x10001, v116
	s_delay_alu instid0(VALU_DEP_1) | instskip(SKIP_2) | instid1(VALU_DEP_1)
	v_pk_fma_f16 v72, v67, v101, v72
	v_pk_fma_f16 v71, v68, v101, v71
	v_mul_u32_u24_e32 v101, 0x10001, v112
	v_pk_fma_f16 v69, v67, v101, v69
	v_pk_fma_f16 v70, v68, v101, v70
	v_mul_u32_u24_e32 v101, 0x10001, v117
	s_delay_alu instid0(VALU_DEP_1) | instskip(SKIP_2) | instid1(VALU_DEP_1)
	;; [unrolled: 7-line block ×3, first 2 shown]
	v_pk_fma_f16 v100, v67, v101, v100
	v_pk_fma_f16 v63, v68, v101, v63
	v_mul_u32_u24_e32 v101, 0x10001, v114
	v_pk_fma_f16 v102, v67, v101, v65
	v_pk_fma_f16 v101, v68, v101, v66
	ds_load_b128 v[65:68], v81 offset:26016
	s_wait_dscnt 0x0
	v_lshrrev_b32_e32 v103, 16, v65
	v_lshrrev_b32_e32 v104, 16, v66
	;; [unrolled: 1-line block ×4, first 2 shown]
	v_and_b32_e32 v107, 0xffff, v65
	v_and_b32_e32 v108, 0xffff, v66
	;; [unrolled: 1-line block ×4, first 2 shown]
	ds_load_b128 v[65:68], v81 offset:26032
	v_mul_u32_u24_e32 v103, 0x10001, v103
	v_mul_u32_u24_e32 v107, 0x10001, v107
	s_wait_dscnt 0x0
	v_lshrrev_b32_e32 v111, 16, v65
	v_lshrrev_b32_e32 v112, 16, v66
	;; [unrolled: 1-line block ×4, first 2 shown]
	v_and_b32_e32 v115, 0xffff, v65
	v_and_b32_e32 v116, 0xffff, v66
	;; [unrolled: 1-line block ×4, first 2 shown]
	ds_load_2addr_b64 v[65:68], v21 offset0:64 offset1:96
	s_wait_dscnt 0x0
	v_pk_fma_f16 v73, v65, v103, v73
	v_pk_fma_f16 v74, v66, v103, v74
	v_mul_u32_u24_e32 v103, 0x10001, v108
	v_pk_fma_f16 v75, v65, v107, v75
	v_pk_fma_f16 v76, v66, v107, v76
	s_delay_alu instid0(VALU_DEP_3) | instskip(SKIP_2) | instid1(VALU_DEP_1)
	v_pk_fma_f16 v72, v65, v103, v72
	v_pk_fma_f16 v71, v66, v103, v71
	v_mul_u32_u24_e32 v103, 0x10001, v104
	v_pk_fma_f16 v69, v65, v103, v69
	v_pk_fma_f16 v70, v66, v103, v70
	v_mul_u32_u24_e32 v103, 0x10001, v109
	s_delay_alu instid0(VALU_DEP_1) | instskip(SKIP_2) | instid1(VALU_DEP_1)
	v_pk_fma_f16 v97, v65, v103, v97
	v_pk_fma_f16 v96, v66, v103, v96
	v_mul_u32_u24_e32 v103, 0x10001, v105
	v_pk_fma_f16 v99, v65, v103, v99
	v_pk_fma_f16 v98, v66, v103, v98
	v_mul_u32_u24_e32 v103, 0x10001, v110
	s_delay_alu instid0(VALU_DEP_1) | instskip(SKIP_2) | instid1(VALU_DEP_1)
	v_pk_fma_f16 v100, v65, v103, v100
	v_pk_fma_f16 v63, v66, v103, v63
	v_mul_u32_u24_e32 v103, 0x10001, v106
	v_pk_fma_f16 v66, v66, v103, v101
	v_mul_u32_u24_e32 v101, 0x10001, v115
	v_pk_fma_f16 v65, v65, v103, v102
	s_delay_alu instid0(VALU_DEP_2) | instskip(SKIP_2) | instid1(VALU_DEP_1)
	v_pk_fma_f16 v75, v67, v101, v75
	v_pk_fma_f16 v76, v68, v101, v76
	v_mul_u32_u24_e32 v101, 0x10001, v111
	v_pk_fma_f16 v73, v67, v101, v73
	v_pk_fma_f16 v74, v68, v101, v74
	v_mul_u32_u24_e32 v101, 0x10001, v116
	s_delay_alu instid0(VALU_DEP_1) | instskip(SKIP_2) | instid1(VALU_DEP_1)
	v_pk_fma_f16 v72, v67, v101, v72
	v_pk_fma_f16 v71, v68, v101, v71
	v_mul_u32_u24_e32 v101, 0x10001, v112
	v_pk_fma_f16 v69, v67, v101, v69
	v_pk_fma_f16 v70, v68, v101, v70
	v_mul_u32_u24_e32 v101, 0x10001, v117
	s_delay_alu instid0(VALU_DEP_1) | instskip(SKIP_2) | instid1(VALU_DEP_1)
	;; [unrolled: 7-line block ×3, first 2 shown]
	v_pk_fma_f16 v100, v67, v101, v100
	v_pk_fma_f16 v63, v68, v101, v63
	v_mul_u32_u24_e32 v101, 0x10001, v114
	v_pk_fma_f16 v102, v67, v101, v65
	v_pk_fma_f16 v101, v68, v101, v66
	ds_load_b128 v[65:68], v81 offset:26048
	s_wait_dscnt 0x0
	v_lshrrev_b32_e32 v103, 16, v65
	v_lshrrev_b32_e32 v104, 16, v66
	;; [unrolled: 1-line block ×4, first 2 shown]
	v_and_b32_e32 v107, 0xffff, v65
	v_and_b32_e32 v108, 0xffff, v66
	;; [unrolled: 1-line block ×4, first 2 shown]
	ds_load_b128 v[65:68], v81 offset:26064
	v_mul_u32_u24_e32 v103, 0x10001, v103
	v_mul_u32_u24_e32 v107, 0x10001, v107
	s_wait_dscnt 0x0
	v_lshrrev_b32_e32 v111, 16, v65
	v_lshrrev_b32_e32 v112, 16, v66
	;; [unrolled: 1-line block ×4, first 2 shown]
	v_and_b32_e32 v115, 0xffff, v65
	v_and_b32_e32 v116, 0xffff, v66
	;; [unrolled: 1-line block ×4, first 2 shown]
	ds_load_2addr_b64 v[65:68], v21 offset0:128 offset1:160
	s_wait_dscnt 0x0
	v_pk_fma_f16 v73, v65, v103, v73
	v_pk_fma_f16 v74, v66, v103, v74
	v_mul_u32_u24_e32 v103, 0x10001, v108
	v_pk_fma_f16 v75, v65, v107, v75
	v_pk_fma_f16 v76, v66, v107, v76
	s_delay_alu instid0(VALU_DEP_3) | instskip(SKIP_2) | instid1(VALU_DEP_1)
	v_pk_fma_f16 v72, v65, v103, v72
	v_pk_fma_f16 v71, v66, v103, v71
	v_mul_u32_u24_e32 v103, 0x10001, v104
	v_pk_fma_f16 v69, v65, v103, v69
	v_pk_fma_f16 v70, v66, v103, v70
	v_mul_u32_u24_e32 v103, 0x10001, v109
	s_delay_alu instid0(VALU_DEP_1) | instskip(SKIP_2) | instid1(VALU_DEP_1)
	v_pk_fma_f16 v97, v65, v103, v97
	v_pk_fma_f16 v96, v66, v103, v96
	v_mul_u32_u24_e32 v103, 0x10001, v105
	v_pk_fma_f16 v99, v65, v103, v99
	v_pk_fma_f16 v98, v66, v103, v98
	v_mul_u32_u24_e32 v103, 0x10001, v110
	s_delay_alu instid0(VALU_DEP_1) | instskip(SKIP_2) | instid1(VALU_DEP_1)
	v_pk_fma_f16 v100, v65, v103, v100
	v_pk_fma_f16 v63, v66, v103, v63
	v_mul_u32_u24_e32 v103, 0x10001, v106
	v_pk_fma_f16 v66, v66, v103, v101
	v_mul_u32_u24_e32 v101, 0x10001, v115
	v_pk_fma_f16 v65, v65, v103, v102
	s_delay_alu instid0(VALU_DEP_2) | instskip(SKIP_2) | instid1(VALU_DEP_1)
	v_pk_fma_f16 v75, v67, v101, v75
	v_pk_fma_f16 v76, v68, v101, v76
	v_mul_u32_u24_e32 v101, 0x10001, v111
	v_pk_fma_f16 v73, v67, v101, v73
	v_pk_fma_f16 v74, v68, v101, v74
	v_mul_u32_u24_e32 v101, 0x10001, v116
	s_delay_alu instid0(VALU_DEP_1) | instskip(SKIP_2) | instid1(VALU_DEP_1)
	v_pk_fma_f16 v72, v67, v101, v72
	v_pk_fma_f16 v71, v68, v101, v71
	v_mul_u32_u24_e32 v101, 0x10001, v112
	v_pk_fma_f16 v69, v67, v101, v69
	v_pk_fma_f16 v70, v68, v101, v70
	v_mul_u32_u24_e32 v101, 0x10001, v117
	s_delay_alu instid0(VALU_DEP_1) | instskip(SKIP_2) | instid1(VALU_DEP_1)
	;; [unrolled: 7-line block ×3, first 2 shown]
	v_pk_fma_f16 v100, v67, v96, v100
	v_pk_fma_f16 v63, v68, v96, v63
	v_mul_u32_u24_e32 v96, 0x10001, v114
	v_pk_fma_f16 v105, v67, v96, v65
	v_pk_fma_f16 v106, v68, v96, v66
	ds_load_b128 v[65:68], v81 offset:26080
	s_wait_dscnt 0x0
	v_lshrrev_b32_e32 v107, 16, v65
	v_lshrrev_b32_e32 v108, 16, v66
	;; [unrolled: 1-line block ×4, first 2 shown]
	v_and_b32_e32 v96, 0xffff, v65
	v_and_b32_e32 v111, 0xffff, v66
	;; [unrolled: 1-line block ×4, first 2 shown]
	ds_load_b128 v[65:68], v81 offset:26096
	s_wait_dscnt 0x0
	v_lshrrev_b32_e32 v116, 16, v67
	v_and_b32_e32 v118, 0xffff, v67
	v_mul_u32_u24_e32 v67, 0x10001, v96
	ds_load_2addr_b64 v[96:99], v21 offset0:192 offset1:224
	v_lshrrev_b32_e32 v117, 16, v68
	v_and_b32_e32 v119, 0xffff, v68
	v_lshrrev_b32_e32 v114, 16, v65
	v_and_b32_e32 v65, 0xffff, v65
	v_lshrrev_b32_e32 v115, 16, v66
	v_and_b32_e32 v66, 0xffff, v66
	s_wait_loadcnt_dscnt 0x0
	s_barrier_signal -1
	v_mul_u32_u24_e32 v65, 0x10001, v65
	s_barrier_wait -1
	global_inv scope:SCOPE_SE
	s_clause 0x1
	scratch_store_b32 off, v92, off
	scratch_store_b96 off, v[0:2], off offset:4
	v_pk_fma_f16 v68, v96, v67, v75
	v_mul_u32_u24_e32 v75, 0x10001, v107
	v_pk_fma_f16 v67, v97, v67, v76
	s_delay_alu instid0(VALU_DEP_2) | instskip(SKIP_2) | instid1(VALU_DEP_1)
	v_pk_fma_f16 v73, v96, v75, v73
	v_pk_fma_f16 v74, v97, v75, v74
	v_mul_u32_u24_e32 v75, 0x10001, v111
	v_pk_fma_f16 v76, v96, v75, v72
	v_mul_u32_u24_e32 v72, 0x10001, v108
	v_pk_fma_f16 v71, v97, v75, v71
	s_delay_alu instid0(VALU_DEP_2) | instskip(SKIP_2) | instid1(VALU_DEP_1)
	v_pk_fma_f16 v69, v96, v72, v69
	v_pk_fma_f16 v70, v97, v72, v70
	v_mul_u32_u24_e32 v72, 0x10001, v112
	v_pk_fma_f16 v102, v96, v72, v102
	v_pk_fma_f16 v101, v97, v72, v101
	v_mul_u32_u24_e32 v72, 0x10001, v109
	s_delay_alu instid0(VALU_DEP_1) | instskip(SKIP_2) | instid1(VALU_DEP_1)
	v_pk_fma_f16 v103, v96, v72, v103
	v_pk_fma_f16 v104, v97, v72, v104
	v_mul_u32_u24_e32 v72, 0x10001, v113
	v_pk_fma_f16 v100, v96, v72, v100
	v_pk_fma_f16 v107, v97, v72, v63
	v_mul_u32_u24_e32 v63, 0x10001, v110
	v_pk_fma_f16 v72, v99, v65, v67
	v_mul_u32_u24_e32 v67, 0x10001, v114
	s_delay_alu instid0(VALU_DEP_3) | instskip(SKIP_2) | instid1(VALU_DEP_4)
	v_pk_fma_f16 v105, v96, v63, v105
	v_pk_fma_f16 v106, v97, v63, v106
	v_pk_fma_f16 v63, v98, v65, v68
	v_pk_fma_f16 v65, v98, v67, v73
	v_pk_fma_f16 v73, v99, v67, v74
	v_mul_u32_u24_e32 v67, 0x10001, v66
	v_mul_u32_u24_e32 v68, 0x10001, v115
	s_delay_alu instid0(VALU_DEP_2) | instskip(SKIP_1) | instid1(VALU_DEP_3)
	v_pk_fma_f16 v66, v98, v67, v76
	v_pk_fma_f16 v74, v99, v67, v71
	;; [unrolled: 1-line block ×4, first 2 shown]
	v_mul_u32_u24_e32 v69, 0x10001, v118
	v_mul_u32_u24_e32 v70, 0x10001, v116
	;; [unrolled: 1-line block ×3, first 2 shown]
	s_delay_alu instid0(VALU_DEP_3) | instskip(SKIP_1) | instid1(VALU_DEP_4)
	v_pk_fma_f16 v68, v98, v69, v102
	v_pk_fma_f16 v76, v99, v69, v101
	;; [unrolled: 1-line block ×5, first 2 shown]
	v_mul_u32_u24_e32 v100, 0x10001, v117
	v_pk_fma_f16 v97, v99, v71, v107
	s_delay_alu instid0(VALU_DEP_2)
	v_pk_fma_f16 v71, v98, v100, v105
	v_pk_fma_f16 v98, v99, v100, v106
	flat_load_b128 v[99:102], v[5:6]
	s_clause 0x1
	scratch_store_b96 off, v[0:2], off offset:4
	scratch_store_b32 off, v92, off
	v_add_co_u32 v0, vcc_lo, s4, v3
	s_wait_alu 0xfffd
	v_add_co_ci_u32_e64 v1, null, s5, v4, vcc_lo
	v_cmp_gt_i32_e32 vcc_lo, s3, v93
	s_delay_alu instid0(VALU_DEP_3) | instskip(SKIP_1) | instid1(VALU_DEP_3)
	v_add_co_u32 v0, s2, v0, v91
	s_wait_alu 0xf1ff
	v_add_co_ci_u32_e64 v1, null, 0, v1, s2
	s_wait_alu 0xfffd
	s_delay_alu instid0(VALU_DEP_2) | instskip(NEXT) | instid1(VALU_DEP_2)
	v_cndmask_b32_e32 v0, 0, v0, vcc_lo
	v_cndmask_b32_e32 v1, s15, v1, vcc_lo
	s_wait_loadcnt_dscnt 0x0
	ds_store_b128 v95, v[99:102] offset:16384
	flat_load_b128 v[0:3], v[0:1]
	s_wait_loadcnt_dscnt 0x0
	ds_store_b128 v90, v[0:3] offset:16384
	s_wait_storecnt_dscnt 0x0
	s_barrier_signal -1
	s_barrier_wait -1
	global_inv scope:SCOPE_SE
	ds_load_b128 v[0:3], v81 offset:26112
	s_wait_dscnt 0x0
	v_lshrrev_b32_e32 v4, 16, v0
	v_lshrrev_b32_e32 v5, 16, v1
	;; [unrolled: 1-line block ×4, first 2 shown]
	v_and_b32_e32 v91, 0xffff, v0
	v_and_b32_e32 v92, 0xffff, v1
	;; [unrolled: 1-line block ×4, first 2 shown]
	ds_load_b128 v[0:3], v81 offset:26128
	v_mul_u32_u24_e32 v4, 0x10001, v4
	v_mul_u32_u24_e32 v5, 0x10001, v5
	;; [unrolled: 1-line block ×4, first 2 shown]
	s_wait_dscnt 0x0
	v_lshrrev_b32_e32 v95, 16, v0
	v_lshrrev_b32_e32 v99, 16, v1
	;; [unrolled: 1-line block ×4, first 2 shown]
	v_and_b32_e32 v102, 0xffff, v0
	v_and_b32_e32 v103, 0xffff, v1
	;; [unrolled: 1-line block ×4, first 2 shown]
	ds_load_2addr_b64 v[0:3], v61 offset1:32
	s_wait_dscnt 0x0
	v_pk_fma_f16 v65, v0, v4, v65
	v_pk_fma_f16 v4, v1, v4, v73
	v_mul_u32_u24_e32 v73, 0x10001, v92
	v_pk_fma_f16 v67, v0, v5, v67
	v_pk_fma_f16 v5, v1, v5, v75
	v_mul_u32_u24_e32 v75, 0x10001, v94
	v_pk_fma_f16 v63, v0, v91, v63
	v_pk_fma_f16 v66, v0, v73, v66
	;; [unrolled: 1-line block ×3, first 2 shown]
	v_mul_u32_u24_e32 v74, 0x10001, v93
	v_pk_fma_f16 v72, v1, v91, v72
	v_pk_fma_f16 v69, v0, v6, v69
	;; [unrolled: 1-line block ×6, first 2 shown]
	v_mul_u32_u24_e32 v76, 0x10001, v90
	v_pk_fma_f16 v75, v1, v75, v97
	s_delay_alu instid0(VALU_DEP_2) | instskip(SKIP_2) | instid1(VALU_DEP_2)
	v_pk_fma_f16 v0, v0, v76, v71
	v_mul_u32_u24_e32 v71, 0x10001, v102
	v_pk_fma_f16 v1, v1, v76, v98
	v_pk_fma_f16 v63, v2, v71, v63
	v_pk_fma_f16 v71, v3, v71, v72
	v_mul_u32_u24_e32 v72, 0x10001, v95
	s_delay_alu instid0(VALU_DEP_1) | instskip(SKIP_2) | instid1(VALU_DEP_1)
	v_pk_fma_f16 v65, v2, v72, v65
	v_pk_fma_f16 v4, v3, v72, v4
	v_mul_u32_u24_e32 v72, 0x10001, v103
	v_pk_fma_f16 v66, v2, v72, v66
	v_pk_fma_f16 v72, v3, v72, v73
	v_mul_u32_u24_e32 v73, 0x10001, v99
	s_delay_alu instid0(VALU_DEP_1) | instskip(SKIP_2) | instid1(VALU_DEP_1)
	v_pk_fma_f16 v67, v2, v73, v67
	v_pk_fma_f16 v5, v3, v73, v5
	v_mul_u32_u24_e32 v73, 0x10001, v104
	v_pk_fma_f16 v68, v2, v73, v68
	v_pk_fma_f16 v73, v3, v73, v74
	;; [unrolled: 7-line block ×3, first 2 shown]
	v_mul_u32_u24_e32 v75, 0x10001, v101
	s_delay_alu instid0(VALU_DEP_1)
	v_pk_fma_f16 v76, v2, v75, v0
	v_pk_fma_f16 v75, v3, v75, v1
	ds_load_b128 v[0:3], v81 offset:26144
	s_wait_dscnt 0x0
	v_lshrrev_b32_e32 v90, 16, v0
	v_lshrrev_b32_e32 v91, 16, v1
	;; [unrolled: 1-line block ×4, first 2 shown]
	v_and_b32_e32 v94, 0xffff, v0
	v_and_b32_e32 v95, 0xffff, v1
	v_and_b32_e32 v96, 0xffff, v2
	v_and_b32_e32 v97, 0xffff, v3
	ds_load_b128 v[0:3], v81 offset:26160
	v_mul_u32_u24_e32 v90, 0x10001, v90
	v_mul_u32_u24_e32 v94, 0x10001, v94
	s_wait_dscnt 0x0
	v_lshrrev_b32_e32 v98, 16, v0
	v_lshrrev_b32_e32 v99, 16, v1
	;; [unrolled: 1-line block ×4, first 2 shown]
	v_and_b32_e32 v102, 0xffff, v0
	v_and_b32_e32 v103, 0xffff, v1
	;; [unrolled: 1-line block ×4, first 2 shown]
	ds_load_2addr_b64 v[0:3], v61 offset0:64 offset1:96
	s_wait_dscnt 0x0
	v_pk_fma_f16 v65, v0, v90, v65
	v_pk_fma_f16 v4, v1, v90, v4
	v_mul_u32_u24_e32 v90, 0x10001, v95
	v_pk_fma_f16 v63, v0, v94, v63
	v_pk_fma_f16 v71, v1, v94, v71
	s_delay_alu instid0(VALU_DEP_3) | instskip(SKIP_2) | instid1(VALU_DEP_1)
	v_pk_fma_f16 v66, v0, v90, v66
	v_pk_fma_f16 v72, v1, v90, v72
	v_mul_u32_u24_e32 v90, 0x10001, v91
	v_pk_fma_f16 v67, v0, v90, v67
	v_pk_fma_f16 v5, v1, v90, v5
	v_mul_u32_u24_e32 v90, 0x10001, v96
	s_delay_alu instid0(VALU_DEP_1) | instskip(SKIP_2) | instid1(VALU_DEP_1)
	v_pk_fma_f16 v68, v0, v90, v68
	v_pk_fma_f16 v73, v1, v90, v73
	v_mul_u32_u24_e32 v90, 0x10001, v92
	v_pk_fma_f16 v69, v0, v90, v69
	v_pk_fma_f16 v6, v1, v90, v6
	v_mul_u32_u24_e32 v90, 0x10001, v97
	s_delay_alu instid0(VALU_DEP_1) | instskip(SKIP_2) | instid1(VALU_DEP_1)
	v_pk_fma_f16 v70, v0, v90, v70
	v_pk_fma_f16 v74, v1, v90, v74
	v_mul_u32_u24_e32 v90, 0x10001, v93
	v_pk_fma_f16 v1, v1, v90, v75
	v_mul_u32_u24_e32 v75, 0x10001, v102
	v_pk_fma_f16 v0, v0, v90, v76
	s_delay_alu instid0(VALU_DEP_2) | instskip(SKIP_2) | instid1(VALU_DEP_1)
	v_pk_fma_f16 v63, v2, v75, v63
	v_pk_fma_f16 v71, v3, v75, v71
	v_mul_u32_u24_e32 v75, 0x10001, v98
	v_pk_fma_f16 v65, v2, v75, v65
	v_pk_fma_f16 v4, v3, v75, v4
	v_mul_u32_u24_e32 v75, 0x10001, v103
	s_delay_alu instid0(VALU_DEP_1) | instskip(SKIP_2) | instid1(VALU_DEP_1)
	v_pk_fma_f16 v66, v2, v75, v66
	v_pk_fma_f16 v72, v3, v75, v72
	v_mul_u32_u24_e32 v75, 0x10001, v99
	v_pk_fma_f16 v67, v2, v75, v67
	v_pk_fma_f16 v5, v3, v75, v5
	v_mul_u32_u24_e32 v75, 0x10001, v104
	s_delay_alu instid0(VALU_DEP_1) | instskip(SKIP_2) | instid1(VALU_DEP_1)
	;; [unrolled: 7-line block ×3, first 2 shown]
	v_pk_fma_f16 v70, v2, v75, v70
	v_pk_fma_f16 v74, v3, v75, v74
	v_mul_u32_u24_e32 v75, 0x10001, v101
	v_pk_fma_f16 v76, v2, v75, v0
	v_pk_fma_f16 v75, v3, v75, v1
	ds_load_b128 v[0:3], v81 offset:26176
	s_wait_dscnt 0x0
	v_lshrrev_b32_e32 v90, 16, v0
	v_lshrrev_b32_e32 v91, 16, v1
	;; [unrolled: 1-line block ×4, first 2 shown]
	v_and_b32_e32 v94, 0xffff, v0
	v_and_b32_e32 v95, 0xffff, v1
	;; [unrolled: 1-line block ×4, first 2 shown]
	ds_load_b128 v[0:3], v81 offset:26192
	v_mul_u32_u24_e32 v90, 0x10001, v90
	v_mul_u32_u24_e32 v94, 0x10001, v94
	s_wait_dscnt 0x0
	v_lshrrev_b32_e32 v98, 16, v0
	v_lshrrev_b32_e32 v99, 16, v1
	;; [unrolled: 1-line block ×4, first 2 shown]
	v_and_b32_e32 v102, 0xffff, v0
	v_and_b32_e32 v103, 0xffff, v1
	;; [unrolled: 1-line block ×4, first 2 shown]
	ds_load_2addr_b64 v[0:3], v61 offset0:128 offset1:160
	s_wait_dscnt 0x0
	v_pk_fma_f16 v65, v0, v90, v65
	v_pk_fma_f16 v4, v1, v90, v4
	v_mul_u32_u24_e32 v90, 0x10001, v95
	v_pk_fma_f16 v63, v0, v94, v63
	v_pk_fma_f16 v71, v1, v94, v71
	s_delay_alu instid0(VALU_DEP_3) | instskip(SKIP_2) | instid1(VALU_DEP_1)
	v_pk_fma_f16 v66, v0, v90, v66
	v_pk_fma_f16 v72, v1, v90, v72
	v_mul_u32_u24_e32 v90, 0x10001, v91
	v_pk_fma_f16 v67, v0, v90, v67
	v_pk_fma_f16 v5, v1, v90, v5
	v_mul_u32_u24_e32 v90, 0x10001, v96
	s_delay_alu instid0(VALU_DEP_1) | instskip(SKIP_2) | instid1(VALU_DEP_1)
	v_pk_fma_f16 v68, v0, v90, v68
	v_pk_fma_f16 v73, v1, v90, v73
	v_mul_u32_u24_e32 v90, 0x10001, v92
	v_pk_fma_f16 v69, v0, v90, v69
	v_pk_fma_f16 v6, v1, v90, v6
	v_mul_u32_u24_e32 v90, 0x10001, v97
	s_delay_alu instid0(VALU_DEP_1) | instskip(SKIP_2) | instid1(VALU_DEP_1)
	v_pk_fma_f16 v70, v0, v90, v70
	v_pk_fma_f16 v74, v1, v90, v74
	v_mul_u32_u24_e32 v90, 0x10001, v93
	v_pk_fma_f16 v1, v1, v90, v75
	v_mul_u32_u24_e32 v75, 0x10001, v102
	v_pk_fma_f16 v0, v0, v90, v76
	s_delay_alu instid0(VALU_DEP_2) | instskip(SKIP_2) | instid1(VALU_DEP_1)
	v_pk_fma_f16 v63, v2, v75, v63
	v_pk_fma_f16 v71, v3, v75, v71
	v_mul_u32_u24_e32 v75, 0x10001, v98
	v_pk_fma_f16 v65, v2, v75, v65
	v_pk_fma_f16 v4, v3, v75, v4
	v_mul_u32_u24_e32 v75, 0x10001, v103
	s_delay_alu instid0(VALU_DEP_1) | instskip(SKIP_2) | instid1(VALU_DEP_1)
	v_pk_fma_f16 v66, v2, v75, v66
	v_pk_fma_f16 v72, v3, v75, v72
	v_mul_u32_u24_e32 v75, 0x10001, v99
	v_pk_fma_f16 v67, v2, v75, v67
	v_pk_fma_f16 v5, v3, v75, v5
	v_mul_u32_u24_e32 v75, 0x10001, v104
	s_delay_alu instid0(VALU_DEP_1) | instskip(SKIP_2) | instid1(VALU_DEP_1)
	;; [unrolled: 7-line block ×3, first 2 shown]
	v_pk_fma_f16 v70, v2, v75, v70
	v_pk_fma_f16 v74, v3, v75, v74
	v_mul_u32_u24_e32 v75, 0x10001, v101
	v_pk_fma_f16 v76, v2, v75, v0
	v_pk_fma_f16 v75, v3, v75, v1
	ds_load_b128 v[0:3], v81 offset:26208
	s_wait_dscnt 0x0
	v_lshrrev_b32_e32 v90, 16, v0
	v_lshrrev_b32_e32 v91, 16, v1
	;; [unrolled: 1-line block ×4, first 2 shown]
	v_and_b32_e32 v94, 0xffff, v0
	v_and_b32_e32 v95, 0xffff, v1
	;; [unrolled: 1-line block ×4, first 2 shown]
	ds_load_b128 v[0:3], v81 offset:26224
	v_mul_u32_u24_e32 v94, 0x10001, v94
	s_wait_dscnt 0x0
	v_lshrrev_b32_e32 v98, 16, v0
	v_lshrrev_b32_e32 v99, 16, v1
	;; [unrolled: 1-line block ×4, first 2 shown]
	v_and_b32_e32 v102, 0xffff, v0
	v_and_b32_e32 v103, 0xffff, v1
	;; [unrolled: 1-line block ×4, first 2 shown]
	ds_load_2addr_b64 v[0:3], v61 offset0:192 offset1:224
	s_wait_dscnt 0x0
	v_pk_fma_f16 v61, v0, v94, v63
	v_pk_fma_f16 v63, v1, v94, v71
	v_mul_u32_u24_e32 v71, 0x10001, v90
	s_delay_alu instid0(VALU_DEP_1) | instskip(SKIP_2) | instid1(VALU_DEP_1)
	v_pk_fma_f16 v65, v0, v71, v65
	v_pk_fma_f16 v4, v1, v71, v4
	v_mul_u32_u24_e32 v71, 0x10001, v95
	v_pk_fma_f16 v66, v0, v71, v66
	v_pk_fma_f16 v71, v1, v71, v72
	v_mul_u32_u24_e32 v72, 0x10001, v91
	s_delay_alu instid0(VALU_DEP_1) | instskip(SKIP_2) | instid1(VALU_DEP_1)
	v_pk_fma_f16 v67, v0, v72, v67
	v_pk_fma_f16 v5, v1, v72, v5
	v_mul_u32_u24_e32 v72, 0x10001, v96
	;; [unrolled: 7-line block ×7, first 2 shown]
	v_pk_fma_f16 v70, v2, v74, v70
	v_pk_fma_f16 v73, v3, v74, v73
	v_mul_u32_u24_e32 v74, 0x10001, v101
	s_delay_alu instid0(VALU_DEP_1)
	v_pk_fma_f16 v75, v2, v74, v0
	v_pk_fma_f16 v74, v3, v74, v1
	ds_load_b128 v[0:3], v81 offset:26240
	s_wait_dscnt 0x0
	v_lshrrev_b32_e32 v76, 16, v0
	v_lshrrev_b32_e32 v90, 16, v1
	;; [unrolled: 1-line block ×4, first 2 shown]
	v_and_b32_e32 v93, 0xffff, v0
	v_and_b32_e32 v94, 0xffff, v1
	;; [unrolled: 1-line block ×4, first 2 shown]
	ds_load_b128 v[0:3], v81 offset:26256
	v_mul_u32_u24_e32 v76, 0x10001, v76
	v_mul_u32_u24_e32 v93, 0x10001, v93
	s_wait_dscnt 0x0
	v_lshrrev_b32_e32 v97, 16, v0
	v_lshrrev_b32_e32 v98, 16, v1
	;; [unrolled: 1-line block ×4, first 2 shown]
	v_and_b32_e32 v101, 0xffff, v0
	v_and_b32_e32 v102, 0xffff, v1
	;; [unrolled: 1-line block ×4, first 2 shown]
	ds_load_2addr_b64 v[0:3], v59 offset1:32
	s_wait_dscnt 0x0
	v_pk_fma_f16 v65, v0, v76, v65
	v_pk_fma_f16 v4, v1, v76, v4
	v_mul_u32_u24_e32 v76, 0x10001, v94
	v_pk_fma_f16 v61, v0, v93, v61
	v_pk_fma_f16 v63, v1, v93, v63
	s_delay_alu instid0(VALU_DEP_3) | instskip(SKIP_2) | instid1(VALU_DEP_1)
	v_pk_fma_f16 v66, v0, v76, v66
	v_pk_fma_f16 v71, v1, v76, v71
	v_mul_u32_u24_e32 v76, 0x10001, v90
	v_pk_fma_f16 v67, v0, v76, v67
	v_pk_fma_f16 v5, v1, v76, v5
	v_mul_u32_u24_e32 v76, 0x10001, v95
	s_delay_alu instid0(VALU_DEP_1) | instskip(SKIP_2) | instid1(VALU_DEP_1)
	v_pk_fma_f16 v68, v0, v76, v68
	v_pk_fma_f16 v72, v1, v76, v72
	v_mul_u32_u24_e32 v76, 0x10001, v91
	v_pk_fma_f16 v69, v0, v76, v69
	v_pk_fma_f16 v6, v1, v76, v6
	v_mul_u32_u24_e32 v76, 0x10001, v96
	s_delay_alu instid0(VALU_DEP_1) | instskip(SKIP_2) | instid1(VALU_DEP_1)
	v_pk_fma_f16 v70, v0, v76, v70
	v_pk_fma_f16 v73, v1, v76, v73
	v_mul_u32_u24_e32 v76, 0x10001, v92
	v_pk_fma_f16 v1, v1, v76, v74
	v_mul_u32_u24_e32 v74, 0x10001, v101
	v_pk_fma_f16 v0, v0, v76, v75
	s_delay_alu instid0(VALU_DEP_2) | instskip(SKIP_2) | instid1(VALU_DEP_1)
	v_pk_fma_f16 v61, v2, v74, v61
	v_pk_fma_f16 v63, v3, v74, v63
	v_mul_u32_u24_e32 v74, 0x10001, v97
	v_pk_fma_f16 v65, v2, v74, v65
	v_pk_fma_f16 v4, v3, v74, v4
	v_mul_u32_u24_e32 v74, 0x10001, v102
	s_delay_alu instid0(VALU_DEP_1) | instskip(SKIP_2) | instid1(VALU_DEP_1)
	v_pk_fma_f16 v66, v2, v74, v66
	v_pk_fma_f16 v71, v3, v74, v71
	v_mul_u32_u24_e32 v74, 0x10001, v98
	v_pk_fma_f16 v67, v2, v74, v67
	v_pk_fma_f16 v5, v3, v74, v5
	v_mul_u32_u24_e32 v74, 0x10001, v103
	s_delay_alu instid0(VALU_DEP_1) | instskip(SKIP_2) | instid1(VALU_DEP_1)
	;; [unrolled: 7-line block ×3, first 2 shown]
	v_pk_fma_f16 v70, v2, v74, v70
	v_pk_fma_f16 v73, v3, v74, v73
	v_mul_u32_u24_e32 v74, 0x10001, v100
	v_pk_fma_f16 v75, v2, v74, v0
	v_pk_fma_f16 v74, v3, v74, v1
	ds_load_b128 v[0:3], v81 offset:26272
	s_wait_dscnt 0x0
	v_lshrrev_b32_e32 v76, 16, v0
	v_lshrrev_b32_e32 v90, 16, v1
	;; [unrolled: 1-line block ×4, first 2 shown]
	v_and_b32_e32 v93, 0xffff, v0
	v_and_b32_e32 v94, 0xffff, v1
	;; [unrolled: 1-line block ×4, first 2 shown]
	ds_load_b128 v[0:3], v81 offset:26288
	v_mul_u32_u24_e32 v76, 0x10001, v76
	v_mul_u32_u24_e32 v93, 0x10001, v93
	s_wait_dscnt 0x0
	v_lshrrev_b32_e32 v97, 16, v0
	v_lshrrev_b32_e32 v98, 16, v1
	;; [unrolled: 1-line block ×4, first 2 shown]
	v_and_b32_e32 v101, 0xffff, v0
	v_and_b32_e32 v102, 0xffff, v1
	;; [unrolled: 1-line block ×4, first 2 shown]
	ds_load_2addr_b64 v[0:3], v59 offset0:64 offset1:96
	s_wait_dscnt 0x0
	v_pk_fma_f16 v65, v0, v76, v65
	v_pk_fma_f16 v4, v1, v76, v4
	v_mul_u32_u24_e32 v76, 0x10001, v94
	v_pk_fma_f16 v61, v0, v93, v61
	v_pk_fma_f16 v63, v1, v93, v63
	s_delay_alu instid0(VALU_DEP_3) | instskip(SKIP_2) | instid1(VALU_DEP_1)
	v_pk_fma_f16 v66, v0, v76, v66
	v_pk_fma_f16 v71, v1, v76, v71
	v_mul_u32_u24_e32 v76, 0x10001, v90
	v_pk_fma_f16 v67, v0, v76, v67
	v_pk_fma_f16 v5, v1, v76, v5
	v_mul_u32_u24_e32 v76, 0x10001, v95
	s_delay_alu instid0(VALU_DEP_1) | instskip(SKIP_2) | instid1(VALU_DEP_1)
	v_pk_fma_f16 v68, v0, v76, v68
	v_pk_fma_f16 v72, v1, v76, v72
	v_mul_u32_u24_e32 v76, 0x10001, v91
	v_pk_fma_f16 v69, v0, v76, v69
	v_pk_fma_f16 v6, v1, v76, v6
	v_mul_u32_u24_e32 v76, 0x10001, v96
	s_delay_alu instid0(VALU_DEP_1) | instskip(SKIP_2) | instid1(VALU_DEP_1)
	v_pk_fma_f16 v70, v0, v76, v70
	v_pk_fma_f16 v73, v1, v76, v73
	v_mul_u32_u24_e32 v76, 0x10001, v92
	v_pk_fma_f16 v1, v1, v76, v74
	v_mul_u32_u24_e32 v74, 0x10001, v101
	v_pk_fma_f16 v0, v0, v76, v75
	s_delay_alu instid0(VALU_DEP_2) | instskip(SKIP_2) | instid1(VALU_DEP_1)
	v_pk_fma_f16 v61, v2, v74, v61
	v_pk_fma_f16 v63, v3, v74, v63
	v_mul_u32_u24_e32 v74, 0x10001, v97
	v_pk_fma_f16 v65, v2, v74, v65
	v_pk_fma_f16 v4, v3, v74, v4
	v_mul_u32_u24_e32 v74, 0x10001, v102
	s_delay_alu instid0(VALU_DEP_1) | instskip(SKIP_2) | instid1(VALU_DEP_1)
	v_pk_fma_f16 v66, v2, v74, v66
	v_pk_fma_f16 v71, v3, v74, v71
	v_mul_u32_u24_e32 v74, 0x10001, v98
	v_pk_fma_f16 v67, v2, v74, v67
	v_pk_fma_f16 v5, v3, v74, v5
	v_mul_u32_u24_e32 v74, 0x10001, v103
	s_delay_alu instid0(VALU_DEP_1) | instskip(SKIP_2) | instid1(VALU_DEP_1)
	;; [unrolled: 7-line block ×3, first 2 shown]
	v_pk_fma_f16 v70, v2, v74, v70
	v_pk_fma_f16 v73, v3, v74, v73
	v_mul_u32_u24_e32 v74, 0x10001, v100
	v_pk_fma_f16 v75, v2, v74, v0
	v_pk_fma_f16 v74, v3, v74, v1
	ds_load_b128 v[0:3], v81 offset:26304
	s_wait_dscnt 0x0
	v_lshrrev_b32_e32 v76, 16, v0
	v_lshrrev_b32_e32 v90, 16, v1
	v_lshrrev_b32_e32 v91, 16, v2
	v_lshrrev_b32_e32 v92, 16, v3
	v_and_b32_e32 v93, 0xffff, v0
	v_and_b32_e32 v94, 0xffff, v1
	;; [unrolled: 1-line block ×4, first 2 shown]
	ds_load_b128 v[0:3], v81 offset:26320
	v_mul_u32_u24_e32 v76, 0x10001, v76
	v_mul_u32_u24_e32 v93, 0x10001, v93
	s_wait_dscnt 0x0
	v_lshrrev_b32_e32 v97, 16, v0
	v_lshrrev_b32_e32 v98, 16, v1
	;; [unrolled: 1-line block ×4, first 2 shown]
	v_and_b32_e32 v101, 0xffff, v0
	v_and_b32_e32 v102, 0xffff, v1
	;; [unrolled: 1-line block ×4, first 2 shown]
	ds_load_2addr_b64 v[0:3], v59 offset0:128 offset1:160
	s_wait_dscnt 0x0
	v_pk_fma_f16 v65, v0, v76, v65
	v_pk_fma_f16 v4, v1, v76, v4
	v_mul_u32_u24_e32 v76, 0x10001, v94
	v_pk_fma_f16 v61, v0, v93, v61
	v_pk_fma_f16 v63, v1, v93, v63
	s_delay_alu instid0(VALU_DEP_3) | instskip(SKIP_2) | instid1(VALU_DEP_1)
	v_pk_fma_f16 v66, v0, v76, v66
	v_pk_fma_f16 v71, v1, v76, v71
	v_mul_u32_u24_e32 v76, 0x10001, v90
	v_pk_fma_f16 v67, v0, v76, v67
	v_pk_fma_f16 v5, v1, v76, v5
	v_mul_u32_u24_e32 v76, 0x10001, v95
	s_delay_alu instid0(VALU_DEP_1) | instskip(SKIP_2) | instid1(VALU_DEP_1)
	v_pk_fma_f16 v68, v0, v76, v68
	v_pk_fma_f16 v72, v1, v76, v72
	v_mul_u32_u24_e32 v76, 0x10001, v91
	v_pk_fma_f16 v69, v0, v76, v69
	v_pk_fma_f16 v6, v1, v76, v6
	v_mul_u32_u24_e32 v76, 0x10001, v96
	s_delay_alu instid0(VALU_DEP_1) | instskip(SKIP_2) | instid1(VALU_DEP_1)
	v_pk_fma_f16 v70, v0, v76, v70
	v_pk_fma_f16 v73, v1, v76, v73
	v_mul_u32_u24_e32 v76, 0x10001, v92
	v_pk_fma_f16 v1, v1, v76, v74
	v_mul_u32_u24_e32 v74, 0x10001, v101
	v_pk_fma_f16 v0, v0, v76, v75
	s_delay_alu instid0(VALU_DEP_2) | instskip(SKIP_2) | instid1(VALU_DEP_1)
	v_pk_fma_f16 v61, v2, v74, v61
	v_pk_fma_f16 v63, v3, v74, v63
	v_mul_u32_u24_e32 v74, 0x10001, v97
	v_pk_fma_f16 v65, v2, v74, v65
	v_pk_fma_f16 v4, v3, v74, v4
	v_mul_u32_u24_e32 v74, 0x10001, v102
	s_delay_alu instid0(VALU_DEP_1) | instskip(SKIP_2) | instid1(VALU_DEP_1)
	v_pk_fma_f16 v66, v2, v74, v66
	v_pk_fma_f16 v71, v3, v74, v71
	v_mul_u32_u24_e32 v74, 0x10001, v98
	v_pk_fma_f16 v67, v2, v74, v67
	v_pk_fma_f16 v5, v3, v74, v5
	v_mul_u32_u24_e32 v74, 0x10001, v103
	s_delay_alu instid0(VALU_DEP_1) | instskip(SKIP_2) | instid1(VALU_DEP_1)
	;; [unrolled: 7-line block ×3, first 2 shown]
	v_pk_fma_f16 v70, v2, v74, v70
	v_pk_fma_f16 v73, v3, v74, v73
	v_mul_u32_u24_e32 v74, 0x10001, v100
	v_pk_fma_f16 v75, v2, v74, v0
	v_pk_fma_f16 v74, v3, v74, v1
	ds_load_b128 v[0:3], v81 offset:26336
	s_wait_dscnt 0x0
	v_lshrrev_b32_e32 v76, 16, v0
	v_lshrrev_b32_e32 v90, 16, v1
	;; [unrolled: 1-line block ×4, first 2 shown]
	v_and_b32_e32 v93, 0xffff, v0
	v_and_b32_e32 v94, 0xffff, v1
	;; [unrolled: 1-line block ×4, first 2 shown]
	ds_load_b128 v[0:3], v81 offset:26352
	v_mul_u32_u24_e32 v93, 0x10001, v93
	s_wait_dscnt 0x0
	v_lshrrev_b32_e32 v97, 16, v0
	v_lshrrev_b32_e32 v98, 16, v1
	;; [unrolled: 1-line block ×4, first 2 shown]
	v_and_b32_e32 v101, 0xffff, v0
	v_and_b32_e32 v102, 0xffff, v1
	;; [unrolled: 1-line block ×4, first 2 shown]
	ds_load_2addr_b64 v[0:3], v59 offset0:192 offset1:224
	s_wait_dscnt 0x0
	v_pk_fma_f16 v59, v0, v93, v61
	v_pk_fma_f16 v61, v1, v93, v63
	v_mul_u32_u24_e32 v63, 0x10001, v76
	s_delay_alu instid0(VALU_DEP_1) | instskip(SKIP_2) | instid1(VALU_DEP_1)
	v_pk_fma_f16 v65, v0, v63, v65
	v_pk_fma_f16 v4, v1, v63, v4
	v_mul_u32_u24_e32 v63, 0x10001, v94
	v_pk_fma_f16 v66, v0, v63, v66
	v_pk_fma_f16 v63, v1, v63, v71
	v_mul_u32_u24_e32 v71, 0x10001, v90
	s_delay_alu instid0(VALU_DEP_1) | instskip(SKIP_2) | instid1(VALU_DEP_1)
	v_pk_fma_f16 v67, v0, v71, v67
	v_pk_fma_f16 v5, v1, v71, v5
	v_mul_u32_u24_e32 v71, 0x10001, v95
	v_pk_fma_f16 v68, v0, v71, v68
	v_pk_fma_f16 v71, v1, v71, v72
	v_mul_u32_u24_e32 v72, 0x10001, v91
	s_delay_alu instid0(VALU_DEP_1) | instskip(SKIP_2) | instid1(VALU_DEP_1)
	v_pk_fma_f16 v69, v0, v72, v69
	v_pk_fma_f16 v6, v1, v72, v6
	v_mul_u32_u24_e32 v72, 0x10001, v96
	v_pk_fma_f16 v70, v0, v72, v70
	v_pk_fma_f16 v72, v1, v72, v73
	v_mul_u32_u24_e32 v73, 0x10001, v92
	s_delay_alu instid0(VALU_DEP_1) | instskip(SKIP_2) | instid1(VALU_DEP_1)
	v_pk_fma_f16 v0, v0, v73, v75
	v_pk_fma_f16 v1, v1, v73, v74
	v_mul_u32_u24_e32 v73, 0x10001, v101
	v_pk_fma_f16 v59, v2, v73, v59
	v_pk_fma_f16 v61, v3, v73, v61
	v_mul_u32_u24_e32 v73, 0x10001, v97
	s_delay_alu instid0(VALU_DEP_1) | instskip(SKIP_2) | instid1(VALU_DEP_1)
	v_pk_fma_f16 v65, v2, v73, v65
	v_pk_fma_f16 v4, v3, v73, v4
	v_mul_u32_u24_e32 v73, 0x10001, v102
	v_pk_fma_f16 v66, v2, v73, v66
	v_pk_fma_f16 v63, v3, v73, v63
	v_mul_u32_u24_e32 v73, 0x10001, v98
	s_delay_alu instid0(VALU_DEP_1) | instskip(SKIP_2) | instid1(VALU_DEP_1)
	v_pk_fma_f16 v67, v2, v73, v67
	v_pk_fma_f16 v5, v3, v73, v5
	v_mul_u32_u24_e32 v73, 0x10001, v103
	v_pk_fma_f16 v68, v2, v73, v68
	v_pk_fma_f16 v71, v3, v73, v71
	v_mul_u32_u24_e32 v73, 0x10001, v99
	s_delay_alu instid0(VALU_DEP_1) | instskip(SKIP_2) | instid1(VALU_DEP_1)
	v_pk_fma_f16 v69, v2, v73, v69
	v_pk_fma_f16 v6, v3, v73, v6
	v_mul_u32_u24_e32 v73, 0x10001, v104
	v_pk_fma_f16 v70, v2, v73, v70
	v_pk_fma_f16 v72, v3, v73, v72
	v_mul_u32_u24_e32 v73, 0x10001, v100
	s_delay_alu instid0(VALU_DEP_1)
	v_pk_fma_f16 v74, v2, v73, v0
	v_pk_fma_f16 v73, v3, v73, v1
	ds_load_b128 v[0:3], v81 offset:26368
	s_wait_dscnt 0x0
	v_lshrrev_b32_e32 v75, 16, v0
	v_lshrrev_b32_e32 v76, 16, v1
	;; [unrolled: 1-line block ×4, first 2 shown]
	v_and_b32_e32 v92, 0xffff, v0
	v_and_b32_e32 v93, 0xffff, v1
	;; [unrolled: 1-line block ×4, first 2 shown]
	ds_load_b128 v[0:3], v81 offset:26384
	v_mul_u32_u24_e32 v75, 0x10001, v75
	v_mul_u32_u24_e32 v92, 0x10001, v92
	s_wait_dscnt 0x0
	v_lshrrev_b32_e32 v96, 16, v0
	v_lshrrev_b32_e32 v97, 16, v1
	;; [unrolled: 1-line block ×4, first 2 shown]
	v_and_b32_e32 v100, 0xffff, v0
	v_and_b32_e32 v101, 0xffff, v1
	;; [unrolled: 1-line block ×4, first 2 shown]
	ds_load_2addr_b64 v[0:3], v57 offset1:32
	s_wait_dscnt 0x0
	v_pk_fma_f16 v65, v0, v75, v65
	v_pk_fma_f16 v4, v1, v75, v4
	v_mul_u32_u24_e32 v75, 0x10001, v93
	v_pk_fma_f16 v59, v0, v92, v59
	v_pk_fma_f16 v61, v1, v92, v61
	s_delay_alu instid0(VALU_DEP_3) | instskip(SKIP_2) | instid1(VALU_DEP_1)
	v_pk_fma_f16 v66, v0, v75, v66
	v_pk_fma_f16 v63, v1, v75, v63
	v_mul_u32_u24_e32 v75, 0x10001, v76
	v_pk_fma_f16 v67, v0, v75, v67
	v_pk_fma_f16 v5, v1, v75, v5
	v_mul_u32_u24_e32 v75, 0x10001, v94
	s_delay_alu instid0(VALU_DEP_1) | instskip(SKIP_2) | instid1(VALU_DEP_1)
	v_pk_fma_f16 v68, v0, v75, v68
	v_pk_fma_f16 v71, v1, v75, v71
	v_mul_u32_u24_e32 v75, 0x10001, v90
	v_pk_fma_f16 v69, v0, v75, v69
	v_pk_fma_f16 v6, v1, v75, v6
	v_mul_u32_u24_e32 v75, 0x10001, v95
	s_delay_alu instid0(VALU_DEP_1) | instskip(SKIP_2) | instid1(VALU_DEP_1)
	v_pk_fma_f16 v70, v0, v75, v70
	v_pk_fma_f16 v72, v1, v75, v72
	v_mul_u32_u24_e32 v75, 0x10001, v91
	v_pk_fma_f16 v1, v1, v75, v73
	v_mul_u32_u24_e32 v73, 0x10001, v100
	v_pk_fma_f16 v0, v0, v75, v74
	s_delay_alu instid0(VALU_DEP_2) | instskip(SKIP_2) | instid1(VALU_DEP_1)
	v_pk_fma_f16 v59, v2, v73, v59
	v_pk_fma_f16 v61, v3, v73, v61
	v_mul_u32_u24_e32 v73, 0x10001, v96
	v_pk_fma_f16 v65, v2, v73, v65
	v_pk_fma_f16 v4, v3, v73, v4
	v_mul_u32_u24_e32 v73, 0x10001, v101
	s_delay_alu instid0(VALU_DEP_1) | instskip(SKIP_2) | instid1(VALU_DEP_1)
	v_pk_fma_f16 v66, v2, v73, v66
	v_pk_fma_f16 v63, v3, v73, v63
	v_mul_u32_u24_e32 v73, 0x10001, v97
	v_pk_fma_f16 v67, v2, v73, v67
	v_pk_fma_f16 v5, v3, v73, v5
	v_mul_u32_u24_e32 v73, 0x10001, v102
	s_delay_alu instid0(VALU_DEP_1) | instskip(SKIP_2) | instid1(VALU_DEP_1)
	;; [unrolled: 7-line block ×3, first 2 shown]
	v_pk_fma_f16 v70, v2, v73, v70
	v_pk_fma_f16 v72, v3, v73, v72
	v_mul_u32_u24_e32 v73, 0x10001, v99
	v_pk_fma_f16 v74, v2, v73, v0
	v_pk_fma_f16 v73, v3, v73, v1
	ds_load_b128 v[0:3], v81 offset:26400
	s_wait_dscnt 0x0
	v_lshrrev_b32_e32 v75, 16, v0
	v_lshrrev_b32_e32 v76, 16, v1
	;; [unrolled: 1-line block ×4, first 2 shown]
	v_and_b32_e32 v92, 0xffff, v0
	v_and_b32_e32 v93, 0xffff, v1
	;; [unrolled: 1-line block ×4, first 2 shown]
	ds_load_b128 v[0:3], v81 offset:26416
	v_mul_u32_u24_e32 v75, 0x10001, v75
	v_mul_u32_u24_e32 v92, 0x10001, v92
	s_wait_dscnt 0x0
	v_lshrrev_b32_e32 v96, 16, v0
	v_lshrrev_b32_e32 v97, 16, v1
	;; [unrolled: 1-line block ×4, first 2 shown]
	v_and_b32_e32 v100, 0xffff, v0
	v_and_b32_e32 v101, 0xffff, v1
	;; [unrolled: 1-line block ×4, first 2 shown]
	ds_load_2addr_b64 v[0:3], v57 offset0:64 offset1:96
	s_wait_dscnt 0x0
	v_pk_fma_f16 v65, v0, v75, v65
	v_pk_fma_f16 v4, v1, v75, v4
	v_mul_u32_u24_e32 v75, 0x10001, v93
	v_pk_fma_f16 v59, v0, v92, v59
	v_pk_fma_f16 v61, v1, v92, v61
	s_delay_alu instid0(VALU_DEP_3) | instskip(SKIP_2) | instid1(VALU_DEP_1)
	v_pk_fma_f16 v66, v0, v75, v66
	v_pk_fma_f16 v63, v1, v75, v63
	v_mul_u32_u24_e32 v75, 0x10001, v76
	v_pk_fma_f16 v67, v0, v75, v67
	v_pk_fma_f16 v5, v1, v75, v5
	v_mul_u32_u24_e32 v75, 0x10001, v94
	s_delay_alu instid0(VALU_DEP_1) | instskip(SKIP_2) | instid1(VALU_DEP_1)
	v_pk_fma_f16 v68, v0, v75, v68
	v_pk_fma_f16 v71, v1, v75, v71
	v_mul_u32_u24_e32 v75, 0x10001, v90
	v_pk_fma_f16 v69, v0, v75, v69
	v_pk_fma_f16 v6, v1, v75, v6
	v_mul_u32_u24_e32 v75, 0x10001, v95
	s_delay_alu instid0(VALU_DEP_1) | instskip(SKIP_2) | instid1(VALU_DEP_1)
	v_pk_fma_f16 v70, v0, v75, v70
	v_pk_fma_f16 v72, v1, v75, v72
	v_mul_u32_u24_e32 v75, 0x10001, v91
	v_pk_fma_f16 v1, v1, v75, v73
	v_mul_u32_u24_e32 v73, 0x10001, v100
	v_pk_fma_f16 v0, v0, v75, v74
	s_delay_alu instid0(VALU_DEP_2) | instskip(SKIP_2) | instid1(VALU_DEP_1)
	v_pk_fma_f16 v59, v2, v73, v59
	v_pk_fma_f16 v61, v3, v73, v61
	v_mul_u32_u24_e32 v73, 0x10001, v96
	v_pk_fma_f16 v65, v2, v73, v65
	v_pk_fma_f16 v4, v3, v73, v4
	v_mul_u32_u24_e32 v73, 0x10001, v101
	s_delay_alu instid0(VALU_DEP_1) | instskip(SKIP_2) | instid1(VALU_DEP_1)
	v_pk_fma_f16 v66, v2, v73, v66
	v_pk_fma_f16 v63, v3, v73, v63
	v_mul_u32_u24_e32 v73, 0x10001, v97
	v_pk_fma_f16 v67, v2, v73, v67
	v_pk_fma_f16 v5, v3, v73, v5
	v_mul_u32_u24_e32 v73, 0x10001, v102
	s_delay_alu instid0(VALU_DEP_1) | instskip(SKIP_2) | instid1(VALU_DEP_1)
	v_pk_fma_f16 v68, v2, v73, v68
	v_pk_fma_f16 v71, v3, v73, v71
	v_mul_u32_u24_e32 v73, 0x10001, v98
	v_pk_fma_f16 v69, v2, v73, v69
	v_pk_fma_f16 v6, v3, v73, v6
	v_mul_u32_u24_e32 v73, 0x10001, v103
	s_delay_alu instid0(VALU_DEP_1) | instskip(SKIP_2) | instid1(VALU_DEP_1)
	v_pk_fma_f16 v70, v2, v73, v70
	v_pk_fma_f16 v72, v3, v73, v72
	v_mul_u32_u24_e32 v73, 0x10001, v99
	v_pk_fma_f16 v74, v2, v73, v0
	v_pk_fma_f16 v73, v3, v73, v1
	ds_load_b128 v[0:3], v81 offset:26432
	s_wait_dscnt 0x0
	v_lshrrev_b32_e32 v75, 16, v0
	v_lshrrev_b32_e32 v76, 16, v1
	v_lshrrev_b32_e32 v90, 16, v2
	v_lshrrev_b32_e32 v91, 16, v3
	v_and_b32_e32 v92, 0xffff, v0
	v_and_b32_e32 v93, 0xffff, v1
	;; [unrolled: 1-line block ×4, first 2 shown]
	ds_load_b128 v[0:3], v81 offset:26448
	v_mul_u32_u24_e32 v75, 0x10001, v75
	v_mul_u32_u24_e32 v92, 0x10001, v92
	s_wait_dscnt 0x0
	v_lshrrev_b32_e32 v96, 16, v0
	v_lshrrev_b32_e32 v97, 16, v1
	;; [unrolled: 1-line block ×4, first 2 shown]
	v_and_b32_e32 v100, 0xffff, v0
	v_and_b32_e32 v101, 0xffff, v1
	;; [unrolled: 1-line block ×4, first 2 shown]
	ds_load_2addr_b64 v[0:3], v57 offset0:128 offset1:160
	s_wait_dscnt 0x0
	v_pk_fma_f16 v65, v0, v75, v65
	v_pk_fma_f16 v4, v1, v75, v4
	v_mul_u32_u24_e32 v75, 0x10001, v93
	v_pk_fma_f16 v59, v0, v92, v59
	v_pk_fma_f16 v61, v1, v92, v61
	s_delay_alu instid0(VALU_DEP_3) | instskip(SKIP_2) | instid1(VALU_DEP_1)
	v_pk_fma_f16 v66, v0, v75, v66
	v_pk_fma_f16 v63, v1, v75, v63
	v_mul_u32_u24_e32 v75, 0x10001, v76
	v_pk_fma_f16 v67, v0, v75, v67
	v_pk_fma_f16 v5, v1, v75, v5
	v_mul_u32_u24_e32 v75, 0x10001, v94
	s_delay_alu instid0(VALU_DEP_1) | instskip(SKIP_2) | instid1(VALU_DEP_1)
	v_pk_fma_f16 v68, v0, v75, v68
	v_pk_fma_f16 v71, v1, v75, v71
	v_mul_u32_u24_e32 v75, 0x10001, v90
	v_pk_fma_f16 v69, v0, v75, v69
	v_pk_fma_f16 v6, v1, v75, v6
	v_mul_u32_u24_e32 v75, 0x10001, v95
	s_delay_alu instid0(VALU_DEP_1) | instskip(SKIP_2) | instid1(VALU_DEP_1)
	v_pk_fma_f16 v70, v0, v75, v70
	v_pk_fma_f16 v72, v1, v75, v72
	v_mul_u32_u24_e32 v75, 0x10001, v91
	v_pk_fma_f16 v1, v1, v75, v73
	v_mul_u32_u24_e32 v73, 0x10001, v100
	v_pk_fma_f16 v0, v0, v75, v74
	s_delay_alu instid0(VALU_DEP_2) | instskip(SKIP_2) | instid1(VALU_DEP_1)
	v_pk_fma_f16 v59, v2, v73, v59
	v_pk_fma_f16 v61, v3, v73, v61
	v_mul_u32_u24_e32 v73, 0x10001, v96
	v_pk_fma_f16 v65, v2, v73, v65
	v_pk_fma_f16 v4, v3, v73, v4
	v_mul_u32_u24_e32 v73, 0x10001, v101
	s_delay_alu instid0(VALU_DEP_1) | instskip(SKIP_2) | instid1(VALU_DEP_1)
	v_pk_fma_f16 v66, v2, v73, v66
	v_pk_fma_f16 v63, v3, v73, v63
	v_mul_u32_u24_e32 v73, 0x10001, v97
	v_pk_fma_f16 v67, v2, v73, v67
	v_pk_fma_f16 v5, v3, v73, v5
	v_mul_u32_u24_e32 v73, 0x10001, v102
	s_delay_alu instid0(VALU_DEP_1) | instskip(SKIP_2) | instid1(VALU_DEP_1)
	;; [unrolled: 7-line block ×3, first 2 shown]
	v_pk_fma_f16 v70, v2, v73, v70
	v_pk_fma_f16 v72, v3, v73, v72
	v_mul_u32_u24_e32 v73, 0x10001, v99
	v_pk_fma_f16 v74, v2, v73, v0
	v_pk_fma_f16 v73, v3, v73, v1
	ds_load_b128 v[0:3], v81 offset:26464
	s_wait_dscnt 0x0
	v_lshrrev_b32_e32 v75, 16, v0
	v_lshrrev_b32_e32 v76, 16, v1
	;; [unrolled: 1-line block ×4, first 2 shown]
	v_and_b32_e32 v92, 0xffff, v0
	v_and_b32_e32 v93, 0xffff, v1
	;; [unrolled: 1-line block ×4, first 2 shown]
	ds_load_b128 v[0:3], v81 offset:26480
	v_mul_u32_u24_e32 v92, 0x10001, v92
	s_wait_dscnt 0x0
	v_lshrrev_b32_e32 v96, 16, v0
	v_lshrrev_b32_e32 v97, 16, v1
	v_lshrrev_b32_e32 v98, 16, v2
	v_lshrrev_b32_e32 v99, 16, v3
	v_and_b32_e32 v100, 0xffff, v0
	v_and_b32_e32 v101, 0xffff, v1
	;; [unrolled: 1-line block ×4, first 2 shown]
	ds_load_2addr_b64 v[0:3], v57 offset0:192 offset1:224
	s_wait_dscnt 0x0
	v_pk_fma_f16 v57, v0, v92, v59
	v_pk_fma_f16 v59, v1, v92, v61
	v_mul_u32_u24_e32 v61, 0x10001, v75
	s_delay_alu instid0(VALU_DEP_1) | instskip(SKIP_2) | instid1(VALU_DEP_1)
	v_pk_fma_f16 v65, v0, v61, v65
	v_pk_fma_f16 v4, v1, v61, v4
	v_mul_u32_u24_e32 v61, 0x10001, v93
	v_pk_fma_f16 v66, v0, v61, v66
	v_pk_fma_f16 v61, v1, v61, v63
	v_mul_u32_u24_e32 v63, 0x10001, v76
	s_delay_alu instid0(VALU_DEP_1) | instskip(SKIP_2) | instid1(VALU_DEP_1)
	v_pk_fma_f16 v67, v0, v63, v67
	v_pk_fma_f16 v5, v1, v63, v5
	v_mul_u32_u24_e32 v63, 0x10001, v94
	;; [unrolled: 7-line block ×7, first 2 shown]
	v_pk_fma_f16 v70, v2, v72, v70
	v_pk_fma_f16 v71, v3, v72, v71
	v_mul_u32_u24_e32 v72, 0x10001, v99
	s_delay_alu instid0(VALU_DEP_1)
	v_pk_fma_f16 v73, v2, v72, v0
	v_pk_fma_f16 v72, v3, v72, v1
	ds_load_b128 v[0:3], v81 offset:26496
	s_wait_dscnt 0x0
	v_lshrrev_b32_e32 v74, 16, v0
	v_lshrrev_b32_e32 v75, 16, v1
	;; [unrolled: 1-line block ×4, first 2 shown]
	v_and_b32_e32 v91, 0xffff, v0
	v_and_b32_e32 v92, 0xffff, v1
	;; [unrolled: 1-line block ×4, first 2 shown]
	ds_load_b128 v[0:3], v81 offset:26512
	v_mul_u32_u24_e32 v74, 0x10001, v74
	v_mul_u32_u24_e32 v91, 0x10001, v91
	s_wait_dscnt 0x0
	v_lshrrev_b32_e32 v95, 16, v0
	v_lshrrev_b32_e32 v96, 16, v1
	;; [unrolled: 1-line block ×4, first 2 shown]
	v_and_b32_e32 v99, 0xffff, v0
	v_and_b32_e32 v100, 0xffff, v1
	;; [unrolled: 1-line block ×4, first 2 shown]
	ds_load_2addr_b64 v[0:3], v21 offset1:32
	s_wait_dscnt 0x0
	v_pk_fma_f16 v65, v0, v74, v65
	v_pk_fma_f16 v4, v1, v74, v4
	v_mul_u32_u24_e32 v74, 0x10001, v92
	v_pk_fma_f16 v57, v0, v91, v57
	v_pk_fma_f16 v59, v1, v91, v59
	s_delay_alu instid0(VALU_DEP_3) | instskip(SKIP_2) | instid1(VALU_DEP_1)
	v_pk_fma_f16 v66, v0, v74, v66
	v_pk_fma_f16 v61, v1, v74, v61
	v_mul_u32_u24_e32 v74, 0x10001, v75
	v_pk_fma_f16 v67, v0, v74, v67
	v_pk_fma_f16 v5, v1, v74, v5
	v_mul_u32_u24_e32 v74, 0x10001, v93
	s_delay_alu instid0(VALU_DEP_1) | instskip(SKIP_2) | instid1(VALU_DEP_1)
	v_pk_fma_f16 v68, v0, v74, v68
	v_pk_fma_f16 v63, v1, v74, v63
	v_mul_u32_u24_e32 v74, 0x10001, v76
	v_pk_fma_f16 v69, v0, v74, v69
	v_pk_fma_f16 v6, v1, v74, v6
	v_mul_u32_u24_e32 v74, 0x10001, v94
	s_delay_alu instid0(VALU_DEP_1) | instskip(SKIP_2) | instid1(VALU_DEP_1)
	v_pk_fma_f16 v70, v0, v74, v70
	v_pk_fma_f16 v71, v1, v74, v71
	v_mul_u32_u24_e32 v74, 0x10001, v90
	v_pk_fma_f16 v1, v1, v74, v72
	v_mul_u32_u24_e32 v72, 0x10001, v99
	v_pk_fma_f16 v0, v0, v74, v73
	s_delay_alu instid0(VALU_DEP_2) | instskip(SKIP_2) | instid1(VALU_DEP_1)
	v_pk_fma_f16 v57, v2, v72, v57
	v_pk_fma_f16 v59, v3, v72, v59
	v_mul_u32_u24_e32 v72, 0x10001, v95
	v_pk_fma_f16 v65, v2, v72, v65
	v_pk_fma_f16 v4, v3, v72, v4
	v_mul_u32_u24_e32 v72, 0x10001, v100
	s_delay_alu instid0(VALU_DEP_1) | instskip(SKIP_2) | instid1(VALU_DEP_1)
	v_pk_fma_f16 v66, v2, v72, v66
	v_pk_fma_f16 v61, v3, v72, v61
	v_mul_u32_u24_e32 v72, 0x10001, v96
	v_pk_fma_f16 v67, v2, v72, v67
	v_pk_fma_f16 v5, v3, v72, v5
	v_mul_u32_u24_e32 v72, 0x10001, v101
	s_delay_alu instid0(VALU_DEP_1) | instskip(SKIP_2) | instid1(VALU_DEP_1)
	;; [unrolled: 7-line block ×3, first 2 shown]
	v_pk_fma_f16 v70, v2, v72, v70
	v_pk_fma_f16 v71, v3, v72, v71
	v_mul_u32_u24_e32 v72, 0x10001, v98
	v_pk_fma_f16 v73, v2, v72, v0
	v_pk_fma_f16 v72, v3, v72, v1
	ds_load_b128 v[0:3], v81 offset:26528
	s_wait_dscnt 0x0
	v_lshrrev_b32_e32 v74, 16, v0
	v_lshrrev_b32_e32 v75, 16, v1
	v_lshrrev_b32_e32 v76, 16, v2
	v_lshrrev_b32_e32 v90, 16, v3
	v_and_b32_e32 v91, 0xffff, v0
	v_and_b32_e32 v92, 0xffff, v1
	v_and_b32_e32 v93, 0xffff, v2
	v_and_b32_e32 v94, 0xffff, v3
	ds_load_b128 v[0:3], v81 offset:26544
	v_mul_u32_u24_e32 v74, 0x10001, v74
	v_mul_u32_u24_e32 v91, 0x10001, v91
	s_wait_dscnt 0x0
	v_lshrrev_b32_e32 v95, 16, v0
	v_lshrrev_b32_e32 v96, 16, v1
	;; [unrolled: 1-line block ×4, first 2 shown]
	v_and_b32_e32 v99, 0xffff, v0
	v_and_b32_e32 v100, 0xffff, v1
	;; [unrolled: 1-line block ×4, first 2 shown]
	ds_load_2addr_b64 v[0:3], v21 offset0:64 offset1:96
	s_wait_dscnt 0x0
	v_pk_fma_f16 v65, v0, v74, v65
	v_pk_fma_f16 v4, v1, v74, v4
	v_mul_u32_u24_e32 v74, 0x10001, v92
	v_pk_fma_f16 v57, v0, v91, v57
	v_pk_fma_f16 v59, v1, v91, v59
	s_delay_alu instid0(VALU_DEP_3) | instskip(SKIP_2) | instid1(VALU_DEP_1)
	v_pk_fma_f16 v66, v0, v74, v66
	v_pk_fma_f16 v61, v1, v74, v61
	v_mul_u32_u24_e32 v74, 0x10001, v75
	v_pk_fma_f16 v67, v0, v74, v67
	v_pk_fma_f16 v5, v1, v74, v5
	v_mul_u32_u24_e32 v74, 0x10001, v93
	s_delay_alu instid0(VALU_DEP_1) | instskip(SKIP_2) | instid1(VALU_DEP_1)
	v_pk_fma_f16 v68, v0, v74, v68
	v_pk_fma_f16 v63, v1, v74, v63
	v_mul_u32_u24_e32 v74, 0x10001, v76
	v_pk_fma_f16 v69, v0, v74, v69
	v_pk_fma_f16 v6, v1, v74, v6
	v_mul_u32_u24_e32 v74, 0x10001, v94
	s_delay_alu instid0(VALU_DEP_1) | instskip(SKIP_2) | instid1(VALU_DEP_1)
	v_pk_fma_f16 v70, v0, v74, v70
	v_pk_fma_f16 v71, v1, v74, v71
	v_mul_u32_u24_e32 v74, 0x10001, v90
	v_pk_fma_f16 v1, v1, v74, v72
	v_mul_u32_u24_e32 v72, 0x10001, v99
	v_pk_fma_f16 v0, v0, v74, v73
	s_delay_alu instid0(VALU_DEP_2) | instskip(SKIP_2) | instid1(VALU_DEP_1)
	v_pk_fma_f16 v57, v2, v72, v57
	v_pk_fma_f16 v59, v3, v72, v59
	v_mul_u32_u24_e32 v72, 0x10001, v95
	v_pk_fma_f16 v65, v2, v72, v65
	v_pk_fma_f16 v4, v3, v72, v4
	v_mul_u32_u24_e32 v72, 0x10001, v100
	s_delay_alu instid0(VALU_DEP_1) | instskip(SKIP_2) | instid1(VALU_DEP_1)
	v_pk_fma_f16 v66, v2, v72, v66
	v_pk_fma_f16 v61, v3, v72, v61
	v_mul_u32_u24_e32 v72, 0x10001, v96
	v_pk_fma_f16 v67, v2, v72, v67
	v_pk_fma_f16 v5, v3, v72, v5
	v_mul_u32_u24_e32 v72, 0x10001, v101
	s_delay_alu instid0(VALU_DEP_1) | instskip(SKIP_2) | instid1(VALU_DEP_1)
	;; [unrolled: 7-line block ×3, first 2 shown]
	v_pk_fma_f16 v70, v2, v72, v70
	v_pk_fma_f16 v71, v3, v72, v71
	v_mul_u32_u24_e32 v72, 0x10001, v98
	v_pk_fma_f16 v73, v2, v72, v0
	v_pk_fma_f16 v72, v3, v72, v1
	ds_load_b128 v[0:3], v81 offset:26560
	s_wait_dscnt 0x0
	v_lshrrev_b32_e32 v74, 16, v0
	v_lshrrev_b32_e32 v75, 16, v1
	;; [unrolled: 1-line block ×4, first 2 shown]
	v_and_b32_e32 v91, 0xffff, v0
	v_and_b32_e32 v92, 0xffff, v1
	;; [unrolled: 1-line block ×4, first 2 shown]
	ds_load_b128 v[0:3], v81 offset:26576
	v_mul_u32_u24_e32 v74, 0x10001, v74
	v_mul_u32_u24_e32 v91, 0x10001, v91
	s_wait_dscnt 0x0
	v_lshrrev_b32_e32 v95, 16, v0
	v_lshrrev_b32_e32 v96, 16, v1
	;; [unrolled: 1-line block ×4, first 2 shown]
	v_and_b32_e32 v99, 0xffff, v0
	v_and_b32_e32 v100, 0xffff, v1
	;; [unrolled: 1-line block ×4, first 2 shown]
	ds_load_2addr_b64 v[0:3], v21 offset0:128 offset1:160
	s_wait_dscnt 0x0
	v_pk_fma_f16 v65, v0, v74, v65
	v_pk_fma_f16 v4, v1, v74, v4
	v_mul_u32_u24_e32 v74, 0x10001, v92
	v_pk_fma_f16 v57, v0, v91, v57
	v_pk_fma_f16 v59, v1, v91, v59
	s_delay_alu instid0(VALU_DEP_3) | instskip(SKIP_2) | instid1(VALU_DEP_1)
	v_pk_fma_f16 v66, v0, v74, v66
	v_pk_fma_f16 v61, v1, v74, v61
	v_mul_u32_u24_e32 v74, 0x10001, v75
	v_pk_fma_f16 v67, v0, v74, v67
	v_pk_fma_f16 v5, v1, v74, v5
	v_mul_u32_u24_e32 v74, 0x10001, v93
	s_delay_alu instid0(VALU_DEP_1) | instskip(SKIP_2) | instid1(VALU_DEP_1)
	v_pk_fma_f16 v68, v0, v74, v68
	v_pk_fma_f16 v63, v1, v74, v63
	v_mul_u32_u24_e32 v74, 0x10001, v76
	v_pk_fma_f16 v69, v0, v74, v69
	v_pk_fma_f16 v6, v1, v74, v6
	v_mul_u32_u24_e32 v74, 0x10001, v94
	s_delay_alu instid0(VALU_DEP_1) | instskip(SKIP_2) | instid1(VALU_DEP_1)
	v_pk_fma_f16 v70, v0, v74, v70
	v_pk_fma_f16 v71, v1, v74, v71
	v_mul_u32_u24_e32 v74, 0x10001, v90
	v_pk_fma_f16 v1, v1, v74, v72
	v_mul_u32_u24_e32 v72, 0x10001, v99
	v_pk_fma_f16 v0, v0, v74, v73
	s_delay_alu instid0(VALU_DEP_2) | instskip(SKIP_2) | instid1(VALU_DEP_1)
	v_pk_fma_f16 v57, v2, v72, v57
	v_pk_fma_f16 v59, v3, v72, v59
	v_mul_u32_u24_e32 v72, 0x10001, v95
	v_pk_fma_f16 v65, v2, v72, v65
	v_pk_fma_f16 v4, v3, v72, v4
	v_mul_u32_u24_e32 v72, 0x10001, v100
	s_delay_alu instid0(VALU_DEP_1) | instskip(SKIP_2) | instid1(VALU_DEP_1)
	v_pk_fma_f16 v66, v2, v72, v66
	v_pk_fma_f16 v61, v3, v72, v61
	v_mul_u32_u24_e32 v72, 0x10001, v96
	v_pk_fma_f16 v67, v2, v72, v67
	v_pk_fma_f16 v5, v3, v72, v5
	v_mul_u32_u24_e32 v72, 0x10001, v101
	s_delay_alu instid0(VALU_DEP_1) | instskip(SKIP_2) | instid1(VALU_DEP_1)
	;; [unrolled: 7-line block ×3, first 2 shown]
	v_pk_fma_f16 v70, v2, v72, v70
	v_pk_fma_f16 v71, v3, v72, v71
	v_mul_u32_u24_e32 v72, 0x10001, v98
	v_pk_fma_f16 v73, v2, v72, v0
	v_pk_fma_f16 v72, v3, v72, v1
	ds_load_b128 v[0:3], v81 offset:26592
	s_wait_dscnt 0x0
	v_lshrrev_b32_e32 v74, 16, v0
	v_lshrrev_b32_e32 v75, 16, v1
	;; [unrolled: 1-line block ×4, first 2 shown]
	v_and_b32_e32 v91, 0xffff, v0
	v_and_b32_e32 v92, 0xffff, v1
	;; [unrolled: 1-line block ×4, first 2 shown]
	ds_load_b128 v[0:3], v81 offset:26608
	v_mul_u32_u24_e32 v91, 0x10001, v91
	s_wait_dscnt 0x0
	v_lshrrev_b32_e32 v81, 16, v0
	v_lshrrev_b32_e32 v95, 16, v1
	;; [unrolled: 1-line block ×4, first 2 shown]
	v_and_b32_e32 v98, 0xffff, v0
	v_and_b32_e32 v99, 0xffff, v1
	;; [unrolled: 1-line block ×4, first 2 shown]
	ds_load_2addr_b64 v[0:3], v21 offset0:192 offset1:224
	s_wait_loadcnt_dscnt 0x0
	s_barrier_signal -1
	s_barrier_wait -1
	global_inv scope:SCOPE_SE
	v_pk_fma_f16 v21, v0, v91, v57
	v_pk_fma_f16 v57, v1, v91, v59
	v_mul_u32_u24_e32 v59, 0x10001, v74
	s_delay_alu instid0(VALU_DEP_1) | instskip(SKIP_2) | instid1(VALU_DEP_1)
	v_pk_fma_f16 v65, v0, v59, v65
	v_pk_fma_f16 v4, v1, v59, v4
	v_mul_u32_u24_e32 v59, 0x10001, v92
	v_pk_fma_f16 v66, v0, v59, v66
	v_pk_fma_f16 v59, v1, v59, v61
	v_mul_u32_u24_e32 v61, 0x10001, v75
	s_delay_alu instid0(VALU_DEP_1) | instskip(SKIP_2) | instid1(VALU_DEP_1)
	v_pk_fma_f16 v67, v0, v61, v67
	v_pk_fma_f16 v5, v1, v61, v5
	v_mul_u32_u24_e32 v61, 0x10001, v93
	v_pk_fma_f16 v68, v0, v61, v68
	v_pk_fma_f16 v61, v1, v61, v63
	v_mul_u32_u24_e32 v63, 0x10001, v76
	s_delay_alu instid0(VALU_DEP_1) | instskip(SKIP_3) | instid1(VALU_DEP_2)
	v_pk_fma_f16 v91, v0, v63, v69
	v_pk_fma_f16 v6, v1, v63, v6
	v_mul_u32_u24_e32 v63, 0x10001, v94
	v_mul_u32_u24_e32 v69, 0x10001, v90
	v_pk_fma_f16 v92, v0, v63, v70
	v_pk_fma_f16 v63, v1, v63, v71
	s_delay_alu instid0(VALU_DEP_3) | instskip(SKIP_2) | instid1(VALU_DEP_1)
	v_pk_fma_f16 v0, v0, v69, v73
	v_pk_fma_f16 v1, v1, v69, v72
	v_mul_u32_u24_e32 v69, 0x10001, v98
	v_pk_fma_f16 v75, v2, v69, v21
	v_mul_u32_u24_e32 v21, 0x10001, v81
	v_pk_fma_f16 v76, v3, v69, v57
	s_delay_alu instid0(VALU_DEP_2) | instskip(SKIP_2) | instid1(VALU_DEP_2)
	v_pk_fma_f16 v74, v3, v21, v4
	v_mul_u32_u24_e32 v4, 0x10001, v99
	v_pk_fma_f16 v73, v2, v21, v65
	v_pk_fma_f16 v72, v2, v4, v66
	;; [unrolled: 1-line block ×3, first 2 shown]
	v_mul_u32_u24_e32 v4, 0x10001, v95
	s_delay_alu instid0(VALU_DEP_1) | instskip(SKIP_3) | instid1(VALU_DEP_2)
	v_pk_fma_f16 v69, v2, v4, v67
	v_pk_fma_f16 v70, v3, v4, v5
	v_mul_u32_u24_e32 v4, 0x10001, v100
	v_add_f32_e32 v5, v55, v58
	v_pk_fma_f16 v67, v2, v4, v68
	v_pk_fma_f16 v68, v3, v4, v61
	v_mul_u32_u24_e32 v4, 0x10001, v96
	s_delay_alu instid0(VALU_DEP_4) | instskip(NEXT) | instid1(VALU_DEP_2)
	v_fmac_f32_e32 v5, v47, v88
	v_pk_fma_f16 v65, v2, v4, v91
	v_pk_fma_f16 v66, v3, v4, v6
	v_mul_u32_u24_e32 v4, 0x10001, v101
	s_delay_alu instid0(VALU_DEP_4) | instskip(NEXT) | instid1(VALU_DEP_2)
	v_dual_add_f32 v6, v54, v56 :: v_dual_mov_b32 v47, v5
	v_pk_fma_f16 v61, v2, v4, v92
	v_pk_fma_f16 v63, v3, v4, v63
	v_mul_u32_u24_e32 v4, 0x10001, v97
	s_delay_alu instid0(VALU_DEP_4) | instskip(NEXT) | instid1(VALU_DEP_2)
	v_fmac_f32_e32 v6, v43, v89
	v_pk_fma_f16 v59, v2, v4, v0
	v_pk_fma_f16 v57, v3, v4, v1
	v_dual_add_f32 v0, v53, v84 :: v_dual_add_f32 v1, v52, v83
	v_add_f32_e32 v2, v51, v80
	v_dual_add_f32 v3, v17, v60 :: v_dual_add_f32 v4, v16, v62
	s_delay_alu instid0(VALU_DEP_3) | instskip(NEXT) | instid1(VALU_DEP_2)
	v_dual_fmac_f32 v0, v23, v48 :: v_dual_fmac_f32 v1, v22, v49
	v_dual_fmac_f32 v2, v42, v85 :: v_dual_fmac_f32 v3, v45, v86
	s_delay_alu instid0(VALU_DEP_3) | instskip(NEXT) | instid1(VALU_DEP_3)
	v_fmac_f32_e32 v4, v46, v87
	v_dual_mov_b32 v43, v6 :: v_dual_mov_b32 v22, v1
	s_delay_alu instid0(VALU_DEP_3) | instskip(NEXT) | instid1(VALU_DEP_3)
	v_dual_mov_b32 v42, v2 :: v_dual_mov_b32 v45, v3
	v_dual_mov_b32 v46, v4 :: v_dual_mov_b32 v23, v0
	;; [unrolled: 1-line block ×6, first 2 shown]
.LBB52_128:
	v_cmp_lt_i32_e32 vcc_lo, v82, v77
	s_cmp_eq_u64 s[16:17], 0
	s_cselect_b32 s2, -1, 0
	s_cmp_lg_u32 s18, 0
	s_wait_alu 0xfffd
	v_cndmask_b32_e32 v8, v20, v82, vcc_lo
	v_cmp_lt_i32_e32 vcc_lo, v79, v77
	s_cselect_b32 s3, -1, 0
	s_wait_alu 0xfffe
	s_or_b32 s2, s3, s2
	v_lshlrev_b32_e32 v8, 2, v8
	ds_bpermute_b32 v11, v8, v42
	s_wait_dscnt 0x0
	v_add_f32_e32 v11, v42, v11
	ds_bpermute_b32 v9, v8, v23
	ds_bpermute_b32 v10, v8, v22
	;; [unrolled: 1-line block ×7, first 2 shown]
	s_wait_alu 0xfffd
	v_cndmask_b32_e32 v16, v20, v79, vcc_lo
	v_cmp_lt_i32_e32 vcc_lo, v78, v77
	s_wait_dscnt 0x6
	v_add_f32_e32 v9, v23, v9
	s_wait_dscnt 0x3
	v_dual_add_f32 v13, v45, v13 :: v_dual_lshlrev_b32 v16, 2, v16
	s_wait_dscnt 0x1
	v_add_f32_e32 v15, v47, v15
	s_wait_dscnt 0x0
	s_wait_alu 0xfffd
	v_dual_add_f32 v8, v43, v8 :: v_dual_cndmask_b32 v45, v20, v78
	v_add_f32_e32 v10, v22, v10
	ds_bpermute_b32 v17, v16, v9
	v_add_f32_e32 v12, v44, v12
	ds_bpermute_b32 v22, v16, v11
	v_lshlrev_b32_e32 v45, 2, v45
	ds_bpermute_b32 v21, v16, v10
	ds_bpermute_b32 v44, v16, v15
	v_add_f32_e32 v14, v46, v14
	ds_bpermute_b32 v42, v16, v13
	v_cmp_lt_i32_e32 vcc_lo, v19, v77
	s_wait_dscnt 0x4
	v_add_f32_e32 v9, v9, v17
	ds_bpermute_b32 v23, v16, v12
	s_wait_dscnt 0x3
	v_dual_add_f32 v11, v11, v22 :: v_dual_add_f32 v10, v10, v21
	s_wait_dscnt 0x2
	v_add_f32_e32 v15, v15, v44
	ds_bpermute_b32 v43, v16, v14
	ds_bpermute_b32 v16, v16, v8
	;; [unrolled: 1-line block ×4, first 2 shown]
	s_wait_alu 0xfffd
	v_cndmask_b32_e32 v19, v20, v19, vcc_lo
	v_cmp_lt_i32_e32 vcc_lo, v18, v77
	s_wait_dscnt 0x4
	v_dual_add_f32 v13, v13, v42 :: v_dual_add_f32 v12, v12, v23
	ds_bpermute_b32 v23, v45, v13
	ds_bpermute_b32 v22, v45, v12
	s_wait_dscnt 0x3
	v_add_f32_e32 v11, v11, v21
	s_wait_dscnt 0x2
	v_add_f32_e32 v10, v10, v17
	v_dual_add_f32 v8, v8, v16 :: v_dual_lshlrev_b32 v19, 2, v19
	ds_bpermute_b32 v16, v45, v9
	v_add_f32_e32 v14, v14, v43
	ds_bpermute_b32 v43, v45, v15
	ds_bpermute_b32 v44, v45, v8
	;; [unrolled: 1-line block ×3, first 2 shown]
	s_wait_dscnt 0x4
	v_add_f32_e32 v12, v12, v22
	ds_bpermute_b32 v21, v19, v11
	ds_bpermute_b32 v22, v19, v12
	s_wait_dscnt 0x5
	v_add_f32_e32 v9, v9, v16
	ds_bpermute_b32 v42, v45, v14
	v_add_f32_e32 v13, v13, v23
	s_wait_dscnt 0x4
	v_dual_add_f32 v15, v15, v43 :: v_dual_add_f32 v8, v8, v44
	ds_bpermute_b32 v16, v19, v9
	s_wait_alu 0xfffd
	v_cndmask_b32_e32 v18, v20, v18, vcc_lo
	s_wait_alu 0xfffe
	s_and_b32 vcc_lo, exec_lo, s2
	ds_bpermute_b32 v43, v19, v15
	s_wait_dscnt 0x3
	v_dual_add_f32 v11, v11, v21 :: v_dual_add_f32 v12, v12, v22
	s_wait_dscnt 0x2
	v_add_f32_e32 v14, v14, v42
	ds_bpermute_b32 v23, v19, v13
	s_wait_dscnt 0x2
	v_dual_add_f32 v10, v10, v17 :: v_dual_add_f32 v9, v9, v16
	ds_bpermute_b32 v42, v19, v14
	ds_bpermute_b32 v19, v19, v8
	s_wait_dscnt 0x3
	v_dual_add_f32 v15, v15, v43 :: v_dual_lshlrev_b32 v18, 2, v18
	ds_bpermute_b32 v20, v18, v12
	s_wait_dscnt 0x3
	v_add_f32_e32 v13, v13, v23
	ds_bpermute_b32 v17, v18, v10
	ds_bpermute_b32 v23, v18, v15
	s_wait_dscnt 0x4
	v_add_f32_e32 v14, v14, v42
	s_wait_dscnt 0x3
	v_add_f32_e32 v16, v8, v19
	ds_bpermute_b32 v8, v18, v9
	ds_bpermute_b32 v19, v18, v11
	;; [unrolled: 1-line block ×3, first 2 shown]
	s_wait_dscnt 0x2
	v_dual_add_f32 v8, v9, v8 :: v_dual_add_f32 v9, v10, v17
	s_wait_dscnt 0x1
	v_dual_add_f32 v10, v11, v19 :: v_dual_add_f32 v11, v12, v20
	ds_bpermute_b32 v22, v18, v14
	ds_bpermute_b32 v18, v18, v16
	s_wait_dscnt 0x1
	v_dual_add_f32 v12, v13, v21 :: v_dual_add_f32 v13, v14, v22
	s_wait_dscnt 0x0
	v_dual_add_f32 v14, v15, v23 :: v_dual_add_f32 v15, v16, v18
	s_wait_alu 0xfffe
	s_cbranch_vccnz .LBB52_131
; %bb.129:
	v_dual_mov_b32 v16, 0 :: v_dual_max_num_f32 v17, v0, v0
	s_lshl_b64 s[2:3], s[34:35], 2
	v_dual_max_num_f32 v18, v1, v1 :: v_dual_max_num_f32 v19, v2, v2
	s_wait_alu 0xfffe
	s_add_nc_u64 s[2:3], s[16:17], s[2:3]
	v_dual_max_num_f32 v22, v4, v4 :: v_dual_max_num_f32 v23, v5, v5
	global_load_b32 v16, v16, s[2:3]
	v_max_num_f32_e32 v20, v3, v3
	v_dual_max_num_f32 v48, v6, v6 :: v_dual_max_num_f32 v49, v7, v7
	s_wait_loadcnt 0x0
	v_max_num_f32_e32 v21, v16, v16
	s_delay_alu instid0(VALU_DEP_1) | instskip(NEXT) | instid1(VALU_DEP_1)
	v_max_num_f32_e32 v44, v19, v21
	v_dual_max_num_f32 v42, v17, v21 :: v_dual_sub_f32 v19, v16, v44
	s_delay_alu instid0(VALU_DEP_1)
	v_dual_max_num_f32 v43, v18, v21 :: v_dual_sub_f32 v0, v0, v42
	v_max_num_f32_e32 v46, v22, v21
	v_max_num_f32_e32 v47, v23, v21
	v_sub_f32_e32 v17, v16, v42
	v_dual_max_num_f32 v45, v20, v21 :: v_dual_sub_f32 v2, v2, v44
	v_sub_f32_e32 v1, v1, v43
	v_dual_max_num_f32 v49, v49, v21 :: v_dual_sub_f32 v4, v4, v46
	v_sub_f32_e32 v18, v16, v43
	s_delay_alu instid0(VALU_DEP_4) | instskip(SKIP_1) | instid1(VALU_DEP_4)
	v_sub_f32_e32 v20, v16, v45
	v_dual_max_num_f32 v48, v48, v21 :: v_dual_sub_f32 v5, v5, v47
	v_dual_sub_f32 v50, v16, v49 :: v_dual_mul_f32 v55, 0x3fb8aa3b, v19
	s_delay_alu instid0(VALU_DEP_4) | instskip(SKIP_1) | instid1(VALU_DEP_3)
	v_mul_f32_e32 v53, 0x3fb8aa3b, v18
	v_dual_sub_f32 v7, v7, v49 :: v_dual_mul_f32 v60, 0x3fb8aa3b, v4
	v_mul_f32_e32 v81, 0x3fb8aa3b, v50
	v_dual_sub_f32 v3, v3, v45 :: v_dual_sub_f32 v22, v16, v47
	s_delay_alu instid0(VALU_DEP_4) | instskip(SKIP_4) | instid1(VALU_DEP_4)
	v_fma_f32 v88, 0x3fb8aa3b, v18, -v53
	v_rndne_f32_e32 v89, v53
	v_dual_sub_f32 v21, v16, v46 :: v_dual_sub_f32 v6, v6, v48
	v_dual_sub_f32 v23, v16, v48 :: v_dual_mul_f32 v52, 0x3fb8aa3b, v1
	v_mul_f32_e32 v16, 0x3fb8aa3b, v0
	v_dual_mul_f32 v80, 0x3fb8aa3b, v7 :: v_dual_sub_f32 v53, v53, v89
	v_rndne_f32_e32 v113, v81
	v_fmac_f32_e32 v88, 0x32a5705f, v18
	v_fma_f32 v112, 0x3fb8aa3b, v50, -v81
	v_dual_mul_f32 v51, 0x3fb8aa3b, v17 :: v_dual_mul_f32 v54, 0x3fb8aa3b, v2
	s_delay_alu instid0(VALU_DEP_4) | instskip(NEXT) | instid1(VALU_DEP_4)
	v_sub_f32_e32 v81, v81, v113
	v_dual_mul_f32 v64, 0x3fb8aa3b, v5 :: v_dual_add_f32 v53, v53, v88
	v_dual_mul_f32 v56, 0x3fb8aa3b, v3 :: v_dual_mul_f32 v77, 0x3fb8aa3b, v22
	v_fma_f32 v82, 0x3fb8aa3b, v0, -v16
	v_rndne_f32_e32 v83, v16
	s_delay_alu instid0(VALU_DEP_4)
	v_exp_f32_e32 v53, v53
	v_fma_f32 v84, 0x3fb8aa3b, v17, -v51
	v_rndne_f32_e32 v85, v51
	v_fma_f32 v92, 0x3fb8aa3b, v19, -v55
	v_rndne_f32_e32 v93, v55
	v_rndne_f32_e32 v105, v77
	v_fmac_f32_e32 v82, 0x32a5705f, v0
	v_sub_f32_e32 v16, v16, v83
	v_cvt_i32_f32_e32 v89, v89
	v_dual_mul_f32 v58, 0x3fb8aa3b, v20 :: v_dual_mul_f32 v79, 0x3fb8aa3b, v23
	v_dual_mul_f32 v78, 0x3fb8aa3b, v6 :: v_dual_sub_f32 v51, v51, v85
	v_fma_f32 v86, 0x3fb8aa3b, v1, -v52
	v_rndne_f32_e32 v87, v52
	v_fma_f32 v104, 0x3fb8aa3b, v22, -v77
	v_sub_f32_e32 v55, v55, v93
	v_dual_sub_f32 v77, v77, v105 :: v_dual_add_f32 v16, v16, v82
	v_ldexp_f32 v53, v53, v89
	v_fmac_f32_e32 v92, 0x32a5705f, v19
	v_fmac_f32_e32 v84, 0x32a5705f, v17
	v_rndne_f32_e32 v91, v54
	v_rndne_f32_e32 v109, v79
	v_sub_f32_e32 v52, v52, v87
	v_fmac_f32_e32 v104, 0x32a5705f, v22
	v_fmac_f32_e32 v86, 0x32a5705f, v1
	v_dual_fmac_f32 v112, 0x32a5705f, v50 :: v_dual_add_f32 v55, v55, v92
	v_dual_mul_f32 v62, 0x3fb8aa3b, v21 :: v_dual_add_f32 v51, v51, v84
	v_exp_f32_e32 v16, v16
	v_fma_f32 v90, 0x3fb8aa3b, v2, -v54
	v_fma_f32 v108, 0x3fb8aa3b, v23, -v79
	v_cvt_i32_f32_e32 v83, v83
	v_dual_sub_f32 v54, v54, v91 :: v_dual_add_f32 v81, v81, v112
	v_sub_f32_e32 v79, v79, v109
	v_dual_add_f32 v77, v77, v104 :: v_dual_add_f32 v52, v52, v86
	v_exp_f32_e32 v51, v51
	v_cvt_i32_f32_e32 v85, v85
	v_fmac_f32_e32 v108, 0x32a5705f, v23
	v_fmac_f32_e32 v90, 0x32a5705f, v2
	v_exp_f32_e32 v52, v52
	v_exp_f32_e32 v77, v77
	;; [unrolled: 1-line block ×3, first 2 shown]
	v_ldexp_f32 v16, v16, v83
	v_cmp_ngt_f32_e32 vcc_lo, 0xc2ce8ed0, v0
	v_fma_f32 v94, 0x3fb8aa3b, v3, -v56
	v_rndne_f32_e32 v95, v56
	v_fma_f32 v96, 0x3fb8aa3b, v20, -v58
	v_cvt_i32_f32_e32 v87, v87
	v_cvt_i32_f32_e32 v105, v105
	;; [unrolled: 1-line block ×3, first 2 shown]
	v_dual_add_f32 v79, v79, v108 :: v_dual_add_f32 v54, v54, v90
	v_ldexp_f32 v51, v51, v85
	s_wait_alu 0xfffd
	v_cndmask_b32_e32 v16, 0, v16, vcc_lo
	v_cmp_ngt_f32_e32 vcc_lo, 0xc2ce8ed0, v17
	v_fmac_f32_e32 v96, 0x32a5705f, v20
	v_exp_f32_e32 v54, v54
	v_ldexp_f32 v52, v52, v87
	v_ldexp_f32 v77, v77, v105
	v_fmac_f32_e32 v94, 0x32a5705f, v3
	v_ldexp_f32 v81, v81, v113
	v_sub_f32_e32 v56, v56, v95
	s_wait_alu 0xfffd
	v_cndmask_b32_e32 v51, 0, v51, vcc_lo
	v_cmp_ngt_f32_e32 vcc_lo, 0xc2ce8ed0, v1
	v_cvt_i32_f32_e32 v91, v91
	v_exp_f32_e32 v55, v55
	v_add_f32_e32 v56, v56, v94
	v_rndne_f32_e32 v97, v58
	s_wait_alu 0xfffd
	v_cndmask_b32_e32 v52, 0, v52, vcc_lo
	v_cmp_ngt_f32_e32 vcc_lo, 0xc2ce8ed0, v18
	v_cvt_i32_f32_e32 v93, v93
	v_exp_f32_e32 v56, v56
	v_exp_f32_e32 v79, v79
	v_ldexp_f32 v54, v54, v91
	s_wait_alu 0xfffd
	v_cndmask_b32_e32 v53, 0, v53, vcc_lo
	v_cmp_ngt_f32_e32 vcc_lo, 0xc2ce8ed0, v2
	v_fma_f32 v98, 0x3fb8aa3b, v4, -v60
	v_rndne_f32_e32 v99, v60
	v_cvt_i32_f32_e32 v95, v95
	v_cvt_i32_f32_e32 v109, v109
	v_ldexp_f32 v55, v55, v93
	s_wait_alu 0xfffd
	v_cndmask_b32_e32 v54, 0, v54, vcc_lo
	v_cmp_ngt_f32_e32 vcc_lo, 0xc2ce8ed0, v19
	v_sub_f32_e32 v58, v58, v97
	v_fma_f32 v100, 0x3fb8aa3b, v21, -v62
	v_rndne_f32_e32 v101, v62
	v_sub_f32_e32 v60, v60, v99
	v_ldexp_f32 v56, v56, v95
	v_ldexp_f32 v79, v79, v109
	s_wait_alu 0xfffd
	v_dual_fmac_f32 v98, 0x32a5705f, v4 :: v_dual_cndmask_b32 v55, 0, v55
	v_add_f32_e32 v58, v58, v96
	v_cmp_ngt_f32_e32 vcc_lo, 0xc2ce8ed0, v3
	v_fma_f32 v102, 0x3fb8aa3b, v5, -v64
	v_rndne_f32_e32 v103, v64
	v_fmac_f32_e32 v100, 0x32a5705f, v21
	v_add_f32_e32 v60, v60, v98
	v_exp_f32_e32 v58, v58
	s_wait_alu 0xfffd
	v_cndmask_b32_e32 v56, 0, v56, vcc_lo
	v_sub_f32_e32 v62, v62, v101
	v_cvt_i32_f32_e32 v97, v97
	v_fmac_f32_e32 v102, 0x32a5705f, v5
	v_sub_f32_e32 v64, v64, v103
	v_exp_f32_e32 v60, v60
	v_add_f32_e32 v62, v62, v100
	v_cvt_i32_f32_e32 v99, v99
	v_cmp_ngt_f32_e32 vcc_lo, 0xc2ce8ed0, v20
	v_add_f32_e32 v64, v64, v102
	v_ldexp_f32 v58, v58, v97
	v_exp_f32_e32 v62, v62
	v_fma_f32 v106, 0x3fb8aa3b, v6, -v78
	v_rndne_f32_e32 v107, v78
	v_cvt_i32_f32_e32 v101, v101
	v_exp_f32_e32 v64, v64
	v_ldexp_f32 v60, v60, v99
	s_wait_alu 0xfffd
	v_cndmask_b32_e32 v58, 0, v58, vcc_lo
	v_cmp_ngt_f32_e32 vcc_lo, 0xc2ce8ed0, v4
	v_cvt_i32_f32_e32 v103, v103
	v_fmac_f32_e32 v106, 0x32a5705f, v6
	v_sub_f32_e32 v78, v78, v107
	v_ldexp_f32 v62, v62, v101
	s_wait_alu 0xfffd
	v_cndmask_b32_e32 v60, 0, v60, vcc_lo
	v_cmp_ngt_f32_e32 vcc_lo, 0xc2ce8ed0, v21
	v_fma_f32 v110, 0x3fb8aa3b, v7, -v80
	v_rndne_f32_e32 v111, v80
	v_add_f32_e32 v78, v78, v106
	v_ldexp_f32 v64, v64, v103
	s_wait_alu 0xfffd
	v_cndmask_b32_e32 v62, 0, v62, vcc_lo
	v_cmp_ngt_f32_e32 vcc_lo, 0xc2ce8ed0, v5
	v_fmac_f32_e32 v110, 0x32a5705f, v7
	v_exp_f32_e32 v78, v78
	v_cvt_i32_f32_e32 v107, v107
	s_wait_alu 0xfffd
	v_cndmask_b32_e32 v64, 0, v64, vcc_lo
	v_sub_f32_e32 v80, v80, v111
	v_cmp_ngt_f32_e32 vcc_lo, 0xc2ce8ed0, v22
	v_cvt_i32_f32_e32 v111, v111
	s_delay_alu instid0(VALU_DEP_3) | instskip(NEXT) | instid1(TRANS32_DEP_1)
	v_add_f32_e32 v80, v80, v110
	v_ldexp_f32 v78, v78, v107
	s_wait_alu 0xfffd
	v_cndmask_b32_e32 v77, 0, v77, vcc_lo
	v_cmp_ngt_f32_e32 vcc_lo, 0xc2ce8ed0, v6
	v_exp_f32_e32 v80, v80
	s_wait_alu 0xfffd
	v_cndmask_b32_e32 v78, 0, v78, vcc_lo
	v_cmp_ngt_f32_e32 vcc_lo, 0xc2ce8ed0, v23
	s_wait_alu 0xfffd
	v_cndmask_b32_e32 v79, 0, v79, vcc_lo
	s_delay_alu instid0(TRANS32_DEP_1) | instskip(SKIP_2) | instid1(VALU_DEP_2)
	v_ldexp_f32 v80, v80, v111
	v_cmp_ngt_f32_e32 vcc_lo, 0xc2ce8ed0, v7
	s_wait_alu 0xfffd
	v_cndmask_b32_e32 v80, 0, v80, vcc_lo
	v_cmp_ngt_f32_e32 vcc_lo, 0xc2ce8ed0, v50
	s_wait_alu 0xfffd
	v_cndmask_b32_e32 v81, 0, v81, vcc_lo
	v_cmp_nlt_f32_e32 vcc_lo, 0x42b17218, v0
	s_wait_alu 0xfffd
	v_cndmask_b32_e32 v0, 0x7f800000, v16, vcc_lo
	v_cmp_nlt_f32_e32 vcc_lo, 0x42b17218, v17
	;; [unrolled: 3-line block ×3, first 2 shown]
	s_delay_alu instid0(VALU_DEP_2)
	v_fmac_f32_e32 v16, v8, v0
	s_wait_alu 0xfffd
	v_cndmask_b32_e32 v1, 0x7f800000, v52, vcc_lo
	v_cmp_nlt_f32_e32 vcc_lo, 0x42b17218, v18
	v_cvt_f16_f32_e32 v0, v0
	s_wait_alu 0xfffd
	v_cndmask_b32_e32 v17, 0x7f800000, v53, vcc_lo
	v_cmp_nlt_f32_e32 vcc_lo, 0x42b17218, v2
	s_delay_alu instid0(VALU_DEP_2)
	v_dual_fmac_f32 v17, v9, v1 :: v_dual_and_b32 v0, 0xffff, v0
	s_wait_alu 0xfffd
	v_cndmask_b32_e32 v2, 0x7f800000, v54, vcc_lo
	v_cmp_nlt_f32_e32 vcc_lo, 0x42b17218, v19
	v_cvt_f16_f32_e32 v1, v1
	v_mul_u32_u24_e32 v0, 0x10001, v0
	s_wait_alu 0xfffd
	v_cndmask_b32_e32 v18, 0x7f800000, v55, vcc_lo
	v_cmp_nlt_f32_e32 vcc_lo, 0x42b17218, v3
	v_and_b32_e32 v1, 0xffff, v1
	v_pk_mul_f16 v75, v75, v0
	v_pk_mul_f16 v76, v76, v0
	s_wait_alu 0xfffd
	v_dual_fmac_f32 v18, v10, v2 :: v_dual_cndmask_b32 v3, 0x7f800000, v56
	v_cmp_nlt_f32_e32 vcc_lo, 0x42b17218, v20
	v_cvt_f16_f32_e32 v2, v2
	v_mul_u32_u24_e32 v1, 0x10001, v1
	s_wait_alu 0xfffd
	v_cndmask_b32_e32 v19, 0x7f800000, v58, vcc_lo
	v_cmp_nlt_f32_e32 vcc_lo, 0x42b17218, v4
	v_and_b32_e32 v2, 0xffff, v2
	v_pk_mul_f16 v73, v73, v1
	v_pk_mul_f16 v74, v74, v1
	s_wait_alu 0xfffd
	v_dual_fmac_f32 v19, v11, v3 :: v_dual_cndmask_b32 v4, 0x7f800000, v60
	v_cmp_nlt_f32_e32 vcc_lo, 0x42b17218, v21
	v_cvt_f16_f32_e32 v3, v3
	v_mul_u32_u24_e32 v2, 0x10001, v2
	s_wait_alu 0xfffd
	v_cndmask_b32_e32 v20, 0x7f800000, v62, vcc_lo
	v_cmp_nlt_f32_e32 vcc_lo, 0x42b17218, v5
	v_and_b32_e32 v3, 0xffff, v3
	v_pk_mul_f16 v72, v72, v2
	v_pk_mul_f16 v71, v71, v2
	v_fmac_f32_e32 v20, v12, v4
	s_wait_alu 0xfffd
	v_cndmask_b32_e32 v5, 0x7f800000, v64, vcc_lo
	v_cmp_nlt_f32_e32 vcc_lo, 0x42b17218, v22
	v_cvt_f16_f32_e32 v4, v4
	v_mul_u32_u24_e32 v3, 0x10001, v3
	s_wait_alu 0xfffd
	v_cndmask_b32_e32 v21, 0x7f800000, v77, vcc_lo
	v_cmp_nlt_f32_e32 vcc_lo, 0x42b17218, v6
	v_and_b32_e32 v4, 0xffff, v4
	v_pk_mul_f16 v69, v69, v3
	v_pk_mul_f16 v70, v70, v3
	s_wait_alu 0xfffd
	v_dual_fmac_f32 v21, v13, v5 :: v_dual_cndmask_b32 v6, 0x7f800000, v78
	v_cmp_nlt_f32_e32 vcc_lo, 0x42b17218, v23
	v_cvt_f16_f32_e32 v5, v5
	v_mul_u32_u24_e32 v4, 0x10001, v4
	s_wait_alu 0xfffd
	v_cndmask_b32_e32 v22, 0x7f800000, v79, vcc_lo
	v_cmp_nlt_f32_e32 vcc_lo, 0x42b17218, v7
	v_and_b32_e32 v5, 0xffff, v5
	v_pk_mul_f16 v67, v67, v4
	v_pk_mul_f16 v68, v68, v4
	s_wait_alu 0xfffd
	v_dual_fmac_f32 v22, v14, v6 :: v_dual_cndmask_b32 v7, 0x7f800000, v80
	v_cmp_nlt_f32_e32 vcc_lo, 0x42b17218, v50
	v_cvt_f16_f32_e32 v6, v6
	v_mul_u32_u24_e32 v5, 0x10001, v5
	s_wait_alu 0xfffd
	v_cndmask_b32_e32 v23, 0x7f800000, v81, vcc_lo
	s_delay_alu instid0(VALU_DEP_3) | instskip(NEXT) | instid1(VALU_DEP_3)
	v_and_b32_e32 v6, 0xffff, v6
	v_pk_mul_f16 v65, v65, v5
	v_pk_mul_f16 v66, v66, v5
	s_delay_alu instid0(VALU_DEP_4) | instskip(SKIP_3) | instid1(VALU_DEP_3)
	v_fmac_f32_e32 v23, v15, v7
	v_cvt_f16_f32_e32 v7, v7
	v_mul_u32_u24_e32 v6, 0x10001, v6
	v_dual_mov_b32 v8, v16 :: v_dual_mov_b32 v9, v17
	v_dual_mov_b32 v10, v18 :: v_dual_and_b32 v7, 0xffff, v7
	s_delay_alu instid0(VALU_DEP_3) | instskip(SKIP_2) | instid1(VALU_DEP_4)
	v_pk_mul_f16 v61, v61, v6
	v_pk_mul_f16 v63, v63, v6
	v_dual_mov_b32 v11, v19 :: v_dual_mov_b32 v12, v20
	v_mul_u32_u24_e32 v7, 0x10001, v7
	v_dual_mov_b32 v13, v21 :: v_dual_mov_b32 v14, v22
	v_mov_b32_e32 v15, v23
	s_delay_alu instid0(VALU_DEP_3)
	v_pk_mul_f16 v59, v59, v7
	v_pk_mul_f16 v57, v57, v7
	v_dual_mov_b32 v0, v42 :: v_dual_mov_b32 v1, v43
	v_dual_mov_b32 v2, v44 :: v_dual_mov_b32 v3, v45
	;; [unrolled: 1-line block ×4, first 2 shown]
	s_mov_b32 s2, exec_lo
	v_cmpx_gt_i32_e64 s26, v25
	s_cbranch_execnz .LBB52_132
.LBB52_130:
	s_nop 0
	s_sendmsg sendmsg(MSG_DEALLOC_VGPRS)
	s_endpgm
.LBB52_131:
	v_dual_mov_b32 v16, v8 :: v_dual_mov_b32 v17, v9
	v_dual_mov_b32 v18, v10 :: v_dual_mov_b32 v19, v11
	;; [unrolled: 1-line block ×4, first 2 shown]
	s_mov_b32 s2, exec_lo
	v_cmpx_gt_i32_e64 s26, v25
	s_cbranch_execz .LBB52_130
.LBB52_132:
	s_load_b32 s1, s[0:1], 0xd4
	v_mov_b32_e32 v42, 1.0
	s_wait_kmcnt 0x0
	s_cmp_lg_u32 s1, 1
	s_cselect_b32 s4, -1, 0
	s_cmp_eq_u32 s1, 1
	s_cselect_b32 s3, -1, 0
	s_wait_alu 0xfffe
	s_and_b32 vcc_lo, exec_lo, s4
	s_wait_alu 0xfffe
	s_cbranch_vccnz .LBB52_134
; %bb.133:
	v_div_scale_f32 v25, null, v16, v16, 1.0
	s_delay_alu instid0(VALU_DEP_1) | instskip(NEXT) | instid1(TRANS32_DEP_1)
	v_rcp_f32_e32 v42, v25
	v_fma_f32 v43, -v25, v42, 1.0
	s_delay_alu instid0(VALU_DEP_1) | instskip(SKIP_1) | instid1(VALU_DEP_1)
	v_fmac_f32_e32 v42, v43, v42
	v_div_scale_f32 v43, vcc_lo, 1.0, v16, 1.0
	v_mul_f32_e32 v44, v43, v42
	s_delay_alu instid0(VALU_DEP_1) | instskip(NEXT) | instid1(VALU_DEP_1)
	v_fma_f32 v45, -v25, v44, v43
	v_fmac_f32_e32 v44, v45, v42
	s_delay_alu instid0(VALU_DEP_1) | instskip(SKIP_1) | instid1(VALU_DEP_1)
	v_fma_f32 v25, -v25, v44, v43
	s_wait_alu 0xfffd
	v_div_fmas_f32 v25, v25, v42, v44
	s_delay_alu instid0(VALU_DEP_1)
	v_div_fixup_f32 v42, v25, v16, 1.0
.LBB52_134:
	s_mul_i32 s2, s36, s26
	v_cvt_f32_f16_e32 v45, v76
	s_wait_alu 0xfffe
	s_add_co_i32 s2, s2, s33
	v_cmp_eq_u32_e32 vcc_lo, 0, v40
	s_wait_alu 0xfffe
	v_add_nc_u32_e32 v16, s2, v24
	v_cvt_f32_f16_e32 v40, v75
	v_dual_mul_f32 v45, v42, v45 :: v_dual_mov_b32 v44, 0
	s_delay_alu instid0(VALU_DEP_3) | instskip(SKIP_1) | instid1(VALU_DEP_1)
	v_mad_co_u64_u32 v[24:25], null, v16, s27, s[34:35]
	v_lshrrev_b32_e32 v16, 16, v75
	v_cvt_f32_f16_e32 v16, v16
	s_delay_alu instid0(VALU_DEP_3) | instskip(SKIP_1) | instid1(VALU_DEP_1)
	v_mad_co_u64_u32 v[24:25], null, s1, v24, s[18:19]
	v_lshrrev_b32_e32 v25, 16, v76
	v_cvt_f32_f16_e32 v25, v25
	s_delay_alu instid0(VALU_DEP_3) | instskip(NEXT) | instid1(VALU_DEP_2)
	v_lshl_add_u32 v43, v24, 7, v34
	v_mul_f32_e32 v46, v42, v25
	s_delay_alu instid0(VALU_DEP_2) | instskip(SKIP_2) | instid1(VALU_DEP_3)
	v_lshlrev_b64_e32 v[47:48], 2, v[43:44]
	v_mul_f32_e32 v43, v42, v40
	v_mul_f32_e32 v44, v42, v16
	v_add_co_u32 v47, s0, s20, v47
	s_wait_alu 0xf1ff
	s_delay_alu instid0(VALU_DEP_4)
	v_add_co_ci_u32_e64 v48, null, s21, v48, s0
	s_and_b32 s0, vcc_lo, s4
	global_store_b128 v[47:48], v[43:46], off
	s_wait_alu 0xfffe
	s_and_saveexec_b32 s4, s0
	s_cbranch_execz .LBB52_136
; %bb.135:
	v_ashrrev_i32_e32 v25, 31, v24
	v_dual_mov_b32 v42, v0 :: v_dual_mov_b32 v43, v8
	s_delay_alu instid0(VALU_DEP_2) | instskip(NEXT) | instid1(VALU_DEP_1)
	v_lshlrev_b64_e32 v[24:25], 3, v[24:25]
	v_add_co_u32 v24, vcc_lo, s22, v24
	s_wait_alu 0xfffd
	s_delay_alu instid0(VALU_DEP_2)
	v_add_co_ci_u32_e64 v25, null, s23, v25, vcc_lo
	global_store_b64 v[24:25], v[42:43], off
.LBB52_136:
	s_wait_alu 0xfffe
	s_or_b32 exec_lo, exec_lo, s4
	v_cmp_gt_i32_e32 vcc_lo, s26, v41
	s_and_b32 exec_lo, exec_lo, vcc_lo
	s_cbranch_execz .LBB52_130
; %bb.137:
	v_cndmask_b32_e64 v24, 0, 1, s3
	v_mov_b32_e32 v0, 1.0
	s_and_not1_b32 vcc_lo, exec_lo, s3
	s_wait_alu 0xfffe
	s_cbranch_vccnz .LBB52_139
; %bb.138:
	v_div_scale_f32 v0, null, v17, v17, 1.0
	s_delay_alu instid0(VALU_DEP_1) | instskip(NEXT) | instid1(TRANS32_DEP_1)
	v_rcp_f32_e32 v8, v0
	v_fma_f32 v16, -v0, v8, 1.0
	s_delay_alu instid0(VALU_DEP_1) | instskip(SKIP_1) | instid1(VALU_DEP_1)
	v_fmac_f32_e32 v8, v16, v8
	v_div_scale_f32 v16, vcc_lo, 1.0, v17, 1.0
	v_mul_f32_e32 v25, v16, v8
	s_delay_alu instid0(VALU_DEP_1) | instskip(NEXT) | instid1(VALU_DEP_1)
	v_fma_f32 v40, -v0, v25, v16
	v_fmac_f32_e32 v25, v40, v8
	s_delay_alu instid0(VALU_DEP_1) | instskip(SKIP_1) | instid1(VALU_DEP_1)
	v_fma_f32 v0, -v0, v25, v16
	s_wait_alu 0xfffd
	v_div_fmas_f32 v0, v0, v8, v25
	s_delay_alu instid0(VALU_DEP_1)
	v_div_fixup_f32 v0, v0, v17, 1.0
.LBB52_139:
	v_dual_mov_b32 v41, 0 :: v_dual_add_nc_u32 v8, s2, v37
	v_cvt_f32_f16_e32 v25, v73
	v_cvt_f32_f16_e32 v37, v74
	s_delay_alu instid0(VALU_DEP_3) | instskip(SKIP_1) | instid1(VALU_DEP_3)
	v_mad_co_u64_u32 v[16:17], null, v8, s27, s[34:35]
	v_lshrrev_b32_e32 v8, 16, v73
	v_mul_f32_e32 v42, v0, v37
	s_delay_alu instid0(VALU_DEP_2) | instskip(NEXT) | instid1(VALU_DEP_4)
	v_cvt_f32_f16_e32 v8, v8
	v_mad_co_u64_u32 v[16:17], null, s1, v16, s[18:19]
	v_lshrrev_b32_e32 v17, 16, v74
	s_delay_alu instid0(VALU_DEP_1) | instskip(NEXT) | instid1(VALU_DEP_3)
	v_cvt_f32_f16_e32 v17, v17
	v_lshl_add_u32 v40, v16, 7, v34
	s_delay_alu instid0(VALU_DEP_2) | instskip(NEXT) | instid1(VALU_DEP_2)
	v_mul_f32_e32 v43, v0, v17
	v_lshlrev_b64_e32 v[44:45], 2, v[40:41]
	v_mul_f32_e32 v40, v0, v25
	v_mul_f32_e32 v41, v0, v8
	s_delay_alu instid0(VALU_DEP_3) | instskip(SKIP_1) | instid1(VALU_DEP_4)
	v_add_co_u32 v44, vcc_lo, s20, v44
	s_wait_alu 0xfffd
	v_add_co_ci_u32_e64 v45, null, s21, v45, vcc_lo
	global_store_b128 v[44:45], v[40:43], off
	s_and_saveexec_b32 s3, s0
	s_cbranch_execz .LBB52_141
; %bb.140:
	v_ashrrev_i32_e32 v17, 31, v16
	v_mov_b32_e32 v8, v1
	s_delay_alu instid0(VALU_DEP_2) | instskip(NEXT) | instid1(VALU_DEP_1)
	v_lshlrev_b64_e32 v[16:17], 3, v[16:17]
	v_add_co_u32 v16, vcc_lo, s22, v16
	s_wait_alu 0xfffd
	s_delay_alu instid0(VALU_DEP_2)
	v_add_co_ci_u32_e64 v17, null, s23, v17, vcc_lo
	global_store_b64 v[16:17], v[8:9], off
.LBB52_141:
	s_wait_alu 0xfffe
	s_or_b32 exec_lo, exec_lo, s3
	v_cmp_gt_i32_e32 vcc_lo, s26, v39
	s_and_b32 exec_lo, exec_lo, vcc_lo
	s_cbranch_execz .LBB52_130
; %bb.142:
	v_cmp_ne_u32_e32 vcc_lo, 1, v24
	v_mov_b32_e32 v8, 1.0
	s_cbranch_vccnz .LBB52_144
; %bb.143:
	v_div_scale_f32 v0, null, v18, v18, 1.0
	s_delay_alu instid0(VALU_DEP_1) | instskip(NEXT) | instid1(TRANS32_DEP_1)
	v_rcp_f32_e32 v1, v0
	v_fma_f32 v8, -v0, v1, 1.0
	s_delay_alu instid0(VALU_DEP_1) | instskip(SKIP_1) | instid1(VALU_DEP_1)
	v_fmac_f32_e32 v1, v8, v1
	v_div_scale_f32 v8, vcc_lo, 1.0, v18, 1.0
	v_mul_f32_e32 v9, v8, v1
	s_delay_alu instid0(VALU_DEP_1) | instskip(NEXT) | instid1(VALU_DEP_1)
	v_fma_f32 v16, -v0, v9, v8
	v_fmac_f32_e32 v9, v16, v1
	s_delay_alu instid0(VALU_DEP_1) | instskip(SKIP_1) | instid1(VALU_DEP_1)
	v_fma_f32 v0, -v0, v9, v8
	s_wait_alu 0xfffd
	v_div_fmas_f32 v0, v0, v1, v9
	s_delay_alu instid0(VALU_DEP_1)
	v_div_fixup_f32 v8, v0, v18, 1.0
.LBB52_144:
	v_dual_mov_b32 v17, 0 :: v_dual_add_nc_u32 v0, s2, v36
	v_lshrrev_b32_e32 v9, 16, v71
	v_cvt_f32_f16_e32 v18, v72
	v_cvt_f32_f16_e32 v25, v71
	s_delay_alu instid0(VALU_DEP_4) | instskip(NEXT) | instid1(VALU_DEP_4)
	v_mad_co_u64_u32 v[0:1], null, v0, s27, s[34:35]
	v_cvt_f32_f16_e32 v9, v9
	s_delay_alu instid0(VALU_DEP_4) | instskip(NEXT) | instid1(VALU_DEP_4)
	v_mul_f32_e32 v39, v8, v18
	v_mul_f32_e32 v41, v8, v25
	s_delay_alu instid0(VALU_DEP_3) | instskip(SKIP_2) | instid1(VALU_DEP_1)
	v_mul_f32_e32 v42, v8, v9
	v_mad_co_u64_u32 v[0:1], null, s1, v0, s[18:19]
	v_lshrrev_b32_e32 v1, 16, v72
	v_cvt_f32_f16_e32 v1, v1
	s_delay_alu instid0(VALU_DEP_3) | instskip(NEXT) | instid1(VALU_DEP_2)
	v_lshl_add_u32 v16, v0, 7, v34
	v_mul_f32_e32 v40, v8, v1
	s_delay_alu instid0(VALU_DEP_2) | instskip(NEXT) | instid1(VALU_DEP_1)
	v_lshlrev_b64_e32 v[16:17], 2, v[16:17]
	v_add_co_u32 v8, vcc_lo, s20, v16
	s_wait_alu 0xfffd
	s_delay_alu instid0(VALU_DEP_2)
	v_add_co_ci_u32_e64 v9, null, s21, v17, vcc_lo
	global_store_b128 v[8:9], v[39:42], off
	s_and_saveexec_b32 s3, s0
	s_cbranch_execz .LBB52_146
; %bb.145:
	v_ashrrev_i32_e32 v1, 31, v0
	v_mov_b32_e32 v9, v2
	s_delay_alu instid0(VALU_DEP_2) | instskip(NEXT) | instid1(VALU_DEP_1)
	v_lshlrev_b64_e32 v[0:1], 3, v[0:1]
	v_add_co_u32 v0, vcc_lo, s22, v0
	s_wait_alu 0xfffd
	s_delay_alu instid0(VALU_DEP_2)
	v_add_co_ci_u32_e64 v1, null, s23, v1, vcc_lo
	global_store_b64 v[0:1], v[9:10], off
.LBB52_146:
	s_wait_alu 0xfffe
	s_or_b32 exec_lo, exec_lo, s3
	v_cmp_gt_i32_e32 vcc_lo, s26, v38
	s_and_b32 exec_lo, exec_lo, vcc_lo
	s_cbranch_execz .LBB52_130
; %bb.147:
	v_cmp_ne_u32_e32 vcc_lo, 1, v24
	v_mov_b32_e32 v2, 1.0
	s_cbranch_vccnz .LBB52_149
; %bb.148:
	v_div_scale_f32 v0, null, v19, v19, 1.0
	s_delay_alu instid0(VALU_DEP_1) | instskip(NEXT) | instid1(TRANS32_DEP_1)
	v_rcp_f32_e32 v1, v0
	v_fma_f32 v2, -v0, v1, 1.0
	s_delay_alu instid0(VALU_DEP_1) | instskip(SKIP_1) | instid1(VALU_DEP_1)
	v_fmac_f32_e32 v1, v2, v1
	v_div_scale_f32 v2, vcc_lo, 1.0, v19, 1.0
	v_mul_f32_e32 v8, v2, v1
	s_delay_alu instid0(VALU_DEP_1) | instskip(NEXT) | instid1(VALU_DEP_1)
	v_fma_f32 v9, -v0, v8, v2
	v_fmac_f32_e32 v8, v9, v1
	s_delay_alu instid0(VALU_DEP_1) | instskip(SKIP_1) | instid1(VALU_DEP_1)
	v_fma_f32 v0, -v0, v8, v2
	s_wait_alu 0xfffd
	v_div_fmas_f32 v0, v0, v1, v8
	s_delay_alu instid0(VALU_DEP_1)
	v_div_fixup_f32 v2, v0, v19, 1.0
.LBB52_149:
	v_dual_mov_b32 v9, 0 :: v_dual_add_nc_u32 v0, s2, v33
	v_lshrrev_b32_e32 v10, 16, v70
	v_cvt_f32_f16_e32 v17, v70
	v_cvt_f32_f16_e32 v16, v69
	s_delay_alu instid0(VALU_DEP_4) | instskip(NEXT) | instid1(VALU_DEP_4)
	v_mad_co_u64_u32 v[0:1], null, v0, s27, s[34:35]
	v_cvt_f32_f16_e32 v10, v10
	s_delay_alu instid0(VALU_DEP_4) | instskip(NEXT) | instid1(VALU_DEP_4)
	v_mul_f32_e32 v18, v2, v17
	v_mul_f32_e32 v16, v2, v16
	s_delay_alu instid0(VALU_DEP_3) | instskip(SKIP_2) | instid1(VALU_DEP_1)
	v_mul_f32_e32 v19, v2, v10
	v_mad_co_u64_u32 v[0:1], null, s1, v0, s[18:19]
	v_lshrrev_b32_e32 v1, 16, v69
	v_cvt_f32_f16_e32 v1, v1
	s_delay_alu instid0(VALU_DEP_3) | instskip(NEXT) | instid1(VALU_DEP_2)
	v_lshl_add_u32 v8, v0, 7, v34
	v_mul_f32_e32 v17, v2, v1
	s_delay_alu instid0(VALU_DEP_2) | instskip(NEXT) | instid1(VALU_DEP_1)
	v_lshlrev_b64_e32 v[8:9], 2, v[8:9]
	v_add_co_u32 v1, vcc_lo, s20, v8
	s_wait_alu 0xfffd
	s_delay_alu instid0(VALU_DEP_2)
	v_add_co_ci_u32_e64 v2, null, s21, v9, vcc_lo
	global_store_b128 v[1:2], v[16:19], off
	s_and_saveexec_b32 s3, s0
	s_cbranch_execz .LBB52_151
; %bb.150:
	v_ashrrev_i32_e32 v1, 31, v0
	v_mov_b32_e32 v10, v3
	s_delay_alu instid0(VALU_DEP_2) | instskip(NEXT) | instid1(VALU_DEP_1)
	v_lshlrev_b64_e32 v[0:1], 3, v[0:1]
	v_add_co_u32 v0, vcc_lo, s22, v0
	s_wait_alu 0xfffd
	s_delay_alu instid0(VALU_DEP_2)
	v_add_co_ci_u32_e64 v1, null, s23, v1, vcc_lo
	global_store_b64 v[0:1], v[10:11], off
.LBB52_151:
	s_wait_alu 0xfffe
	s_or_b32 exec_lo, exec_lo, s3
	v_cmp_gt_i32_e32 vcc_lo, s26, v35
	s_and_b32 exec_lo, exec_lo, vcc_lo
	s_cbranch_execz .LBB52_130
; %bb.152:
	v_cmp_ne_u32_e32 vcc_lo, 1, v24
	v_mov_b32_e32 v2, 1.0
	s_cbranch_vccnz .LBB52_154
; %bb.153:
	v_div_scale_f32 v0, null, v20, v20, 1.0
	s_delay_alu instid0(VALU_DEP_1) | instskip(NEXT) | instid1(TRANS32_DEP_1)
	v_rcp_f32_e32 v1, v0
	v_fma_f32 v2, -v0, v1, 1.0
	s_delay_alu instid0(VALU_DEP_1) | instskip(SKIP_1) | instid1(VALU_DEP_1)
	v_fmac_f32_e32 v1, v2, v1
	v_div_scale_f32 v2, vcc_lo, 1.0, v20, 1.0
	v_mul_f32_e32 v3, v2, v1
	s_delay_alu instid0(VALU_DEP_1) | instskip(NEXT) | instid1(VALU_DEP_1)
	v_fma_f32 v8, -v0, v3, v2
	v_fmac_f32_e32 v3, v8, v1
	s_delay_alu instid0(VALU_DEP_1) | instskip(SKIP_1) | instid1(VALU_DEP_1)
	v_fma_f32 v0, -v0, v3, v2
	s_wait_alu 0xfffd
	v_div_fmas_f32 v0, v0, v1, v3
	s_delay_alu instid0(VALU_DEP_1)
	v_div_fixup_f32 v2, v0, v20, 1.0
.LBB52_154:
	v_dual_mov_b32 v9, 0 :: v_dual_add_nc_u32 v0, s2, v30
	v_lshrrev_b32_e32 v3, 16, v68
	v_cvt_f32_f16_e32 v10, v67
	v_cvt_f32_f16_e32 v11, v68
	s_delay_alu instid0(VALU_DEP_4) | instskip(NEXT) | instid1(VALU_DEP_4)
	v_mad_co_u64_u32 v[0:1], null, v0, s27, s[34:35]
	v_cvt_f32_f16_e32 v3, v3
	s_delay_alu instid0(VALU_DEP_2) | instskip(SKIP_1) | instid1(VALU_DEP_1)
	v_mad_co_u64_u32 v[0:1], null, s1, v0, s[18:19]
	v_lshrrev_b32_e32 v1, 16, v67
	v_cvt_f32_f16_e32 v1, v1
	s_delay_alu instid0(VALU_DEP_3) | instskip(NEXT) | instid1(VALU_DEP_1)
	v_lshl_add_u32 v8, v0, 7, v34
	v_lshlrev_b64_e32 v[16:17], 2, v[8:9]
	s_delay_alu instid0(VALU_DEP_3)
	v_mul_f32_e32 v9, v2, v1
	v_mul_f32_e32 v8, v2, v10
	;; [unrolled: 1-line block ×4, first 2 shown]
	v_add_co_u32 v1, vcc_lo, s20, v16
	s_wait_alu 0xfffd
	v_add_co_ci_u32_e64 v2, null, s21, v17, vcc_lo
	global_store_b128 v[1:2], v[8:11], off
	s_and_saveexec_b32 s3, s0
	s_cbranch_execz .LBB52_156
; %bb.155:
	v_ashrrev_i32_e32 v1, 31, v0
	v_mov_b32_e32 v11, v4
	s_delay_alu instid0(VALU_DEP_2) | instskip(NEXT) | instid1(VALU_DEP_1)
	v_lshlrev_b64_e32 v[0:1], 3, v[0:1]
	v_add_co_u32 v0, vcc_lo, s22, v0
	s_wait_alu 0xfffd
	s_delay_alu instid0(VALU_DEP_2)
	v_add_co_ci_u32_e64 v1, null, s23, v1, vcc_lo
	global_store_b64 v[0:1], v[11:12], off
.LBB52_156:
	s_wait_alu 0xfffe
	s_or_b32 exec_lo, exec_lo, s3
	v_cmp_gt_i32_e32 vcc_lo, s26, v32
	s_and_b32 exec_lo, exec_lo, vcc_lo
	s_cbranch_execz .LBB52_130
; %bb.157:
	v_cmp_ne_u32_e32 vcc_lo, 1, v24
	v_mov_b32_e32 v2, 1.0
	s_cbranch_vccnz .LBB52_159
; %bb.158:
	v_div_scale_f32 v0, null, v21, v21, 1.0
	s_delay_alu instid0(VALU_DEP_1) | instskip(NEXT) | instid1(TRANS32_DEP_1)
	v_rcp_f32_e32 v1, v0
	v_fma_f32 v2, -v0, v1, 1.0
	s_delay_alu instid0(VALU_DEP_1) | instskip(SKIP_1) | instid1(VALU_DEP_1)
	v_fmac_f32_e32 v1, v2, v1
	v_div_scale_f32 v2, vcc_lo, 1.0, v21, 1.0
	v_mul_f32_e32 v3, v2, v1
	s_delay_alu instid0(VALU_DEP_1) | instskip(NEXT) | instid1(VALU_DEP_1)
	v_fma_f32 v4, -v0, v3, v2
	v_fmac_f32_e32 v3, v4, v1
	s_delay_alu instid0(VALU_DEP_1) | instskip(SKIP_1) | instid1(VALU_DEP_1)
	v_fma_f32 v0, -v0, v3, v2
	s_wait_alu 0xfffd
	v_div_fmas_f32 v0, v0, v1, v3
	s_delay_alu instid0(VALU_DEP_1)
	v_div_fixup_f32 v2, v0, v21, 1.0
.LBB52_159:
	v_lshrrev_b32_e32 v8, 16, v66
	v_cvt_f32_f16_e32 v9, v65
	v_cvt_f32_f16_e32 v10, v66
	s_delay_alu instid0(VALU_DEP_3) | instskip(SKIP_1) | instid1(VALU_DEP_4)
	v_cvt_f32_f16_e32 v11, v8
	v_add_nc_u32_e32 v0, s2, v29
	v_mul_f32_e32 v8, v2, v9
	s_delay_alu instid0(VALU_DEP_4) | instskip(NEXT) | instid1(VALU_DEP_4)
	v_mul_f32_e32 v10, v2, v10
	v_mul_f32_e32 v11, v2, v11
	s_delay_alu instid0(VALU_DEP_4) | instskip(NEXT) | instid1(VALU_DEP_1)
	v_mad_co_u64_u32 v[0:1], null, v0, s27, s[34:35]
	v_mad_co_u64_u32 v[0:1], null, s1, v0, s[18:19]
	v_lshrrev_b32_e32 v1, 16, v65
	s_delay_alu instid0(VALU_DEP_1) | instskip(SKIP_1) | instid1(VALU_DEP_4)
	v_cvt_f32_f16_e32 v1, v1
	v_mov_b32_e32 v4, 0
	v_lshl_add_u32 v3, v0, 7, v34
	s_delay_alu instid0(VALU_DEP_3) | instskip(NEXT) | instid1(VALU_DEP_2)
	v_mul_f32_e32 v9, v2, v1
	v_lshlrev_b64_e32 v[3:4], 2, v[3:4]
	s_delay_alu instid0(VALU_DEP_1) | instskip(SKIP_1) | instid1(VALU_DEP_2)
	v_add_co_u32 v1, vcc_lo, s20, v3
	s_wait_alu 0xfffd
	v_add_co_ci_u32_e64 v2, null, s21, v4, vcc_lo
	global_store_b128 v[1:2], v[8:11], off
	s_and_saveexec_b32 s3, s0
	s_cbranch_execz .LBB52_161
; %bb.160:
	v_ashrrev_i32_e32 v1, 31, v0
	v_mov_b32_e32 v12, v5
	s_delay_alu instid0(VALU_DEP_2) | instskip(NEXT) | instid1(VALU_DEP_1)
	v_lshlrev_b64_e32 v[0:1], 3, v[0:1]
	v_add_co_u32 v0, vcc_lo, s22, v0
	s_wait_alu 0xfffd
	s_delay_alu instid0(VALU_DEP_2)
	v_add_co_ci_u32_e64 v1, null, s23, v1, vcc_lo
	global_store_b64 v[0:1], v[12:13], off
.LBB52_161:
	s_wait_alu 0xfffe
	s_or_b32 exec_lo, exec_lo, s3
	v_cmp_gt_i32_e32 vcc_lo, s26, v31
	s_and_b32 exec_lo, exec_lo, vcc_lo
	s_cbranch_execz .LBB52_130
; %bb.162:
	v_cmp_ne_u32_e32 vcc_lo, 1, v24
	v_mov_b32_e32 v2, 1.0
	s_cbranch_vccnz .LBB52_164
; %bb.163:
	v_div_scale_f32 v0, null, v22, v22, 1.0
	s_delay_alu instid0(VALU_DEP_1) | instskip(NEXT) | instid1(TRANS32_DEP_1)
	v_rcp_f32_e32 v1, v0
	v_fma_f32 v2, -v0, v1, 1.0
	s_delay_alu instid0(VALU_DEP_1) | instskip(SKIP_1) | instid1(VALU_DEP_1)
	v_fmac_f32_e32 v1, v2, v1
	v_div_scale_f32 v2, vcc_lo, 1.0, v22, 1.0
	v_mul_f32_e32 v3, v2, v1
	s_delay_alu instid0(VALU_DEP_1) | instskip(NEXT) | instid1(VALU_DEP_1)
	v_fma_f32 v4, -v0, v3, v2
	v_fmac_f32_e32 v3, v4, v1
	s_delay_alu instid0(VALU_DEP_1) | instskip(SKIP_1) | instid1(VALU_DEP_1)
	v_fma_f32 v0, -v0, v3, v2
	s_wait_alu 0xfffd
	v_div_fmas_f32 v0, v0, v1, v3
	s_delay_alu instid0(VALU_DEP_1)
	v_div_fixup_f32 v2, v0, v22, 1.0
.LBB52_164:
	v_add_nc_u32_e32 v0, s2, v26
	v_lshrrev_b32_e32 v5, 16, v63
	v_cvt_f32_f16_e32 v9, v63
	v_cvt_f32_f16_e32 v8, v61
	s_delay_alu instid0(VALU_DEP_4) | instskip(NEXT) | instid1(VALU_DEP_4)
	v_mad_co_u64_u32 v[0:1], null, v0, s27, s[34:35]
	v_cvt_f32_f16_e32 v5, v5
	v_mov_b32_e32 v4, 0
	v_mul_f32_e32 v10, v2, v9
	v_mul_f32_e32 v8, v2, v8
	s_delay_alu instid0(VALU_DEP_4) | instskip(SKIP_2) | instid1(VALU_DEP_1)
	v_mul_f32_e32 v11, v2, v5
	v_mad_co_u64_u32 v[0:1], null, s1, v0, s[18:19]
	v_lshrrev_b32_e32 v1, 16, v61
	v_cvt_f32_f16_e32 v1, v1
	s_delay_alu instid0(VALU_DEP_3) | instskip(NEXT) | instid1(VALU_DEP_2)
	v_lshl_add_u32 v3, v0, 7, v34
	v_mul_f32_e32 v9, v2, v1
	s_delay_alu instid0(VALU_DEP_2) | instskip(NEXT) | instid1(VALU_DEP_1)
	v_lshlrev_b64_e32 v[3:4], 2, v[3:4]
	v_add_co_u32 v1, vcc_lo, s20, v3
	s_wait_alu 0xfffd
	s_delay_alu instid0(VALU_DEP_2)
	v_add_co_ci_u32_e64 v2, null, s21, v4, vcc_lo
	global_store_b128 v[1:2], v[8:11], off
	s_and_saveexec_b32 s3, s0
	s_cbranch_execz .LBB52_166
; %bb.165:
	v_ashrrev_i32_e32 v1, 31, v0
	v_mov_b32_e32 v13, v6
	s_delay_alu instid0(VALU_DEP_2) | instskip(NEXT) | instid1(VALU_DEP_1)
	v_lshlrev_b64_e32 v[0:1], 3, v[0:1]
	v_add_co_u32 v0, vcc_lo, s22, v0
	s_wait_alu 0xfffd
	s_delay_alu instid0(VALU_DEP_2)
	v_add_co_ci_u32_e64 v1, null, s23, v1, vcc_lo
	global_store_b64 v[0:1], v[13:14], off
.LBB52_166:
	s_wait_alu 0xfffe
	s_or_b32 exec_lo, exec_lo, s3
	v_cmp_gt_i32_e32 vcc_lo, s26, v28
	s_and_b32 exec_lo, exec_lo, vcc_lo
	s_cbranch_execz .LBB52_130
; %bb.167:
	v_cmp_ne_u32_e32 vcc_lo, 1, v24
	v_mov_b32_e32 v2, 1.0
	s_cbranch_vccnz .LBB52_169
; %bb.168:
	v_div_scale_f32 v0, null, v23, v23, 1.0
	s_delay_alu instid0(VALU_DEP_1) | instskip(NEXT) | instid1(TRANS32_DEP_1)
	v_rcp_f32_e32 v1, v0
	v_fma_f32 v2, -v0, v1, 1.0
	s_delay_alu instid0(VALU_DEP_1) | instskip(SKIP_1) | instid1(VALU_DEP_1)
	v_fmac_f32_e32 v1, v2, v1
	v_div_scale_f32 v2, vcc_lo, 1.0, v23, 1.0
	v_mul_f32_e32 v3, v2, v1
	s_delay_alu instid0(VALU_DEP_1) | instskip(NEXT) | instid1(VALU_DEP_1)
	v_fma_f32 v4, -v0, v3, v2
	v_fmac_f32_e32 v3, v4, v1
	s_delay_alu instid0(VALU_DEP_1) | instskip(SKIP_1) | instid1(VALU_DEP_1)
	v_fma_f32 v0, -v0, v3, v2
	s_wait_alu 0xfffd
	v_div_fmas_f32 v0, v0, v1, v3
	s_delay_alu instid0(VALU_DEP_1)
	v_div_fixup_f32 v2, v0, v23, 1.0
.LBB52_169:
	v_cvt_f32_f16_e32 v6, v59
	v_add_nc_u32_e32 v0, s2, v27
	v_lshrrev_b32_e32 v5, 16, v57
	v_cvt_f32_f16_e32 v10, v57
	v_mov_b32_e32 v4, 0
	s_delay_alu instid0(VALU_DEP_4) | instskip(NEXT) | instid1(VALU_DEP_4)
	v_mad_co_u64_u32 v[0:1], null, v0, s27, s[34:35]
	v_cvt_f32_f16_e32 v11, v5
	s_delay_alu instid0(VALU_DEP_4) | instskip(NEXT) | instid1(VALU_DEP_3)
	v_mul_f32_e32 v5, v2, v10
	v_mad_co_u64_u32 v[0:1], null, s1, v0, s[18:19]
	v_lshrrev_b32_e32 v1, 16, v59
	s_delay_alu instid0(VALU_DEP_1) | instskip(NEXT) | instid1(VALU_DEP_3)
	v_cvt_f32_f16_e32 v1, v1
	v_lshl_add_u32 v3, v0, 7, v34
	s_delay_alu instid0(VALU_DEP_1) | instskip(NEXT) | instid1(VALU_DEP_3)
	v_lshlrev_b64_e32 v[8:9], 2, v[3:4]
	v_mul_f32_e32 v4, v2, v1
	v_mul_f32_e32 v3, v2, v6
	;; [unrolled: 1-line block ×3, first 2 shown]
	s_delay_alu instid0(VALU_DEP_4)
	v_add_co_u32 v1, vcc_lo, s20, v8
	s_wait_alu 0xfffd
	v_add_co_ci_u32_e64 v2, null, s21, v9, vcc_lo
	global_store_b128 v[1:2], v[3:6], off
	s_and_b32 exec_lo, exec_lo, s0
	s_cbranch_execz .LBB52_130
; %bb.170:
	v_ashrrev_i32_e32 v1, 31, v0
	v_mov_b32_e32 v14, v7
	s_delay_alu instid0(VALU_DEP_2) | instskip(NEXT) | instid1(VALU_DEP_1)
	v_lshlrev_b64_e32 v[0:1], 3, v[0:1]
	v_add_co_u32 v0, vcc_lo, s22, v0
	s_wait_alu 0xfffd
	s_delay_alu instid0(VALU_DEP_2)
	v_add_co_ci_u32_e64 v1, null, s23, v1, vcc_lo
	global_store_b64 v[0:1], v[14:15], off
	s_nop 0
	s_sendmsg sendmsg(MSG_DEALLOC_VGPRS)
	s_endpgm
	.section	.rodata,"a",@progbits
	.p2align	6, 0x0
	.amdhsa_kernel _ZL15flash_attn_tileILi128ELi128ELi64ELi1ELb0EEvPKcS1_S1_S1_S1_PKiPfP15HIP_vector_typeIfLj2EEffffjfiS5_IjLj3EEiiiiiiiiiiiliiliiiiil
		.amdhsa_group_segment_fixed_size 33792
		.amdhsa_private_segment_fixed_size 32
		.amdhsa_kernarg_size 464
		.amdhsa_user_sgpr_count 2
		.amdhsa_user_sgpr_dispatch_ptr 0
		.amdhsa_user_sgpr_queue_ptr 0
		.amdhsa_user_sgpr_kernarg_segment_ptr 1
		.amdhsa_user_sgpr_dispatch_id 0
		.amdhsa_user_sgpr_private_segment_size 0
		.amdhsa_wavefront_size32 1
		.amdhsa_uses_dynamic_stack 0
		.amdhsa_enable_private_segment 1
		.amdhsa_system_sgpr_workgroup_id_x 1
		.amdhsa_system_sgpr_workgroup_id_y 1
		.amdhsa_system_sgpr_workgroup_id_z 1
		.amdhsa_system_sgpr_workgroup_info 0
		.amdhsa_system_vgpr_workitem_id 1
		.amdhsa_next_free_vgpr 217
		.amdhsa_next_free_sgpr 47
		.amdhsa_reserve_vcc 1
		.amdhsa_float_round_mode_32 0
		.amdhsa_float_round_mode_16_64 0
		.amdhsa_float_denorm_mode_32 3
		.amdhsa_float_denorm_mode_16_64 3
		.amdhsa_fp16_overflow 0
		.amdhsa_workgroup_processor_mode 1
		.amdhsa_memory_ordered 1
		.amdhsa_forward_progress 1
		.amdhsa_inst_pref_size 255
		.amdhsa_round_robin_scheduling 0
		.amdhsa_exception_fp_ieee_invalid_op 0
		.amdhsa_exception_fp_denorm_src 0
		.amdhsa_exception_fp_ieee_div_zero 0
		.amdhsa_exception_fp_ieee_overflow 0
		.amdhsa_exception_fp_ieee_underflow 0
		.amdhsa_exception_fp_ieee_inexact 0
		.amdhsa_exception_int_div_zero 0
	.end_amdhsa_kernel
	.section	.text._ZL15flash_attn_tileILi128ELi128ELi64ELi1ELb0EEvPKcS1_S1_S1_S1_PKiPfP15HIP_vector_typeIfLj2EEffffjfiS5_IjLj3EEiiiiiiiiiiiliiliiiiil,"axG",@progbits,_ZL15flash_attn_tileILi128ELi128ELi64ELi1ELb0EEvPKcS1_S1_S1_S1_PKiPfP15HIP_vector_typeIfLj2EEffffjfiS5_IjLj3EEiiiiiiiiiiiliiliiiiil,comdat
.Lfunc_end52:
	.size	_ZL15flash_attn_tileILi128ELi128ELi64ELi1ELb0EEvPKcS1_S1_S1_S1_PKiPfP15HIP_vector_typeIfLj2EEffffjfiS5_IjLj3EEiiiiiiiiiiiliiliiiiil, .Lfunc_end52-_ZL15flash_attn_tileILi128ELi128ELi64ELi1ELb0EEvPKcS1_S1_S1_S1_PKiPfP15HIP_vector_typeIfLj2EEffffjfiS5_IjLj3EEiiiiiiiiiiiliiliiiiil
                                        ; -- End function
	.set _ZL15flash_attn_tileILi128ELi128ELi64ELi1ELb0EEvPKcS1_S1_S1_S1_PKiPfP15HIP_vector_typeIfLj2EEffffjfiS5_IjLj3EEiiiiiiiiiiiliiliiiiil.num_vgpr, 175
	.set _ZL15flash_attn_tileILi128ELi128ELi64ELi1ELb0EEvPKcS1_S1_S1_S1_PKiPfP15HIP_vector_typeIfLj2EEffffjfiS5_IjLj3EEiiiiiiiiiiiliiliiiiil.num_agpr, 0
	.set _ZL15flash_attn_tileILi128ELi128ELi64ELi1ELb0EEvPKcS1_S1_S1_S1_PKiPfP15HIP_vector_typeIfLj2EEffffjfiS5_IjLj3EEiiiiiiiiiiiliiliiiiil.numbered_sgpr, 47
	.set _ZL15flash_attn_tileILi128ELi128ELi64ELi1ELb0EEvPKcS1_S1_S1_S1_PKiPfP15HIP_vector_typeIfLj2EEffffjfiS5_IjLj3EEiiiiiiiiiiiliiliiiiil.num_named_barrier, 0
	.set _ZL15flash_attn_tileILi128ELi128ELi64ELi1ELb0EEvPKcS1_S1_S1_S1_PKiPfP15HIP_vector_typeIfLj2EEffffjfiS5_IjLj3EEiiiiiiiiiiiliiliiiiil.private_seg_size, 32
	.set _ZL15flash_attn_tileILi128ELi128ELi64ELi1ELb0EEvPKcS1_S1_S1_S1_PKiPfP15HIP_vector_typeIfLj2EEffffjfiS5_IjLj3EEiiiiiiiiiiiliiliiiiil.uses_vcc, 1
	.set _ZL15flash_attn_tileILi128ELi128ELi64ELi1ELb0EEvPKcS1_S1_S1_S1_PKiPfP15HIP_vector_typeIfLj2EEffffjfiS5_IjLj3EEiiiiiiiiiiiliiliiiiil.uses_flat_scratch, 1
	.set _ZL15flash_attn_tileILi128ELi128ELi64ELi1ELb0EEvPKcS1_S1_S1_S1_PKiPfP15HIP_vector_typeIfLj2EEffffjfiS5_IjLj3EEiiiiiiiiiiiliiliiiiil.has_dyn_sized_stack, 0
	.set _ZL15flash_attn_tileILi128ELi128ELi64ELi1ELb0EEvPKcS1_S1_S1_S1_PKiPfP15HIP_vector_typeIfLj2EEffffjfiS5_IjLj3EEiiiiiiiiiiiliiliiiiil.has_recursion, 0
	.set _ZL15flash_attn_tileILi128ELi128ELi64ELi1ELb0EEvPKcS1_S1_S1_S1_PKiPfP15HIP_vector_typeIfLj2EEffffjfiS5_IjLj3EEiiiiiiiiiiiliiliiiiil.has_indirect_call, 0
	.section	.AMDGPU.csdata,"",@progbits
; Kernel info:
; codeLenInByte = 63024
; TotalNumSgprs: 49
; NumVgprs: 175
; ScratchSize: 32
; MemoryBound: 0
; FloatMode: 240
; IeeeMode: 1
; LDSByteSize: 33792 bytes/workgroup (compile time only)
; SGPRBlocks: 0
; VGPRBlocks: 27
; NumSGPRsForWavesPerEU: 49
; NumVGPRsForWavesPerEU: 217
; Occupancy: 6
; WaveLimiterHint : 0
; COMPUTE_PGM_RSRC2:SCRATCH_EN: 1
; COMPUTE_PGM_RSRC2:USER_SGPR: 2
; COMPUTE_PGM_RSRC2:TRAP_HANDLER: 0
; COMPUTE_PGM_RSRC2:TGID_X_EN: 1
; COMPUTE_PGM_RSRC2:TGID_Y_EN: 1
; COMPUTE_PGM_RSRC2:TGID_Z_EN: 1
; COMPUTE_PGM_RSRC2:TIDIG_COMP_CNT: 1
	.section	.text._ZL25flash_attn_mask_to_KV_maxILi64EEvPK7__half2Piiii,"axG",@progbits,_ZL25flash_attn_mask_to_KV_maxILi64EEvPK7__half2Piiii,comdat
	.globl	_ZL25flash_attn_mask_to_KV_maxILi64EEvPK7__half2Piiii ; -- Begin function _ZL25flash_attn_mask_to_KV_maxILi64EEvPK7__half2Piiii
	.p2align	8
	.type	_ZL25flash_attn_mask_to_KV_maxILi64EEvPK7__half2Piiii,@function
_ZL25flash_attn_mask_to_KV_maxILi64EEvPK7__half2Piiii: ; @_ZL25flash_attn_mask_to_KV_maxILi64EEvPK7__half2Piiii
; %bb.0:
	s_load_b64 s[8:9], s[0:1], 0x0
	s_mov_b32 s2, exec_lo
	v_cmpx_gt_u32_e32 32, v0
; %bb.1:
	v_dual_mov_b32 v2, 1 :: v_dual_lshlrev_b32 v1, 2, v0
	ds_store_b32 v1, v2
; %bb.2:
	s_or_b32 exec_lo, exec_lo, s2
	s_clause 0x2
	s_load_b96 s[4:6], s[0:1], 0x10
	s_load_b64 s[2:3], s[0:1], 0x8
	s_load_b32 s1, s[0:1], 0x20
	v_dual_mov_b32 v2, 0 :: v_dual_and_b32 v1, 31, v0
	v_lshrrev_b32_e32 v5, 3, v0
	s_wait_dscnt 0x0
	s_barrier_signal -1
	s_delay_alu instid0(VALU_DEP_2)
	v_lshlrev_b32_e32 v6, 2, v1
	s_barrier_wait -1
	global_inv scope:SCOPE_SE
	s_wait_kmcnt 0x0
	s_mul_i32 s0, ttmp9, s5
	s_mul_i32 s6, s6, ttmp7
	s_lshl_b32 s0, s0, 6
	s_delay_alu instid0(SALU_CYCLE_1) | instskip(SKIP_2) | instid1(SALU_CYCLE_1)
	s_add_co_i32 s6, s6, s0
	v_cmp_eq_u32_e64 s0, 0, v1
	s_ashr_i32 s7, s6, 31
	s_lshl_b64 s[6:7], s[6:7], 2
	s_delay_alu instid0(SALU_CYCLE_1)
	s_add_nc_u64 s[6:7], s[8:9], s[6:7]
	s_lshl_b32 s8, s4, 8
	s_branch .LBB53_4
.LBB53_3:                               ;   in Loop: Header=BB53_4 Depth=1
	s_wait_alu 0xfffe
	s_or_b32 exec_lo, exec_lo, s9
	s_wait_dscnt 0x0
	s_barrier_signal -1
	s_barrier_wait -1
	global_inv scope:SCOPE_SE
	ds_load_b32 v1, v6
	s_wait_loadcnt_dscnt 0x0
	s_barrier_signal -1
	s_barrier_wait -1
	global_inv scope:SCOPE_SE
	v_cmp_ne_u32_e32 vcc_lo, 0, v1
	s_cmp_lg_u32 vcc_lo, exec_lo
	s_cselect_b32 s9, -1, 0
	s_wait_alu 0xfffe
	s_and_b32 vcc_lo, exec_lo, s9
	s_wait_alu 0xfffe
	s_cbranch_vccnz .LBB53_260
.LBB53_4:                               ; =>This Inner Loop Header: Depth=1
	s_mov_b32 s4, s8
	s_addk_co_i32 s8, 0xff00
	s_wait_alu 0xfffe
	s_cmp_lt_i32 s8, 0
	s_cbranch_scc1 .LBB53_259
; %bb.5:                                ;   in Loop: Header=BB53_4 Depth=1
	s_lshr_b32 s9, s8, 1
	s_wait_alu 0xfffe
	v_add_nc_u32_e32 v1, s9, v0
	s_delay_alu instid0(VALU_DEP_1) | instskip(NEXT) | instid1(VALU_DEP_1)
	v_lshlrev_b64_e32 v[3:4], 2, v[1:2]
	v_add_co_u32 v3, vcc_lo, s6, v3
	s_wait_alu 0xfffd
	s_delay_alu instid0(VALU_DEP_2) | instskip(SKIP_4) | instid1(VALU_DEP_2)
	v_add_co_ci_u32_e64 v4, null, s7, v4, vcc_lo
	global_load_b32 v3, v[3:4], off
	s_wait_loadcnt 0x0
	v_lshrrev_b32_e32 v4, 16, v3
	v_cmp_class_f16_e64 s9, v3, 0x204
	v_cmp_class_f16_e64 s10, v4, 0x204
	s_and_b32 s11, s9, s10
	s_mov_b32 s10, 0
	s_wait_alu 0xfffe
	s_and_saveexec_b32 s9, s11
	s_cbranch_execz .LBB53_257
; %bb.6:                                ;   in Loop: Header=BB53_4 Depth=1
	v_add_nc_u32_e32 v3, s5, v1
	s_mov_b32 s11, 0
	s_delay_alu instid0(VALU_DEP_1) | instskip(NEXT) | instid1(VALU_DEP_1)
	v_ashrrev_i32_e32 v4, 31, v3
	v_lshlrev_b64_e32 v[7:8], 2, v[3:4]
	s_delay_alu instid0(VALU_DEP_1) | instskip(SKIP_1) | instid1(VALU_DEP_2)
	v_add_co_u32 v7, vcc_lo, s6, v7
	s_wait_alu 0xfffd
	v_add_co_ci_u32_e64 v8, null, s7, v8, vcc_lo
	global_load_b32 v1, v[7:8], off
	s_wait_loadcnt 0x0
	v_cmp_class_f16_e64 s12, v1, 0x204
	s_and_saveexec_b32 s10, s12
	s_cbranch_execz .LBB53_256
; %bb.7:                                ;   in Loop: Header=BB53_4 Depth=1
	v_lshrrev_b32_e32 v1, 16, v1
	s_mov_b32 s12, 0
	s_delay_alu instid0(VALU_DEP_1)
	v_cmp_class_f16_e64 s13, v1, 0x204
	s_and_saveexec_b32 s11, s13
	s_cbranch_execz .LBB53_255
; %bb.8:                                ;   in Loop: Header=BB53_4 Depth=1
	v_add_nc_u32_e32 v3, s5, v3
	s_mov_b32 s13, 0
	s_delay_alu instid0(VALU_DEP_1) | instskip(NEXT) | instid1(VALU_DEP_1)
	v_ashrrev_i32_e32 v4, 31, v3
	v_lshlrev_b64_e32 v[7:8], 2, v[3:4]
	s_delay_alu instid0(VALU_DEP_1) | instskip(SKIP_1) | instid1(VALU_DEP_2)
	v_add_co_u32 v7, vcc_lo, s6, v7
	s_wait_alu 0xfffd
	v_add_co_ci_u32_e64 v8, null, s7, v8, vcc_lo
	global_load_b32 v1, v[7:8], off
	s_wait_loadcnt 0x0
	v_cmp_class_f16_e64 s14, v1, 0x204
	s_and_saveexec_b32 s12, s14
	s_cbranch_execz .LBB53_254
; %bb.9:                                ;   in Loop: Header=BB53_4 Depth=1
	v_lshrrev_b32_e32 v1, 16, v1
	s_mov_b32 s14, 0
	s_delay_alu instid0(VALU_DEP_1)
	v_cmp_class_f16_e64 s15, v1, 0x204
	s_and_saveexec_b32 s13, s15
	s_cbranch_execz .LBB53_253
; %bb.10:                               ;   in Loop: Header=BB53_4 Depth=1
	v_add_nc_u32_e32 v3, s5, v3
	s_mov_b32 s15, 0
	s_delay_alu instid0(VALU_DEP_1) | instskip(NEXT) | instid1(VALU_DEP_1)
	v_ashrrev_i32_e32 v4, 31, v3
	v_lshlrev_b64_e32 v[7:8], 2, v[3:4]
	s_delay_alu instid0(VALU_DEP_1) | instskip(SKIP_1) | instid1(VALU_DEP_2)
	v_add_co_u32 v7, vcc_lo, s6, v7
	s_wait_alu 0xfffd
	v_add_co_ci_u32_e64 v8, null, s7, v8, vcc_lo
	global_load_b32 v1, v[7:8], off
	s_wait_loadcnt 0x0
	v_cmp_class_f16_e64 s16, v1, 0x204
	s_and_saveexec_b32 s14, s16
	s_cbranch_execz .LBB53_252
; %bb.11:                               ;   in Loop: Header=BB53_4 Depth=1
	v_lshrrev_b32_e32 v1, 16, v1
	s_mov_b32 s16, 0
	s_delay_alu instid0(VALU_DEP_1)
	v_cmp_class_f16_e64 s17, v1, 0x204
	s_and_saveexec_b32 s15, s17
	s_cbranch_execz .LBB53_251
; %bb.12:                               ;   in Loop: Header=BB53_4 Depth=1
	v_add_nc_u32_e32 v3, s5, v3
	s_mov_b32 s17, 0
	s_delay_alu instid0(VALU_DEP_1) | instskip(NEXT) | instid1(VALU_DEP_1)
	v_ashrrev_i32_e32 v4, 31, v3
	v_lshlrev_b64_e32 v[7:8], 2, v[3:4]
	s_delay_alu instid0(VALU_DEP_1) | instskip(SKIP_1) | instid1(VALU_DEP_2)
	v_add_co_u32 v7, vcc_lo, s6, v7
	s_wait_alu 0xfffd
	v_add_co_ci_u32_e64 v8, null, s7, v8, vcc_lo
	global_load_b32 v1, v[7:8], off
	s_wait_loadcnt 0x0
	v_cmp_class_f16_e64 s18, v1, 0x204
	s_and_saveexec_b32 s16, s18
	s_cbranch_execz .LBB53_250
; %bb.13:                               ;   in Loop: Header=BB53_4 Depth=1
	;; [unrolled: 22-line block ×24, first 2 shown]
	v_lshrrev_b32_e32 v1, 16, v1
	s_mov_b32 s63, 0
	s_delay_alu instid0(VALU_DEP_1)
	v_cmp_class_f16_e64 s64, v1, 0x204
	s_and_saveexec_b32 s62, s64
	s_cbranch_execz .LBB53_205
; %bb.58:                               ;   in Loop: Header=BB53_4 Depth=1
	v_add_nc_u32_e32 v3, s5, v3
	s_delay_alu instid0(VALU_DEP_1) | instskip(NEXT) | instid1(VALU_DEP_1)
	v_ashrrev_i32_e32 v4, 31, v3
	v_lshlrev_b64_e32 v[7:8], 2, v[3:4]
	s_delay_alu instid0(VALU_DEP_1) | instskip(SKIP_1) | instid1(VALU_DEP_2)
	v_add_co_u32 v7, vcc_lo, s6, v7
	s_wait_alu 0xfffd
	v_add_co_ci_u32_e64 v8, null, s7, v8, vcc_lo
	global_load_b32 v1, v[7:8], off
	s_wait_loadcnt 0x0
	v_cmp_class_f16_e64 s64, v1, 0x204
	s_mov_b32 s65, exec_lo
	s_wait_alu 0xfffe
	s_and_b32 s64, s65, s64
                                        ; implicit-def: $vgpr9 : SGPR spill to VGPR lane
	v_writelane_b32 v9, s65, 0
	s_wait_alu 0xfffe
	s_mov_b32 exec_lo, s64
	s_cbranch_execz .LBB53_204
; %bb.59:                               ;   in Loop: Header=BB53_4 Depth=1
	v_lshrrev_b32_e32 v1, 16, v1
	s_delay_alu instid0(VALU_DEP_1)
	v_cmp_class_f16_e64 s64, v1, 0x204
	s_mov_b32 s65, exec_lo
	s_wait_alu 0xfffe
	s_and_b32 s64, s65, s64
	v_writelane_b32 v9, s65, 1
	s_wait_alu 0xfffe
	s_mov_b32 exec_lo, s64
	s_cbranch_execz .LBB53_203
; %bb.60:                               ;   in Loop: Header=BB53_4 Depth=1
	v_add_nc_u32_e32 v3, s5, v3
	s_delay_alu instid0(VALU_DEP_1) | instskip(NEXT) | instid1(VALU_DEP_1)
	v_ashrrev_i32_e32 v4, 31, v3
	v_lshlrev_b64_e32 v[7:8], 2, v[3:4]
	s_delay_alu instid0(VALU_DEP_1) | instskip(SKIP_1) | instid1(VALU_DEP_2)
	v_add_co_u32 v7, vcc_lo, s6, v7
	s_wait_alu 0xfffd
	v_add_co_ci_u32_e64 v8, null, s7, v8, vcc_lo
	global_load_b32 v1, v[7:8], off
	s_wait_loadcnt 0x0
	v_cmp_class_f16_e64 s64, v1, 0x204
	s_mov_b32 s65, exec_lo
	s_wait_alu 0xfffe
	s_and_b32 s64, s65, s64
	v_writelane_b32 v9, s65, 2
	s_wait_alu 0xfffe
	s_mov_b32 exec_lo, s64
	s_cbranch_execz .LBB53_202
; %bb.61:                               ;   in Loop: Header=BB53_4 Depth=1
	v_lshrrev_b32_e32 v1, 16, v1
	s_delay_alu instid0(VALU_DEP_1)
	v_cmp_class_f16_e64 s64, v1, 0x204
	s_mov_b32 s65, exec_lo
	s_wait_alu 0xfffe
	s_and_b32 s64, s65, s64
	v_writelane_b32 v9, s65, 3
	s_wait_alu 0xfffe
	s_mov_b32 exec_lo, s64
	s_cbranch_execz .LBB53_201
; %bb.62:                               ;   in Loop: Header=BB53_4 Depth=1
	v_add_nc_u32_e32 v3, s5, v3
	s_delay_alu instid0(VALU_DEP_1) | instskip(NEXT) | instid1(VALU_DEP_1)
	v_ashrrev_i32_e32 v4, 31, v3
	v_lshlrev_b64_e32 v[7:8], 2, v[3:4]
	s_delay_alu instid0(VALU_DEP_1) | instskip(SKIP_1) | instid1(VALU_DEP_2)
	v_add_co_u32 v7, vcc_lo, s6, v7
	s_wait_alu 0xfffd
	v_add_co_ci_u32_e64 v8, null, s7, v8, vcc_lo
	global_load_b32 v1, v[7:8], off
	s_wait_loadcnt 0x0
	v_cmp_class_f16_e64 s64, v1, 0x204
	s_mov_b32 s65, exec_lo
	s_wait_alu 0xfffe
	s_and_b32 s64, s65, s64
	;; [unrolled: 30-line block ×15, first 2 shown]
	v_writelane_b32 v9, s65, 30
	s_wait_alu 0xfffe
	s_mov_b32 exec_lo, s64
	s_cbranch_execz .LBB53_174
; %bb.89:                               ;   in Loop: Header=BB53_4 Depth=1
	v_lshrrev_b32_e32 v1, 16, v1
	s_delay_alu instid0(VALU_DEP_1)
	v_cmp_class_f16_e64 s64, v1, 0x204
	s_and_saveexec_b32 s94, s64
	s_cbranch_execz .LBB53_173
; %bb.90:                               ;   in Loop: Header=BB53_4 Depth=1
	v_add_nc_u32_e32 v3, s5, v3
	s_delay_alu instid0(VALU_DEP_1) | instskip(NEXT) | instid1(VALU_DEP_1)
	v_ashrrev_i32_e32 v4, 31, v3
	v_lshlrev_b64_e32 v[7:8], 2, v[3:4]
	s_delay_alu instid0(VALU_DEP_1) | instskip(SKIP_1) | instid1(VALU_DEP_2)
	v_add_co_u32 v7, vcc_lo, s6, v7
	s_wait_alu 0xfffd
	v_add_co_ci_u32_e64 v8, null, s7, v8, vcc_lo
	global_load_b32 v1, v[7:8], off
	s_wait_loadcnt 0x0
	v_cmp_class_f16_e64 s64, v1, 0x204
	s_and_saveexec_b32 s95, s64
	s_cbranch_execz .LBB53_172
; %bb.91:                               ;   in Loop: Header=BB53_4 Depth=1
	v_lshrrev_b32_e32 v1, 16, v1
	s_delay_alu instid0(VALU_DEP_1)
	v_cmp_class_f16_e64 s64, v1, 0x204
	s_and_saveexec_b32 s96, s64
	s_cbranch_execz .LBB53_171
; %bb.92:                               ;   in Loop: Header=BB53_4 Depth=1
	v_add_nc_u32_e32 v3, s5, v3
	s_delay_alu instid0(VALU_DEP_1) | instskip(NEXT) | instid1(VALU_DEP_1)
	v_ashrrev_i32_e32 v4, 31, v3
	v_lshlrev_b64_e32 v[7:8], 2, v[3:4]
	s_delay_alu instid0(VALU_DEP_1) | instskip(SKIP_1) | instid1(VALU_DEP_2)
	v_add_co_u32 v7, vcc_lo, s6, v7
	s_wait_alu 0xfffd
	v_add_co_ci_u32_e64 v8, null, s7, v8, vcc_lo
	global_load_b32 v1, v[7:8], off
	s_wait_loadcnt 0x0
	v_cmp_class_f16_e64 s64, v1, 0x204
	s_and_saveexec_b32 s97, s64
	;; [unrolled: 20-line block ×5, first 2 shown]
	s_cbranch_execz .LBB53_164
; %bb.99:                               ;   in Loop: Header=BB53_4 Depth=1
	v_lshrrev_b32_e32 v1, 16, v1
	s_delay_alu instid0(VALU_DEP_1)
	v_cmp_class_f16_e64 s64, v1, 0x204
	s_and_saveexec_b32 s104, s64
	s_cbranch_execz .LBB53_163
; %bb.100:                              ;   in Loop: Header=BB53_4 Depth=1
	v_add_nc_u32_e32 v3, s5, v3
	s_delay_alu instid0(VALU_DEP_1) | instskip(NEXT) | instid1(VALU_DEP_1)
	v_ashrrev_i32_e32 v4, 31, v3
	v_lshlrev_b64_e32 v[7:8], 2, v[3:4]
	s_delay_alu instid0(VALU_DEP_1) | instskip(SKIP_1) | instid1(VALU_DEP_2)
	v_add_co_u32 v7, vcc_lo, s6, v7
	s_wait_alu 0xfffd
	v_add_co_ci_u32_e64 v8, null, s7, v8, vcc_lo
	global_load_b32 v1, v[7:8], off
	s_wait_loadcnt 0x0
	v_cmp_class_f16_e64 s64, v1, 0x204
	s_and_saveexec_b32 vcc_hi, s64
	s_cbranch_execz .LBB53_162
; %bb.101:                              ;   in Loop: Header=BB53_4 Depth=1
	v_lshrrev_b32_e32 v1, 16, v1
	s_mov_b32 s64, 0
	s_delay_alu instid0(VALU_DEP_1)
	v_cmp_class_f16_e64 s65, v1, 0x204
	s_and_saveexec_b32 s63, s65
	s_cbranch_execz .LBB53_161
; %bb.102:                              ;   in Loop: Header=BB53_4 Depth=1
	v_add_nc_u32_e32 v3, s5, v3
	s_mov_b32 s65, 0
	s_delay_alu instid0(VALU_DEP_1) | instskip(NEXT) | instid1(VALU_DEP_1)
	v_ashrrev_i32_e32 v4, 31, v3
	v_lshlrev_b64_e32 v[7:8], 2, v[3:4]
	s_delay_alu instid0(VALU_DEP_1) | instskip(SKIP_1) | instid1(VALU_DEP_2)
	v_add_co_u32 v7, vcc_lo, s6, v7
	s_wait_alu 0xfffd
	v_add_co_ci_u32_e64 v8, null, s7, v8, vcc_lo
	global_load_b32 v1, v[7:8], off
	s_wait_loadcnt 0x0
	v_cmp_class_f16_e64 s66, v1, 0x204
	s_and_saveexec_b32 s64, s66
	s_cbranch_execz .LBB53_160
; %bb.103:                              ;   in Loop: Header=BB53_4 Depth=1
	v_lshrrev_b32_e32 v1, 16, v1
	s_mov_b32 s66, 0
	s_delay_alu instid0(VALU_DEP_1)
	v_cmp_class_f16_e64 s67, v1, 0x204
	s_and_saveexec_b32 s65, s67
	s_cbranch_execz .LBB53_159
; %bb.104:                              ;   in Loop: Header=BB53_4 Depth=1
	v_add_nc_u32_e32 v3, s5, v3
	s_mov_b32 s67, 0
	s_delay_alu instid0(VALU_DEP_1) | instskip(NEXT) | instid1(VALU_DEP_1)
	v_ashrrev_i32_e32 v4, 31, v3
	v_lshlrev_b64_e32 v[7:8], 2, v[3:4]
	s_delay_alu instid0(VALU_DEP_1) | instskip(SKIP_1) | instid1(VALU_DEP_2)
	v_add_co_u32 v7, vcc_lo, s6, v7
	s_wait_alu 0xfffd
	v_add_co_ci_u32_e64 v8, null, s7, v8, vcc_lo
	global_load_b32 v1, v[7:8], off
	s_wait_loadcnt 0x0
	v_cmp_class_f16_e64 s68, v1, 0x204
	s_and_saveexec_b32 s66, s68
	;; [unrolled: 22-line block ×14, first 2 shown]
	s_cbranch_execz .LBB53_134
; %bb.129:                              ;   in Loop: Header=BB53_4 Depth=1
	v_lshrrev_b32_e32 v1, 16, v1
	s_mov_b32 vcc_lo, 0
	s_delay_alu instid0(VALU_DEP_1)
	v_cmp_class_f16_e64 s92, v1, 0x204
	s_and_saveexec_b32 s91, s92
	s_cbranch_execz .LBB53_133
; %bb.130:                              ;   in Loop: Header=BB53_4 Depth=1
	v_add_nc_u32_e32 v3, s5, v3
	s_delay_alu instid0(VALU_DEP_1) | instskip(NEXT) | instid1(VALU_DEP_1)
	v_ashrrev_i32_e32 v4, 31, v3
	v_lshlrev_b64_e32 v[3:4], 2, v[3:4]
	s_delay_alu instid0(VALU_DEP_1) | instskip(SKIP_1) | instid1(VALU_DEP_2)
	v_add_co_u32 v3, vcc_lo, s6, v3
	s_wait_alu 0xfffd
	v_add_co_ci_u32_e64 v4, null, s7, v4, vcc_lo
	s_mov_b32 vcc_lo, 0
	global_load_b32 v1, v[3:4], off
	s_wait_loadcnt 0x0
	v_cmp_class_f16_e64 s93, v1, 0x204
	s_and_saveexec_b32 s92, s93
; %bb.131:                              ;   in Loop: Header=BB53_4 Depth=1
	v_lshrrev_b32_e32 v1, 16, v1
	s_delay_alu instid0(VALU_DEP_1)
	v_cmp_class_f16_e64 s93, v1, 0x204
	s_and_b32 vcc_lo, s93, exec_lo
; %bb.132:                              ;   in Loop: Header=BB53_4 Depth=1
	s_or_b32 exec_lo, exec_lo, s92
	s_wait_alu 0xfffe
	s_and_b32 vcc_lo, vcc_lo, exec_lo
.LBB53_133:                             ;   in Loop: Header=BB53_4 Depth=1
	s_or_b32 exec_lo, exec_lo, s91
	s_wait_alu 0xfffe
	s_and_b32 s91, vcc_lo, exec_lo
.LBB53_134:                             ;   in Loop: Header=BB53_4 Depth=1
	s_or_b32 exec_lo, exec_lo, s90
	s_delay_alu instid0(SALU_CYCLE_1)
	s_and_b32 s90, s91, exec_lo
.LBB53_135:                             ;   in Loop: Header=BB53_4 Depth=1
	s_or_b32 exec_lo, exec_lo, s89
	s_delay_alu instid0(SALU_CYCLE_1)
	s_and_b32 s89, s90, exec_lo
.LBB53_136:                             ;   in Loop: Header=BB53_4 Depth=1
	s_or_b32 exec_lo, exec_lo, s88
	s_delay_alu instid0(SALU_CYCLE_1)
	s_and_b32 s88, s89, exec_lo
.LBB53_137:                             ;   in Loop: Header=BB53_4 Depth=1
	s_or_b32 exec_lo, exec_lo, s87
	s_delay_alu instid0(SALU_CYCLE_1)
	s_and_b32 s87, s88, exec_lo
.LBB53_138:                             ;   in Loop: Header=BB53_4 Depth=1
	s_or_b32 exec_lo, exec_lo, s86
	s_delay_alu instid0(SALU_CYCLE_1)
	s_and_b32 s86, s87, exec_lo
.LBB53_139:                             ;   in Loop: Header=BB53_4 Depth=1
	s_or_b32 exec_lo, exec_lo, s85
	s_delay_alu instid0(SALU_CYCLE_1)
	s_and_b32 s85, s86, exec_lo
.LBB53_140:                             ;   in Loop: Header=BB53_4 Depth=1
	s_or_b32 exec_lo, exec_lo, s84
	s_delay_alu instid0(SALU_CYCLE_1)
	s_and_b32 s84, s85, exec_lo
.LBB53_141:                             ;   in Loop: Header=BB53_4 Depth=1
	s_or_b32 exec_lo, exec_lo, s83
	s_delay_alu instid0(SALU_CYCLE_1)
	s_and_b32 s83, s84, exec_lo
.LBB53_142:                             ;   in Loop: Header=BB53_4 Depth=1
	s_or_b32 exec_lo, exec_lo, s82
	s_delay_alu instid0(SALU_CYCLE_1)
	s_and_b32 s82, s83, exec_lo
.LBB53_143:                             ;   in Loop: Header=BB53_4 Depth=1
	s_or_b32 exec_lo, exec_lo, s81
	s_delay_alu instid0(SALU_CYCLE_1)
	s_and_b32 s81, s82, exec_lo
.LBB53_144:                             ;   in Loop: Header=BB53_4 Depth=1
	s_or_b32 exec_lo, exec_lo, s80
	s_delay_alu instid0(SALU_CYCLE_1)
	s_and_b32 s80, s81, exec_lo
.LBB53_145:                             ;   in Loop: Header=BB53_4 Depth=1
	s_or_b32 exec_lo, exec_lo, s79
	s_delay_alu instid0(SALU_CYCLE_1)
	s_and_b32 s79, s80, exec_lo
.LBB53_146:                             ;   in Loop: Header=BB53_4 Depth=1
	s_or_b32 exec_lo, exec_lo, s78
	s_delay_alu instid0(SALU_CYCLE_1)
	s_and_b32 s78, s79, exec_lo
.LBB53_147:                             ;   in Loop: Header=BB53_4 Depth=1
	s_or_b32 exec_lo, exec_lo, s77
	s_delay_alu instid0(SALU_CYCLE_1)
	s_and_b32 s77, s78, exec_lo
.LBB53_148:                             ;   in Loop: Header=BB53_4 Depth=1
	s_or_b32 exec_lo, exec_lo, s76
	s_delay_alu instid0(SALU_CYCLE_1)
	s_and_b32 s76, s77, exec_lo
.LBB53_149:                             ;   in Loop: Header=BB53_4 Depth=1
	s_or_b32 exec_lo, exec_lo, s75
	s_delay_alu instid0(SALU_CYCLE_1)
	s_and_b32 s75, s76, exec_lo
.LBB53_150:                             ;   in Loop: Header=BB53_4 Depth=1
	s_or_b32 exec_lo, exec_lo, s74
	s_delay_alu instid0(SALU_CYCLE_1)
	s_and_b32 s74, s75, exec_lo
.LBB53_151:                             ;   in Loop: Header=BB53_4 Depth=1
	s_or_b32 exec_lo, exec_lo, s73
	s_delay_alu instid0(SALU_CYCLE_1)
	s_and_b32 s73, s74, exec_lo
.LBB53_152:                             ;   in Loop: Header=BB53_4 Depth=1
	s_or_b32 exec_lo, exec_lo, s72
	s_delay_alu instid0(SALU_CYCLE_1)
	s_and_b32 s72, s73, exec_lo
.LBB53_153:                             ;   in Loop: Header=BB53_4 Depth=1
	s_or_b32 exec_lo, exec_lo, s71
	s_delay_alu instid0(SALU_CYCLE_1)
	s_and_b32 s71, s72, exec_lo
.LBB53_154:                             ;   in Loop: Header=BB53_4 Depth=1
	s_or_b32 exec_lo, exec_lo, s70
	s_delay_alu instid0(SALU_CYCLE_1)
	s_and_b32 s70, s71, exec_lo
.LBB53_155:                             ;   in Loop: Header=BB53_4 Depth=1
	s_or_b32 exec_lo, exec_lo, s69
	s_delay_alu instid0(SALU_CYCLE_1)
	s_and_b32 s69, s70, exec_lo
.LBB53_156:                             ;   in Loop: Header=BB53_4 Depth=1
	s_or_b32 exec_lo, exec_lo, s68
	s_delay_alu instid0(SALU_CYCLE_1)
	s_and_b32 s68, s69, exec_lo
.LBB53_157:                             ;   in Loop: Header=BB53_4 Depth=1
	s_or_b32 exec_lo, exec_lo, s67
	s_delay_alu instid0(SALU_CYCLE_1)
	s_and_b32 s67, s68, exec_lo
.LBB53_158:                             ;   in Loop: Header=BB53_4 Depth=1
	s_or_b32 exec_lo, exec_lo, s66
	s_delay_alu instid0(SALU_CYCLE_1)
	s_and_b32 s66, s67, exec_lo
.LBB53_159:                             ;   in Loop: Header=BB53_4 Depth=1
	s_wait_alu 0xfffe
	s_or_b32 exec_lo, exec_lo, s65
	s_delay_alu instid0(SALU_CYCLE_1)
	s_and_b32 s65, s66, exec_lo
.LBB53_160:                             ;   in Loop: Header=BB53_4 Depth=1
	s_wait_alu 0xfffe
	s_or_b32 exec_lo, exec_lo, s64
	s_delay_alu instid0(SALU_CYCLE_1)
	s_and_b32 s64, s65, exec_lo
.LBB53_161:                             ;   in Loop: Header=BB53_4 Depth=1
	s_or_b32 exec_lo, exec_lo, s63
	s_wait_alu 0xfffe
	s_and_b32 s63, s64, exec_lo
.LBB53_162:                             ;   in Loop: Header=BB53_4 Depth=1
	s_wait_alu 0xfffe
	s_or_b32 exec_lo, exec_lo, vcc_hi
	s_delay_alu instid0(SALU_CYCLE_1)
	s_and_b32 s63, s63, exec_lo
.LBB53_163:                             ;   in Loop: Header=BB53_4 Depth=1
	s_or_b32 exec_lo, exec_lo, s104
	s_delay_alu instid0(SALU_CYCLE_1)
	s_and_b32 s63, s63, exec_lo
.LBB53_164:                             ;   in Loop: Header=BB53_4 Depth=1
	s_or_b32 exec_lo, exec_lo, s103
	s_delay_alu instid0(SALU_CYCLE_1)
	s_and_b32 s63, s63, exec_lo
.LBB53_165:                             ;   in Loop: Header=BB53_4 Depth=1
	s_or_b32 exec_lo, exec_lo, s102
	s_delay_alu instid0(SALU_CYCLE_1)
	s_and_b32 s63, s63, exec_lo
.LBB53_166:                             ;   in Loop: Header=BB53_4 Depth=1
	s_or_b32 exec_lo, exec_lo, s101
	s_delay_alu instid0(SALU_CYCLE_1)
	s_and_b32 s63, s63, exec_lo
.LBB53_167:                             ;   in Loop: Header=BB53_4 Depth=1
	s_or_b32 exec_lo, exec_lo, s100
	s_delay_alu instid0(SALU_CYCLE_1)
	s_and_b32 s63, s63, exec_lo
.LBB53_168:                             ;   in Loop: Header=BB53_4 Depth=1
	s_or_b32 exec_lo, exec_lo, s99
	s_delay_alu instid0(SALU_CYCLE_1)
	s_and_b32 s63, s63, exec_lo
.LBB53_169:                             ;   in Loop: Header=BB53_4 Depth=1
	s_or_b32 exec_lo, exec_lo, s98
	s_delay_alu instid0(SALU_CYCLE_1)
	s_and_b32 s63, s63, exec_lo
.LBB53_170:                             ;   in Loop: Header=BB53_4 Depth=1
	s_or_b32 exec_lo, exec_lo, s97
	s_delay_alu instid0(SALU_CYCLE_1)
	s_and_b32 s63, s63, exec_lo
.LBB53_171:                             ;   in Loop: Header=BB53_4 Depth=1
	s_or_b32 exec_lo, exec_lo, s96
	s_delay_alu instid0(SALU_CYCLE_1)
	s_and_b32 s63, s63, exec_lo
.LBB53_172:                             ;   in Loop: Header=BB53_4 Depth=1
	s_or_b32 exec_lo, exec_lo, s95
	s_delay_alu instid0(SALU_CYCLE_1)
	s_and_b32 s63, s63, exec_lo
.LBB53_173:                             ;   in Loop: Header=BB53_4 Depth=1
	s_or_b32 exec_lo, exec_lo, s94
	s_delay_alu instid0(SALU_CYCLE_1)
	s_and_b32 s63, s63, exec_lo
.LBB53_174:                             ;   in Loop: Header=BB53_4 Depth=1
	s_delay_alu instid0(VALU_DEP_1) | instskip(SKIP_1) | instid1(SALU_CYCLE_1)
	v_readlane_b32 s64, v9, 30
	s_or_b32 exec_lo, exec_lo, s64
	s_and_b32 s63, s63, exec_lo
.LBB53_175:                             ;   in Loop: Header=BB53_4 Depth=1
	s_delay_alu instid0(VALU_DEP_1) | instskip(SKIP_1) | instid1(SALU_CYCLE_1)
	v_readlane_b32 s64, v9, 29
	s_or_b32 exec_lo, exec_lo, s64
	s_and_b32 s63, s63, exec_lo
.LBB53_176:                             ;   in Loop: Header=BB53_4 Depth=1
	s_delay_alu instid0(VALU_DEP_1) | instskip(SKIP_1) | instid1(SALU_CYCLE_1)
	v_readlane_b32 s64, v9, 28
	s_or_b32 exec_lo, exec_lo, s64
	s_and_b32 s63, s63, exec_lo
.LBB53_177:                             ;   in Loop: Header=BB53_4 Depth=1
	s_delay_alu instid0(VALU_DEP_1) | instskip(SKIP_1) | instid1(SALU_CYCLE_1)
	v_readlane_b32 s64, v9, 27
	s_or_b32 exec_lo, exec_lo, s64
	s_and_b32 s63, s63, exec_lo
.LBB53_178:                             ;   in Loop: Header=BB53_4 Depth=1
	s_delay_alu instid0(VALU_DEP_1) | instskip(SKIP_1) | instid1(SALU_CYCLE_1)
	v_readlane_b32 s64, v9, 26
	s_or_b32 exec_lo, exec_lo, s64
	s_and_b32 s63, s63, exec_lo
.LBB53_179:                             ;   in Loop: Header=BB53_4 Depth=1
	s_delay_alu instid0(VALU_DEP_1) | instskip(SKIP_1) | instid1(SALU_CYCLE_1)
	v_readlane_b32 s64, v9, 25
	s_or_b32 exec_lo, exec_lo, s64
	s_and_b32 s63, s63, exec_lo
.LBB53_180:                             ;   in Loop: Header=BB53_4 Depth=1
	s_delay_alu instid0(VALU_DEP_1) | instskip(SKIP_1) | instid1(SALU_CYCLE_1)
	v_readlane_b32 s64, v9, 24
	s_or_b32 exec_lo, exec_lo, s64
	s_and_b32 s63, s63, exec_lo
.LBB53_181:                             ;   in Loop: Header=BB53_4 Depth=1
	s_delay_alu instid0(VALU_DEP_1) | instskip(SKIP_1) | instid1(SALU_CYCLE_1)
	v_readlane_b32 s64, v9, 23
	s_or_b32 exec_lo, exec_lo, s64
	s_and_b32 s63, s63, exec_lo
.LBB53_182:                             ;   in Loop: Header=BB53_4 Depth=1
	s_delay_alu instid0(VALU_DEP_1) | instskip(SKIP_1) | instid1(SALU_CYCLE_1)
	v_readlane_b32 s64, v9, 22
	s_or_b32 exec_lo, exec_lo, s64
	s_and_b32 s63, s63, exec_lo
.LBB53_183:                             ;   in Loop: Header=BB53_4 Depth=1
	s_delay_alu instid0(VALU_DEP_1) | instskip(SKIP_1) | instid1(SALU_CYCLE_1)
	v_readlane_b32 s64, v9, 21
	s_or_b32 exec_lo, exec_lo, s64
	s_and_b32 s63, s63, exec_lo
.LBB53_184:                             ;   in Loop: Header=BB53_4 Depth=1
	s_delay_alu instid0(VALU_DEP_1) | instskip(SKIP_1) | instid1(SALU_CYCLE_1)
	v_readlane_b32 s64, v9, 20
	s_or_b32 exec_lo, exec_lo, s64
	s_and_b32 s63, s63, exec_lo
.LBB53_185:                             ;   in Loop: Header=BB53_4 Depth=1
	s_delay_alu instid0(VALU_DEP_1) | instskip(SKIP_1) | instid1(SALU_CYCLE_1)
	v_readlane_b32 s64, v9, 19
	s_or_b32 exec_lo, exec_lo, s64
	s_and_b32 s63, s63, exec_lo
.LBB53_186:                             ;   in Loop: Header=BB53_4 Depth=1
	s_delay_alu instid0(VALU_DEP_1) | instskip(SKIP_1) | instid1(SALU_CYCLE_1)
	v_readlane_b32 s64, v9, 18
	s_or_b32 exec_lo, exec_lo, s64
	s_and_b32 s63, s63, exec_lo
.LBB53_187:                             ;   in Loop: Header=BB53_4 Depth=1
	s_delay_alu instid0(VALU_DEP_1) | instskip(SKIP_1) | instid1(SALU_CYCLE_1)
	v_readlane_b32 s64, v9, 17
	s_or_b32 exec_lo, exec_lo, s64
	s_and_b32 s63, s63, exec_lo
.LBB53_188:                             ;   in Loop: Header=BB53_4 Depth=1
	s_delay_alu instid0(VALU_DEP_1) | instskip(SKIP_1) | instid1(SALU_CYCLE_1)
	v_readlane_b32 s64, v9, 16
	s_or_b32 exec_lo, exec_lo, s64
	s_and_b32 s63, s63, exec_lo
.LBB53_189:                             ;   in Loop: Header=BB53_4 Depth=1
	s_delay_alu instid0(VALU_DEP_1) | instskip(SKIP_1) | instid1(SALU_CYCLE_1)
	v_readlane_b32 s64, v9, 15
	s_or_b32 exec_lo, exec_lo, s64
	s_and_b32 s63, s63, exec_lo
.LBB53_190:                             ;   in Loop: Header=BB53_4 Depth=1
	s_delay_alu instid0(VALU_DEP_1) | instskip(SKIP_1) | instid1(SALU_CYCLE_1)
	v_readlane_b32 s64, v9, 14
	s_or_b32 exec_lo, exec_lo, s64
	s_and_b32 s63, s63, exec_lo
.LBB53_191:                             ;   in Loop: Header=BB53_4 Depth=1
	s_delay_alu instid0(VALU_DEP_1) | instskip(SKIP_1) | instid1(SALU_CYCLE_1)
	v_readlane_b32 s64, v9, 13
	s_or_b32 exec_lo, exec_lo, s64
	s_and_b32 s63, s63, exec_lo
.LBB53_192:                             ;   in Loop: Header=BB53_4 Depth=1
	s_delay_alu instid0(VALU_DEP_1) | instskip(SKIP_1) | instid1(SALU_CYCLE_1)
	v_readlane_b32 s64, v9, 12
	s_or_b32 exec_lo, exec_lo, s64
	s_and_b32 s63, s63, exec_lo
.LBB53_193:                             ;   in Loop: Header=BB53_4 Depth=1
	s_delay_alu instid0(VALU_DEP_1) | instskip(SKIP_1) | instid1(SALU_CYCLE_1)
	v_readlane_b32 s64, v9, 11
	s_or_b32 exec_lo, exec_lo, s64
	s_and_b32 s63, s63, exec_lo
.LBB53_194:                             ;   in Loop: Header=BB53_4 Depth=1
	s_delay_alu instid0(VALU_DEP_1) | instskip(SKIP_1) | instid1(SALU_CYCLE_1)
	v_readlane_b32 s64, v9, 10
	s_or_b32 exec_lo, exec_lo, s64
	s_and_b32 s63, s63, exec_lo
.LBB53_195:                             ;   in Loop: Header=BB53_4 Depth=1
	s_delay_alu instid0(VALU_DEP_1) | instskip(SKIP_1) | instid1(SALU_CYCLE_1)
	v_readlane_b32 s64, v9, 9
	s_or_b32 exec_lo, exec_lo, s64
	s_and_b32 s63, s63, exec_lo
.LBB53_196:                             ;   in Loop: Header=BB53_4 Depth=1
	s_delay_alu instid0(VALU_DEP_1) | instskip(SKIP_1) | instid1(SALU_CYCLE_1)
	v_readlane_b32 s64, v9, 8
	s_or_b32 exec_lo, exec_lo, s64
	s_and_b32 s63, s63, exec_lo
.LBB53_197:                             ;   in Loop: Header=BB53_4 Depth=1
	s_delay_alu instid0(VALU_DEP_1) | instskip(SKIP_1) | instid1(SALU_CYCLE_1)
	v_readlane_b32 s64, v9, 7
	s_or_b32 exec_lo, exec_lo, s64
	s_and_b32 s63, s63, exec_lo
.LBB53_198:                             ;   in Loop: Header=BB53_4 Depth=1
	s_delay_alu instid0(VALU_DEP_1) | instskip(SKIP_1) | instid1(SALU_CYCLE_1)
	v_readlane_b32 s64, v9, 6
	s_or_b32 exec_lo, exec_lo, s64
	s_and_b32 s63, s63, exec_lo
.LBB53_199:                             ;   in Loop: Header=BB53_4 Depth=1
	s_delay_alu instid0(VALU_DEP_1) | instskip(SKIP_1) | instid1(SALU_CYCLE_1)
	v_readlane_b32 s64, v9, 5
	s_or_b32 exec_lo, exec_lo, s64
	s_and_b32 s63, s63, exec_lo
.LBB53_200:                             ;   in Loop: Header=BB53_4 Depth=1
	s_delay_alu instid0(VALU_DEP_1) | instskip(SKIP_1) | instid1(SALU_CYCLE_1)
	v_readlane_b32 s64, v9, 4
	s_or_b32 exec_lo, exec_lo, s64
	s_and_b32 s63, s63, exec_lo
.LBB53_201:                             ;   in Loop: Header=BB53_4 Depth=1
	s_delay_alu instid0(VALU_DEP_1) | instskip(SKIP_1) | instid1(SALU_CYCLE_1)
	v_readlane_b32 s64, v9, 3
	s_or_b32 exec_lo, exec_lo, s64
	s_and_b32 s63, s63, exec_lo
.LBB53_202:                             ;   in Loop: Header=BB53_4 Depth=1
	s_delay_alu instid0(VALU_DEP_1) | instskip(SKIP_1) | instid1(SALU_CYCLE_1)
	v_readlane_b32 s64, v9, 2
	s_or_b32 exec_lo, exec_lo, s64
	s_and_b32 s63, s63, exec_lo
.LBB53_203:                             ;   in Loop: Header=BB53_4 Depth=1
	s_delay_alu instid0(VALU_DEP_1) | instskip(SKIP_1) | instid1(SALU_CYCLE_1)
	v_readlane_b32 s64, v9, 1
	s_or_b32 exec_lo, exec_lo, s64
	s_and_b32 s63, s63, exec_lo
.LBB53_204:                             ;   in Loop: Header=BB53_4 Depth=1
	s_delay_alu instid0(VALU_DEP_1) | instskip(SKIP_1) | instid1(SALU_CYCLE_1)
	v_readlane_b32 s64, v9, 0
	s_or_b32 exec_lo, exec_lo, s64
	s_and_b32 s63, s63, exec_lo
.LBB53_205:                             ;   in Loop: Header=BB53_4 Depth=1
	s_or_b32 exec_lo, exec_lo, s62
	s_delay_alu instid0(SALU_CYCLE_1)
	s_and_b32 s62, s63, exec_lo
.LBB53_206:                             ;   in Loop: Header=BB53_4 Depth=1
	s_or_b32 exec_lo, exec_lo, s61
	s_delay_alu instid0(SALU_CYCLE_1)
	s_and_b32 s61, s62, exec_lo
.LBB53_207:                             ;   in Loop: Header=BB53_4 Depth=1
	s_or_b32 exec_lo, exec_lo, s60
	s_delay_alu instid0(SALU_CYCLE_1)
	s_and_b32 s60, s61, exec_lo
.LBB53_208:                             ;   in Loop: Header=BB53_4 Depth=1
	s_or_b32 exec_lo, exec_lo, s59
	s_delay_alu instid0(SALU_CYCLE_1)
	s_and_b32 s59, s60, exec_lo
.LBB53_209:                             ;   in Loop: Header=BB53_4 Depth=1
	s_or_b32 exec_lo, exec_lo, s58
	s_delay_alu instid0(SALU_CYCLE_1)
	s_and_b32 s58, s59, exec_lo
.LBB53_210:                             ;   in Loop: Header=BB53_4 Depth=1
	s_or_b32 exec_lo, exec_lo, s57
	s_delay_alu instid0(SALU_CYCLE_1)
	s_and_b32 s57, s58, exec_lo
.LBB53_211:                             ;   in Loop: Header=BB53_4 Depth=1
	s_or_b32 exec_lo, exec_lo, s56
	s_delay_alu instid0(SALU_CYCLE_1)
	s_and_b32 s56, s57, exec_lo
.LBB53_212:                             ;   in Loop: Header=BB53_4 Depth=1
	s_or_b32 exec_lo, exec_lo, s55
	s_delay_alu instid0(SALU_CYCLE_1)
	s_and_b32 s55, s56, exec_lo
.LBB53_213:                             ;   in Loop: Header=BB53_4 Depth=1
	s_or_b32 exec_lo, exec_lo, s54
	s_delay_alu instid0(SALU_CYCLE_1)
	s_and_b32 s54, s55, exec_lo
.LBB53_214:                             ;   in Loop: Header=BB53_4 Depth=1
	s_or_b32 exec_lo, exec_lo, s53
	s_delay_alu instid0(SALU_CYCLE_1)
	s_and_b32 s53, s54, exec_lo
.LBB53_215:                             ;   in Loop: Header=BB53_4 Depth=1
	s_or_b32 exec_lo, exec_lo, s52
	s_delay_alu instid0(SALU_CYCLE_1)
	s_and_b32 s52, s53, exec_lo
.LBB53_216:                             ;   in Loop: Header=BB53_4 Depth=1
	s_or_b32 exec_lo, exec_lo, s51
	s_delay_alu instid0(SALU_CYCLE_1)
	s_and_b32 s51, s52, exec_lo
.LBB53_217:                             ;   in Loop: Header=BB53_4 Depth=1
	s_or_b32 exec_lo, exec_lo, s50
	s_delay_alu instid0(SALU_CYCLE_1)
	s_and_b32 s50, s51, exec_lo
.LBB53_218:                             ;   in Loop: Header=BB53_4 Depth=1
	s_or_b32 exec_lo, exec_lo, s49
	s_delay_alu instid0(SALU_CYCLE_1)
	s_and_b32 s49, s50, exec_lo
.LBB53_219:                             ;   in Loop: Header=BB53_4 Depth=1
	s_or_b32 exec_lo, exec_lo, s48
	s_delay_alu instid0(SALU_CYCLE_1)
	s_and_b32 s48, s49, exec_lo
.LBB53_220:                             ;   in Loop: Header=BB53_4 Depth=1
	s_or_b32 exec_lo, exec_lo, s47
	s_delay_alu instid0(SALU_CYCLE_1)
	s_and_b32 s47, s48, exec_lo
.LBB53_221:                             ;   in Loop: Header=BB53_4 Depth=1
	s_or_b32 exec_lo, exec_lo, s46
	s_delay_alu instid0(SALU_CYCLE_1)
	s_and_b32 s46, s47, exec_lo
.LBB53_222:                             ;   in Loop: Header=BB53_4 Depth=1
	s_or_b32 exec_lo, exec_lo, s45
	s_delay_alu instid0(SALU_CYCLE_1)
	s_and_b32 s45, s46, exec_lo
.LBB53_223:                             ;   in Loop: Header=BB53_4 Depth=1
	s_or_b32 exec_lo, exec_lo, s44
	s_delay_alu instid0(SALU_CYCLE_1)
	s_and_b32 s44, s45, exec_lo
.LBB53_224:                             ;   in Loop: Header=BB53_4 Depth=1
	s_or_b32 exec_lo, exec_lo, s43
	s_delay_alu instid0(SALU_CYCLE_1)
	s_and_b32 s43, s44, exec_lo
.LBB53_225:                             ;   in Loop: Header=BB53_4 Depth=1
	s_or_b32 exec_lo, exec_lo, s42
	s_delay_alu instid0(SALU_CYCLE_1)
	s_and_b32 s42, s43, exec_lo
.LBB53_226:                             ;   in Loop: Header=BB53_4 Depth=1
	s_or_b32 exec_lo, exec_lo, s41
	s_delay_alu instid0(SALU_CYCLE_1)
	s_and_b32 s41, s42, exec_lo
.LBB53_227:                             ;   in Loop: Header=BB53_4 Depth=1
	s_or_b32 exec_lo, exec_lo, s40
	s_delay_alu instid0(SALU_CYCLE_1)
	s_and_b32 s40, s41, exec_lo
.LBB53_228:                             ;   in Loop: Header=BB53_4 Depth=1
	s_or_b32 exec_lo, exec_lo, s39
	s_delay_alu instid0(SALU_CYCLE_1)
	s_and_b32 s39, s40, exec_lo
.LBB53_229:                             ;   in Loop: Header=BB53_4 Depth=1
	s_or_b32 exec_lo, exec_lo, s38
	s_delay_alu instid0(SALU_CYCLE_1)
	s_and_b32 s38, s39, exec_lo
.LBB53_230:                             ;   in Loop: Header=BB53_4 Depth=1
	s_or_b32 exec_lo, exec_lo, s37
	s_delay_alu instid0(SALU_CYCLE_1)
	s_and_b32 s37, s38, exec_lo
.LBB53_231:                             ;   in Loop: Header=BB53_4 Depth=1
	s_or_b32 exec_lo, exec_lo, s36
	s_delay_alu instid0(SALU_CYCLE_1)
	s_and_b32 s36, s37, exec_lo
.LBB53_232:                             ;   in Loop: Header=BB53_4 Depth=1
	s_or_b32 exec_lo, exec_lo, s35
	s_delay_alu instid0(SALU_CYCLE_1)
	s_and_b32 s35, s36, exec_lo
.LBB53_233:                             ;   in Loop: Header=BB53_4 Depth=1
	s_or_b32 exec_lo, exec_lo, s34
	s_delay_alu instid0(SALU_CYCLE_1)
	s_and_b32 s34, s35, exec_lo
.LBB53_234:                             ;   in Loop: Header=BB53_4 Depth=1
	s_or_b32 exec_lo, exec_lo, s33
	s_delay_alu instid0(SALU_CYCLE_1)
	s_and_b32 s33, s34, exec_lo
.LBB53_235:                             ;   in Loop: Header=BB53_4 Depth=1
	s_or_b32 exec_lo, exec_lo, s31
	s_delay_alu instid0(SALU_CYCLE_1)
	s_and_b32 s31, s33, exec_lo
.LBB53_236:                             ;   in Loop: Header=BB53_4 Depth=1
	s_or_b32 exec_lo, exec_lo, s30
	s_delay_alu instid0(SALU_CYCLE_1)
	s_and_b32 s30, s31, exec_lo
.LBB53_237:                             ;   in Loop: Header=BB53_4 Depth=1
	s_or_b32 exec_lo, exec_lo, s29
	s_delay_alu instid0(SALU_CYCLE_1)
	s_and_b32 s29, s30, exec_lo
.LBB53_238:                             ;   in Loop: Header=BB53_4 Depth=1
	s_or_b32 exec_lo, exec_lo, s28
	s_delay_alu instid0(SALU_CYCLE_1)
	s_and_b32 s28, s29, exec_lo
.LBB53_239:                             ;   in Loop: Header=BB53_4 Depth=1
	s_or_b32 exec_lo, exec_lo, s27
	s_delay_alu instid0(SALU_CYCLE_1)
	s_and_b32 s27, s28, exec_lo
.LBB53_240:                             ;   in Loop: Header=BB53_4 Depth=1
	s_or_b32 exec_lo, exec_lo, s26
	s_delay_alu instid0(SALU_CYCLE_1)
	s_and_b32 s26, s27, exec_lo
.LBB53_241:                             ;   in Loop: Header=BB53_4 Depth=1
	s_or_b32 exec_lo, exec_lo, s25
	s_delay_alu instid0(SALU_CYCLE_1)
	s_and_b32 s25, s26, exec_lo
.LBB53_242:                             ;   in Loop: Header=BB53_4 Depth=1
	s_or_b32 exec_lo, exec_lo, s24
	s_delay_alu instid0(SALU_CYCLE_1)
	s_and_b32 s24, s25, exec_lo
.LBB53_243:                             ;   in Loop: Header=BB53_4 Depth=1
	s_or_b32 exec_lo, exec_lo, s23
	s_delay_alu instid0(SALU_CYCLE_1)
	s_and_b32 s23, s24, exec_lo
.LBB53_244:                             ;   in Loop: Header=BB53_4 Depth=1
	s_or_b32 exec_lo, exec_lo, s22
	s_delay_alu instid0(SALU_CYCLE_1)
	s_and_b32 s22, s23, exec_lo
.LBB53_245:                             ;   in Loop: Header=BB53_4 Depth=1
	s_or_b32 exec_lo, exec_lo, s21
	s_delay_alu instid0(SALU_CYCLE_1)
	s_and_b32 s21, s22, exec_lo
.LBB53_246:                             ;   in Loop: Header=BB53_4 Depth=1
	s_or_b32 exec_lo, exec_lo, s20
	s_delay_alu instid0(SALU_CYCLE_1)
	s_and_b32 s20, s21, exec_lo
.LBB53_247:                             ;   in Loop: Header=BB53_4 Depth=1
	s_or_b32 exec_lo, exec_lo, s19
	s_delay_alu instid0(SALU_CYCLE_1)
	s_and_b32 s19, s20, exec_lo
.LBB53_248:                             ;   in Loop: Header=BB53_4 Depth=1
	s_or_b32 exec_lo, exec_lo, s18
	s_delay_alu instid0(SALU_CYCLE_1)
	s_and_b32 s18, s19, exec_lo
.LBB53_249:                             ;   in Loop: Header=BB53_4 Depth=1
	s_or_b32 exec_lo, exec_lo, s17
	s_delay_alu instid0(SALU_CYCLE_1)
	s_and_b32 s17, s18, exec_lo
.LBB53_250:                             ;   in Loop: Header=BB53_4 Depth=1
	s_or_b32 exec_lo, exec_lo, s16
	s_delay_alu instid0(SALU_CYCLE_1)
	s_and_b32 s16, s17, exec_lo
.LBB53_251:                             ;   in Loop: Header=BB53_4 Depth=1
	s_or_b32 exec_lo, exec_lo, s15
	s_delay_alu instid0(SALU_CYCLE_1)
	s_and_b32 s15, s16, exec_lo
.LBB53_252:                             ;   in Loop: Header=BB53_4 Depth=1
	s_or_b32 exec_lo, exec_lo, s14
	s_delay_alu instid0(SALU_CYCLE_1)
	s_and_b32 s14, s15, exec_lo
.LBB53_253:                             ;   in Loop: Header=BB53_4 Depth=1
	s_or_b32 exec_lo, exec_lo, s13
	s_delay_alu instid0(SALU_CYCLE_1)
	s_and_b32 s13, s14, exec_lo
.LBB53_254:                             ;   in Loop: Header=BB53_4 Depth=1
	s_or_b32 exec_lo, exec_lo, s12
	s_delay_alu instid0(SALU_CYCLE_1)
	s_and_b32 s12, s13, exec_lo
.LBB53_255:                             ;   in Loop: Header=BB53_4 Depth=1
	s_wait_alu 0xfffe
	s_or_b32 exec_lo, exec_lo, s11
	s_delay_alu instid0(SALU_CYCLE_1)
	s_and_b32 s11, s12, exec_lo
.LBB53_256:                             ;   in Loop: Header=BB53_4 Depth=1
	s_wait_alu 0xfffe
	s_or_b32 exec_lo, exec_lo, s10
	s_delay_alu instid0(SALU_CYCLE_1)
	s_and_b32 s10, s11, exec_lo
.LBB53_257:                             ;   in Loop: Header=BB53_4 Depth=1
	s_wait_alu 0xfffe
	s_or_b32 exec_lo, exec_lo, s9
	v_cndmask_b32_e64 v1, 0, 1, s10
	s_mov_b32 s11, exec_lo
	s_delay_alu instid0(VALU_DEP_1)
	v_cmp_ne_u32_e32 vcc_lo, 0, v1
	s_and_saveexec_b32 s9, s0
	s_cbranch_execz .LBB53_3
; %bb.258:                              ;   in Loop: Header=BB53_4 Depth=1
	s_wait_alu 0xfffe
	s_cmp_eq_u32 vcc_lo, s11
	s_cselect_b32 s10, -1, 0
	s_wait_alu 0xfffe
	v_cndmask_b32_e64 v1, 0, 1, s10
	ds_store_b32 v5, v1
	s_branch .LBB53_3
.LBB53_259:                             ;   in Loop: Header=BB53_4 Depth=1
	s_cbranch_execz .LBB53_4
.LBB53_260:
	s_mov_b32 s0, exec_lo
	v_cmpx_eq_u32_e32 0, v0
	s_cbranch_execz .LBB53_262
; %bb.261:
	s_mul_i32 s0, s1, ttmp7
	v_dual_mov_b32 v0, 0 :: v_dual_mov_b32 v1, s4
	s_add_co_i32 s0, s0, ttmp9
	s_delay_alu instid0(SALU_CYCLE_1) | instskip(NEXT) | instid1(SALU_CYCLE_1)
	s_ashr_i32 s1, s0, 31
	s_lshl_b64 s[0:1], s[0:1], 2
	s_delay_alu instid0(SALU_CYCLE_1)
	s_add_nc_u64 s[0:1], s[2:3], s[0:1]
	global_store_b32 v0, v1, s[0:1]
.LBB53_262:
	s_endpgm
	.section	.rodata,"a",@progbits
	.p2align	6, 0x0
	.amdhsa_kernel _ZL25flash_attn_mask_to_KV_maxILi64EEvPK7__half2Piiii
		.amdhsa_group_segment_fixed_size 128
		.amdhsa_private_segment_fixed_size 0
		.amdhsa_kernarg_size 288
		.amdhsa_user_sgpr_count 2
		.amdhsa_user_sgpr_dispatch_ptr 0
		.amdhsa_user_sgpr_queue_ptr 0
		.amdhsa_user_sgpr_kernarg_segment_ptr 1
		.amdhsa_user_sgpr_dispatch_id 0
		.amdhsa_user_sgpr_private_segment_size 0
		.amdhsa_wavefront_size32 1
		.amdhsa_uses_dynamic_stack 0
		.amdhsa_enable_private_segment 0
		.amdhsa_system_sgpr_workgroup_id_x 1
		.amdhsa_system_sgpr_workgroup_id_y 1
		.amdhsa_system_sgpr_workgroup_id_z 0
		.amdhsa_system_sgpr_workgroup_info 0
		.amdhsa_system_vgpr_workitem_id 0
		.amdhsa_next_free_vgpr 10
		.amdhsa_next_free_sgpr 105
		.amdhsa_reserve_vcc 1
		.amdhsa_float_round_mode_32 0
		.amdhsa_float_round_mode_16_64 0
		.amdhsa_float_denorm_mode_32 3
		.amdhsa_float_denorm_mode_16_64 3
		.amdhsa_fp16_overflow 0
		.amdhsa_workgroup_processor_mode 1
		.amdhsa_memory_ordered 1
		.amdhsa_forward_progress 1
		.amdhsa_inst_pref_size 78
		.amdhsa_round_robin_scheduling 0
		.amdhsa_exception_fp_ieee_invalid_op 0
		.amdhsa_exception_fp_denorm_src 0
		.amdhsa_exception_fp_ieee_div_zero 0
		.amdhsa_exception_fp_ieee_overflow 0
		.amdhsa_exception_fp_ieee_underflow 0
		.amdhsa_exception_fp_ieee_inexact 0
		.amdhsa_exception_int_div_zero 0
	.end_amdhsa_kernel
	.section	.text._ZL25flash_attn_mask_to_KV_maxILi64EEvPK7__half2Piiii,"axG",@progbits,_ZL25flash_attn_mask_to_KV_maxILi64EEvPK7__half2Piiii,comdat
.Lfunc_end53:
	.size	_ZL25flash_attn_mask_to_KV_maxILi64EEvPK7__half2Piiii, .Lfunc_end53-_ZL25flash_attn_mask_to_KV_maxILi64EEvPK7__half2Piiii
                                        ; -- End function
	.set _ZL25flash_attn_mask_to_KV_maxILi64EEvPK7__half2Piiii.num_vgpr, 10
	.set _ZL25flash_attn_mask_to_KV_maxILi64EEvPK7__half2Piiii.num_agpr, 0
	.set _ZL25flash_attn_mask_to_KV_maxILi64EEvPK7__half2Piiii.numbered_sgpr, 105
	.set _ZL25flash_attn_mask_to_KV_maxILi64EEvPK7__half2Piiii.num_named_barrier, 0
	.set _ZL25flash_attn_mask_to_KV_maxILi64EEvPK7__half2Piiii.private_seg_size, 0
	.set _ZL25flash_attn_mask_to_KV_maxILi64EEvPK7__half2Piiii.uses_vcc, 1
	.set _ZL25flash_attn_mask_to_KV_maxILi64EEvPK7__half2Piiii.uses_flat_scratch, 0
	.set _ZL25flash_attn_mask_to_KV_maxILi64EEvPK7__half2Piiii.has_dyn_sized_stack, 0
	.set _ZL25flash_attn_mask_to_KV_maxILi64EEvPK7__half2Piiii.has_recursion, 0
	.set _ZL25flash_attn_mask_to_KV_maxILi64EEvPK7__half2Piiii.has_indirect_call, 0
	.section	.AMDGPU.csdata,"",@progbits
; Kernel info:
; codeLenInByte = 9908
; TotalNumSgprs: 107
; NumVgprs: 10
; ScratchSize: 0
; MemoryBound: 0
; FloatMode: 240
; IeeeMode: 1
; LDSByteSize: 128 bytes/workgroup (compile time only)
; SGPRBlocks: 0
; VGPRBlocks: 1
; NumSGPRsForWavesPerEU: 107
; NumVGPRsForWavesPerEU: 10
; Occupancy: 16
; WaveLimiterHint : 0
; COMPUTE_PGM_RSRC2:SCRATCH_EN: 0
; COMPUTE_PGM_RSRC2:USER_SGPR: 2
; COMPUTE_PGM_RSRC2:TRAP_HANDLER: 0
; COMPUTE_PGM_RSRC2:TGID_X_EN: 1
; COMPUTE_PGM_RSRC2:TGID_Y_EN: 1
; COMPUTE_PGM_RSRC2:TGID_Z_EN: 0
; COMPUTE_PGM_RSRC2:TIDIG_COMP_CNT: 0
	.section	.text._ZL33flash_attn_stream_k_fixup_uniformILi128ELi64ELi1EEvPfPK15HIP_vector_typeIfLj2EEiiiiiiS1_IjLj3EES5_S5_,"axG",@progbits,_ZL33flash_attn_stream_k_fixup_uniformILi128ELi64ELi1EEvPfPK15HIP_vector_typeIfLj2EEiiiiiiS1_IjLj3EES5_S5_,comdat
	.globl	_ZL33flash_attn_stream_k_fixup_uniformILi128ELi64ELi1EEvPfPK15HIP_vector_typeIfLj2EEiiiiiiS1_IjLj3EES5_S5_ ; -- Begin function _ZL33flash_attn_stream_k_fixup_uniformILi128ELi64ELi1EEvPfPK15HIP_vector_typeIfLj2EEiiiiiiS1_IjLj3EES5_S5_
	.p2align	8
	.type	_ZL33flash_attn_stream_k_fixup_uniformILi128ELi64ELi1EEvPfPK15HIP_vector_typeIfLj2EEiiiiiiS1_IjLj3EES5_S5_,@function
_ZL33flash_attn_stream_k_fixup_uniformILi128ELi64ELi1EEvPfPK15HIP_vector_typeIfLj2EEiiiiiiS1_IjLj3EES5_S5_: ; @_ZL33flash_attn_stream_k_fixup_uniformILi128ELi64ELi1EEvPfPK15HIP_vector_typeIfLj2EEiiiiiiS1_IjLj3EES5_S5_
; %bb.0:
	s_clause 0x1
	s_load_b256 s[4:11], s[0:1], 0x1c
	s_load_b128 s[12:15], s[0:1], 0x3c
	s_wait_kmcnt 0x0
	s_mul_hi_u32 s2, s7, ttmp9
	s_delay_alu instid0(SALU_CYCLE_1) | instskip(NEXT) | instid1(SALU_CYCLE_1)
	s_add_co_i32 s2, ttmp9, s2
	s_lshr_b32 s2, s2, s8
	s_delay_alu instid0(SALU_CYCLE_1) | instskip(SKIP_2) | instid1(SALU_CYCLE_1)
	s_mul_i32 s3, s2, s9
	s_load_b64 s[8:9], s[0:1], 0x10
	s_sub_co_i32 s7, ttmp9, s3
	s_mul_hi_u32 s3, s7, s10
	s_delay_alu instid0(SALU_CYCLE_1) | instskip(NEXT) | instid1(SALU_CYCLE_1)
	s_add_co_i32 s3, s7, s3
	s_lshr_b32 s3, s3, s11
	s_delay_alu instid0(SALU_CYCLE_1) | instskip(NEXT) | instid1(SALU_CYCLE_1)
	s_mul_i32 s10, s3, s12
	s_sub_co_i32 s7, s7, s10
	s_delay_alu instid0(SALU_CYCLE_1) | instskip(NEXT) | instid1(SALU_CYCLE_1)
	s_mul_hi_u32 s10, s7, s13
	s_add_co_i32 s10, s7, s10
	s_delay_alu instid0(SALU_CYCLE_1) | instskip(NEXT) | instid1(SALU_CYCLE_1)
	s_lshr_b32 s11, s10, s14
	s_mul_i32 s10, s11, s15
	s_delay_alu instid0(SALU_CYCLE_1) | instskip(SKIP_2) | instid1(SALU_CYCLE_1)
	s_sub_co_i32 s12, s7, s10
	s_and_b32 s7, ttmp7, 0xffff
	s_lshl_b32 s10, s12, 6
	s_add_co_i32 s13, s10, s7
	s_lshr_b32 s10, ttmp7, 16
	s_wait_kmcnt 0x0
	s_cmp_lt_i32 s13, s8
	s_cselect_b32 s13, -1, 0
	s_add_co_i32 s14, s11, s10
	s_delay_alu instid0(SALU_CYCLE_1) | instskip(SKIP_1) | instid1(SALU_CYCLE_1)
	s_cmp_lt_i32 s14, s5
	s_cselect_b32 s14, -1, 0
	s_and_b32 s13, s13, s14
	s_delay_alu instid0(SALU_CYCLE_1)
	s_and_not1_b32 vcc_lo, exec_lo, s13
	s_cbranch_vccnz .LBB54_6
; %bb.1:
	s_mul_i32 s2, s2, s8
	s_mul_i32 s5, s3, s5
	s_add_co_i32 s2, s2, s7
	s_delay_alu instid0(SALU_CYCLE_1) | instskip(NEXT) | instid1(SALU_CYCLE_1)
	s_mul_i32 s2, s2, s9
	s_add_co_i32 s8, s2, s10
	s_load_b128 s[0:3], s[0:1], 0x0
	s_add_co_i32 s5, s8, s5
	s_mul_i32 s8, s9, s12
	s_add_co_i32 s5, s5, s11
	s_lshl_b32 s8, s8, 13
	s_lshl_b32 s5, s5, 7
	s_add_co_i32 s9, s7, s10
	s_add_co_i32 s8, s8, s5
	s_delay_alu instid0(SALU_CYCLE_1) | instskip(SKIP_3) | instid1(SALU_CYCLE_1)
	v_or_b32_e32 v1, s8, v0
	s_mul_i32 s8, s6, ttmp9
	s_wait_alu 0xfffe
	s_add_co_i32 s5, s8, s6
	s_add_co_i32 s7, s5, -2
	v_ashrrev_i32_e32 v2, 31, v1
	s_delay_alu instid0(VALU_DEP_1) | instskip(SKIP_1) | instid1(VALU_DEP_1)
	v_lshlrev_b64_e32 v[1:2], 2, v[1:2]
	s_wait_kmcnt 0x0
	v_add_co_u32 v1, vcc_lo, s0, v1
	s_delay_alu instid0(VALU_DEP_1)
	v_add_co_ci_u32_e64 v2, null, s1, v2, vcc_lo
	s_lshl_b32 s0, s5, 6
	s_wait_alu 0xfffe
	s_add_co_i32 s0, s9, s0
	global_load_b32 v5, v[1:2], off
	s_wait_alu 0xfffe
	s_sub_co_i32 s0, s0, 64
	s_wait_alu 0xfffe
	s_ashr_i32 s1, s0, 31
	s_wait_alu 0xfffe
	s_lshl_b64 s[0:1], s[0:1], 3
	s_cmp_lt_i32 s7, s8
	s_wait_alu 0xfffe
	s_add_nc_u64 s[0:1], s[2:3], s[0:1]
	s_load_b32 s10, s[0:1], 0x4
	s_cbranch_scc1 .LBB54_4
; %bb.2:
	s_load_b32 s0, s[0:1], 0x0
	s_add_co_i32 s7, ttmp9, 1
	s_wait_kmcnt 0x0
	v_mov_b32_e32 v6, s10
	s_mul_i32 s1, s6, s7
	s_lshl_b32 s7, s9, 7
	s_wait_alu 0xfffe
	s_lshl_b32 s11, s1, 13
	s_lshl_b32 s6, s4, 8
	s_wait_alu 0xfffe
	s_add_co_i32 s11, s7, s11
	s_lshl_b32 s1, s1, 6
	s_wait_alu 0xfffe
	v_or_b32_e32 v0, s11, v0
	s_ashr_i32 s7, s6, 31
	s_add_co_i32 s1, s9, s1
	s_lshl_b32 s4, s4, 6
	s_lshl_b64 s[6:7], s[6:7], 2
	v_add_nc_u32_e32 v3, 0xffffc000, v0
	s_wait_alu 0xfffe
	s_add_co_i32 s4, s1, s4
	s_add_nc_u64 s[6:7], s[2:3], s[6:7]
	s_add_co_i32 s1, s5, -1
	s_addk_co_i32 s4, 0xff80
.LBB54_3:                               ; =>This Inner Loop Header: Depth=1
	v_ashrrev_i32_e32 v4, 31, v3
	s_ashr_i32 s5, s4, 31
	v_mov_b32_e32 v10, v6
	s_lshl_b64 s[10:11], s[4:5], 3
	s_wait_loadcnt 0x0
	v_mov_b32_e32 v9, v5
	v_lshlrev_b64_e32 v[7:8], 2, v[3:4]
	s_wait_alu 0xfffe
	s_add_nc_u64 s[10:11], s[2:3], s[10:11]
	v_max_num_f32_e64 v4, s0, s0
	s_load_b64 s[10:11], s[10:11], 0x0
	v_add_nc_u32_e32 v3, 0xffffe000, v3
	v_add_co_u32 v7, vcc_lo, s6, v7
	s_wait_alu 0xfffd
	v_add_co_ci_u32_e64 v8, null, s7, v8, vcc_lo
	v_readfirstlane_b32 s5, v4
	global_load_b32 v0, v[7:8], off
	s_wait_kmcnt 0x0
	v_max_num_f32_e64 v4, s10, s10
	s_delay_alu instid0(VALU_DEP_1) | instskip(SKIP_1) | instid1(SALU_CYCLE_3)
	v_readfirstlane_b32 s9, v4
	s_max_num_f32 s5, s5, s9
	s_sub_f32 s0, s0, s5
	s_sub_f32 s9, s10, s5
	s_wait_alu 0xfffe
	s_delay_alu instid0(SALU_CYCLE_1) | instskip(NEXT) | instid1(SALU_CYCLE_1)
	s_mul_f32 s10, s0, 0x3fb8aa3b
	s_mul_f32 s12, s9, 0x3fb8aa3b
	s_wait_alu 0xfffe
	s_delay_alu instid0(SALU_CYCLE_1)
	s_xor_b32 s13, s10, 0x80000000
	s_rndne_f32 s14, s10
	s_fmamk_f32 s13, s0, 0x3fb8aa3b, s13
	s_cmp_nlt_f32 s0, 0xc2ce8ed0
	s_rndne_f32 s15, s12
	s_wait_alu 0xfffe
	s_sub_f32 s10, s10, s14
	s_fmamk_f32 s13, s0, 0x32a5705f, s13
	s_cvt_i32_f32 s14, s14
	s_cselect_b32 vcc_lo, -1, 0
	s_cmp_ngt_f32 s0, 0x42b17218
	s_wait_alu 0xfffe
	s_add_f32 s10, s10, s13
	s_sub_f32 s13, s12, s15
	s_wait_alu 0xfffe
	s_delay_alu instid0(SALU_CYCLE_1) | instskip(SKIP_1) | instid1(TRANS32_DEP_1)
	v_s_exp_f32 s10, s10
	s_wait_alu 0xf1ff
	v_ldexp_f32 v4, s10, s14
	s_cvt_i32_f32 s10, s15
	s_delay_alu instid0(VALU_DEP_1) | instskip(SKIP_3) | instid1(VALU_DEP_1)
	v_cndmask_b32_e32 v4, 0, v4, vcc_lo
	s_cselect_b32 vcc_lo, -1, 0
	s_cmp_ge_f32 s0, 0xc1a00000
	s_wait_alu 0xfffe
	v_cndmask_b32_e32 v4, 0x7f800000, v4, vcc_lo
	s_cselect_b32 vcc_lo, -1, 0
	s_xor_b32 s0, s12, 0x80000000
	s_cmp_nlt_f32 s9, 0xc2ce8ed0
	s_wait_alu 0xfffe
	s_fmamk_f32 s0, s9, 0x3fb8aa3b, s0
	s_wait_alu 0xfffe
	s_delay_alu instid0(SALU_CYCLE_2) | instskip(SKIP_1) | instid1(SALU_CYCLE_2)
	s_fmamk_f32 s0, s9, 0x32a5705f, s0
	s_wait_alu 0xfffe
	s_add_f32 s0, s13, s0
	s_wait_alu 0xfffe
	s_delay_alu instid0(SALU_CYCLE_2) | instskip(SKIP_1) | instid1(TRANS32_DEP_1)
	v_s_exp_f32 s0, s0
	s_wait_alu 0xf1ff
	v_ldexp_f32 v7, s0, s10
	s_cselect_b32 s0, -1, 0
	s_cmp_ngt_f32 s9, 0x42b17218
	s_wait_alu 0xfffe
	s_delay_alu instid0(VALU_DEP_1) | instskip(SKIP_3) | instid1(VALU_DEP_1)
	v_cndmask_b32_e64 v7, 0, v7, s0
	s_cselect_b32 s0, -1, 0
	s_cmp_ge_f32 s9, 0xc1a00000
	s_wait_alu 0xfffe
	v_cndmask_b32_e64 v7, 0x7f800000, v7, s0
	s_cselect_b32 s0, -1, 0
	s_add_co_i32 s1, s1, -1
	s_sub_co_i32 s4, s4, 64
	s_wait_alu 0xfffe
	s_cmp_le_i32 s1, s8
	v_cndmask_b32_e64 v7, 0, v7, s0
	s_mov_b32 s0, s5
	s_wait_loadcnt 0x0
	s_delay_alu instid0(VALU_DEP_1) | instskip(NEXT) | instid1(VALU_DEP_1)
	v_dual_mul_f32 v5, v0, v7 :: v_dual_cndmask_b32 v4, 0, v4
	v_dual_mul_f32 v8, s11, v7 :: v_dual_fmac_f32 v5, v9, v4
	s_delay_alu instid0(VALU_DEP_1) | instskip(NEXT) | instid1(VALU_DEP_1)
	v_mov_b32_e32 v6, v8
	v_fmac_f32_e32 v6, v10, v4
	s_cbranch_scc0 .LBB54_3
	s_branch .LBB54_5
.LBB54_4:
	s_wait_kmcnt 0x0
	v_mov_b32_e32 v6, s10
.LBB54_5:
	s_wait_loadcnt 0x0
	s_delay_alu instid0(VALU_DEP_1) | instskip(NEXT) | instid1(VALU_DEP_1)
	v_div_scale_f32 v0, null, v6, v6, v5
	v_rcp_f32_e32 v3, v0
	s_delay_alu instid0(TRANS32_DEP_1) | instskip(NEXT) | instid1(VALU_DEP_1)
	v_fma_f32 v4, -v0, v3, 1.0
	v_fmac_f32_e32 v3, v4, v3
	v_div_scale_f32 v4, vcc_lo, v5, v6, v5
	s_delay_alu instid0(VALU_DEP_1) | instskip(NEXT) | instid1(VALU_DEP_1)
	v_mul_f32_e32 v7, v4, v3
	v_fma_f32 v8, -v0, v7, v4
	s_delay_alu instid0(VALU_DEP_1) | instskip(NEXT) | instid1(VALU_DEP_1)
	v_fmac_f32_e32 v7, v8, v3
	v_fma_f32 v0, -v0, v7, v4
	s_wait_alu 0xfffd
	s_delay_alu instid0(VALU_DEP_1) | instskip(NEXT) | instid1(VALU_DEP_1)
	v_div_fmas_f32 v0, v0, v3, v7
	v_div_fixup_f32 v0, v0, v6, v5
	global_store_b32 v[1:2], v0, off
.LBB54_6:
	s_endpgm
	.section	.rodata,"a",@progbits
	.p2align	6, 0x0
	.amdhsa_kernel _ZL33flash_attn_stream_k_fixup_uniformILi128ELi64ELi1EEvPfPK15HIP_vector_typeIfLj2EEiiiiiiS1_IjLj3EES5_S5_
		.amdhsa_group_segment_fixed_size 0
		.amdhsa_private_segment_fixed_size 0
		.amdhsa_kernarg_size 76
		.amdhsa_user_sgpr_count 2
		.amdhsa_user_sgpr_dispatch_ptr 0
		.amdhsa_user_sgpr_queue_ptr 0
		.amdhsa_user_sgpr_kernarg_segment_ptr 1
		.amdhsa_user_sgpr_dispatch_id 0
		.amdhsa_user_sgpr_private_segment_size 0
		.amdhsa_wavefront_size32 1
		.amdhsa_uses_dynamic_stack 0
		.amdhsa_enable_private_segment 0
		.amdhsa_system_sgpr_workgroup_id_x 1
		.amdhsa_system_sgpr_workgroup_id_y 1
		.amdhsa_system_sgpr_workgroup_id_z 1
		.amdhsa_system_sgpr_workgroup_info 0
		.amdhsa_system_vgpr_workitem_id 0
		.amdhsa_next_free_vgpr 11
		.amdhsa_next_free_sgpr 16
		.amdhsa_reserve_vcc 1
		.amdhsa_float_round_mode_32 0
		.amdhsa_float_round_mode_16_64 0
		.amdhsa_float_denorm_mode_32 3
		.amdhsa_float_denorm_mode_16_64 3
		.amdhsa_fp16_overflow 0
		.amdhsa_workgroup_processor_mode 1
		.amdhsa_memory_ordered 1
		.amdhsa_forward_progress 1
		.amdhsa_inst_pref_size 9
		.amdhsa_round_robin_scheduling 0
		.amdhsa_exception_fp_ieee_invalid_op 0
		.amdhsa_exception_fp_denorm_src 0
		.amdhsa_exception_fp_ieee_div_zero 0
		.amdhsa_exception_fp_ieee_overflow 0
		.amdhsa_exception_fp_ieee_underflow 0
		.amdhsa_exception_fp_ieee_inexact 0
		.amdhsa_exception_int_div_zero 0
	.end_amdhsa_kernel
	.section	.text._ZL33flash_attn_stream_k_fixup_uniformILi128ELi64ELi1EEvPfPK15HIP_vector_typeIfLj2EEiiiiiiS1_IjLj3EES5_S5_,"axG",@progbits,_ZL33flash_attn_stream_k_fixup_uniformILi128ELi64ELi1EEvPfPK15HIP_vector_typeIfLj2EEiiiiiiS1_IjLj3EES5_S5_,comdat
.Lfunc_end54:
	.size	_ZL33flash_attn_stream_k_fixup_uniformILi128ELi64ELi1EEvPfPK15HIP_vector_typeIfLj2EEiiiiiiS1_IjLj3EES5_S5_, .Lfunc_end54-_ZL33flash_attn_stream_k_fixup_uniformILi128ELi64ELi1EEvPfPK15HIP_vector_typeIfLj2EEiiiiiiS1_IjLj3EES5_S5_
                                        ; -- End function
	.set _ZL33flash_attn_stream_k_fixup_uniformILi128ELi64ELi1EEvPfPK15HIP_vector_typeIfLj2EEiiiiiiS1_IjLj3EES5_S5_.num_vgpr, 11
	.set _ZL33flash_attn_stream_k_fixup_uniformILi128ELi64ELi1EEvPfPK15HIP_vector_typeIfLj2EEiiiiiiS1_IjLj3EES5_S5_.num_agpr, 0
	.set _ZL33flash_attn_stream_k_fixup_uniformILi128ELi64ELi1EEvPfPK15HIP_vector_typeIfLj2EEiiiiiiS1_IjLj3EES5_S5_.numbered_sgpr, 16
	.set _ZL33flash_attn_stream_k_fixup_uniformILi128ELi64ELi1EEvPfPK15HIP_vector_typeIfLj2EEiiiiiiS1_IjLj3EES5_S5_.num_named_barrier, 0
	.set _ZL33flash_attn_stream_k_fixup_uniformILi128ELi64ELi1EEvPfPK15HIP_vector_typeIfLj2EEiiiiiiS1_IjLj3EES5_S5_.private_seg_size, 0
	.set _ZL33flash_attn_stream_k_fixup_uniformILi128ELi64ELi1EEvPfPK15HIP_vector_typeIfLj2EEiiiiiiS1_IjLj3EES5_S5_.uses_vcc, 1
	.set _ZL33flash_attn_stream_k_fixup_uniformILi128ELi64ELi1EEvPfPK15HIP_vector_typeIfLj2EEiiiiiiS1_IjLj3EES5_S5_.uses_flat_scratch, 0
	.set _ZL33flash_attn_stream_k_fixup_uniformILi128ELi64ELi1EEvPfPK15HIP_vector_typeIfLj2EEiiiiiiS1_IjLj3EES5_S5_.has_dyn_sized_stack, 0
	.set _ZL33flash_attn_stream_k_fixup_uniformILi128ELi64ELi1EEvPfPK15HIP_vector_typeIfLj2EEiiiiiiS1_IjLj3EES5_S5_.has_recursion, 0
	.set _ZL33flash_attn_stream_k_fixup_uniformILi128ELi64ELi1EEvPfPK15HIP_vector_typeIfLj2EEiiiiiiS1_IjLj3EES5_S5_.has_indirect_call, 0
	.section	.AMDGPU.csdata,"",@progbits
; Kernel info:
; codeLenInByte = 1120
; TotalNumSgprs: 18
; NumVgprs: 11
; ScratchSize: 0
; MemoryBound: 0
; FloatMode: 240
; IeeeMode: 1
; LDSByteSize: 0 bytes/workgroup (compile time only)
; SGPRBlocks: 0
; VGPRBlocks: 1
; NumSGPRsForWavesPerEU: 18
; NumVGPRsForWavesPerEU: 11
; Occupancy: 16
; WaveLimiterHint : 0
; COMPUTE_PGM_RSRC2:SCRATCH_EN: 0
; COMPUTE_PGM_RSRC2:USER_SGPR: 2
; COMPUTE_PGM_RSRC2:TRAP_HANDLER: 0
; COMPUTE_PGM_RSRC2:TGID_X_EN: 1
; COMPUTE_PGM_RSRC2:TGID_Y_EN: 1
; COMPUTE_PGM_RSRC2:TGID_Z_EN: 1
; COMPUTE_PGM_RSRC2:TIDIG_COMP_CNT: 0
	.section	.text._ZL33flash_attn_stream_k_fixup_generalILi128ELi64ELi1EEvPfPK15HIP_vector_typeIfLj2EEiiiiS1_IjLj3EES5_S5_S5_,"axG",@progbits,_ZL33flash_attn_stream_k_fixup_generalILi128ELi64ELi1EEvPfPK15HIP_vector_typeIfLj2EEiiiiS1_IjLj3EES5_S5_S5_,comdat
	.globl	_ZL33flash_attn_stream_k_fixup_generalILi128ELi64ELi1EEvPfPK15HIP_vector_typeIfLj2EEiiiiS1_IjLj3EES5_S5_S5_ ; -- Begin function _ZL33flash_attn_stream_k_fixup_generalILi128ELi64ELi1EEvPfPK15HIP_vector_typeIfLj2EEiiiiS1_IjLj3EES5_S5_S5_
	.p2align	8
	.type	_ZL33flash_attn_stream_k_fixup_generalILi128ELi64ELi1EEvPfPK15HIP_vector_typeIfLj2EEiiiiS1_IjLj3EES5_S5_S5_,@function
_ZL33flash_attn_stream_k_fixup_generalILi128ELi64ELi1EEvPfPK15HIP_vector_typeIfLj2EEiiiiS1_IjLj3EES5_S5_S5_: ; @_ZL33flash_attn_stream_k_fixup_generalILi128ELi64ELi1EEvPfPK15HIP_vector_typeIfLj2EEiiiiS1_IjLj3EES5_S5_S5_
; %bb.0:
	s_clause 0x1
	s_load_b128 s[4:7], s[0:1], 0x10
	s_load_b32 s16, s[0:1], 0x50
	s_mov_b32 s2, ttmp9
	s_ashr_i32 s3, ttmp9, 31
	s_mov_b32 s17, 0
	s_delay_alu instid0(SALU_CYCLE_1) | instskip(SKIP_3) | instid1(SALU_CYCLE_1)
	s_mov_b32 s8, s17
	s_wait_kmcnt 0x0
	s_ashr_i32 s19, s7, 31
	s_mov_b32 s18, s7
	s_mul_u64 s[2:3], s[18:19], s[2:3]
	s_delay_alu instid0(SALU_CYCLE_1) | instskip(NEXT) | instid1(SALU_CYCLE_1)
	s_mov_b32 s9, s3
	s_cmp_lg_u64 s[8:9], 0
	s_cbranch_scc0 .LBB55_21
; %bb.1:
	s_add_nc_u64 s[8:9], s[16:17], 0
	s_mov_b32 s15, s17
	s_xor_b64 s[8:9], s[8:9], 0
	s_mov_b32 s23, s17
	s_cvt_f32_u32 s7, s8
	s_cvt_f32_u32 s10, s9
	s_sub_nc_u64 s[12:13], 0, s[8:9]
	s_delay_alu instid0(SALU_CYCLE_2) | instskip(NEXT) | instid1(SALU_CYCLE_3)
	s_fmamk_f32 s7, s10, 0x4f800000, s7
	v_s_rcp_f32 s7, s7
	s_delay_alu instid0(TRANS32_DEP_1) | instskip(SKIP_1) | instid1(SALU_CYCLE_2)
	s_mul_f32 s7, s7, 0x5f7ffffc
	s_wait_alu 0xfffe
	s_mul_f32 s10, s7, 0x2f800000
	s_delay_alu instid0(SALU_CYCLE_3) | instskip(NEXT) | instid1(SALU_CYCLE_3)
	s_trunc_f32 s10, s10
	s_fmamk_f32 s7, s10, 0xcf800000, s7
	s_cvt_u32_f32 s11, s10
	s_wait_alu 0xfffe
	s_delay_alu instid0(SALU_CYCLE_1) | instskip(NEXT) | instid1(SALU_CYCLE_3)
	s_cvt_u32_f32 s10, s7
	s_mul_u64 s[20:21], s[12:13], s[10:11]
	s_delay_alu instid0(SALU_CYCLE_1)
	s_mul_hi_u32 s25, s10, s21
	s_mul_i32 s24, s10, s21
	s_mul_hi_u32 s14, s10, s20
	s_mul_i32 s22, s11, s20
	s_add_nc_u64 s[14:15], s[14:15], s[24:25]
	s_mul_hi_u32 s7, s11, s20
	s_mul_hi_u32 s26, s11, s21
	s_add_co_u32 s14, s14, s22
	s_wait_alu 0xfffe
	s_add_co_ci_u32 s22, s15, s7
	s_mul_i32 s20, s11, s21
	s_add_co_ci_u32 s21, s26, 0
	s_delay_alu instid0(SALU_CYCLE_1)
	s_add_nc_u64 s[14:15], s[22:23], s[20:21]
	s_mov_b32 s21, s17
	s_add_co_u32 s10, s10, s14
	s_cselect_b32 s7, -1, 0
	s_wait_alu 0xfffe
	s_cmp_lg_u32 s7, 0
	s_add_co_ci_u32 s11, s11, s15
	s_mov_b32 s15, s17
	s_mul_u64 s[12:13], s[12:13], s[10:11]
	s_delay_alu instid0(SALU_CYCLE_1)
	s_mul_hi_u32 s23, s10, s13
	s_mul_i32 s22, s10, s13
	s_mul_hi_u32 s14, s10, s12
	s_mul_i32 s20, s11, s12
	s_add_nc_u64 s[14:15], s[14:15], s[22:23]
	s_mul_hi_u32 s7, s11, s12
	s_mul_hi_u32 s24, s11, s13
	s_mul_i32 s12, s11, s13
	s_add_co_u32 s13, s14, s20
	s_wait_alu 0xfffe
	s_add_co_ci_u32 s20, s15, s7
	s_add_co_ci_u32 s13, s24, 0
	s_mov_b32 s15, s17
	s_add_nc_u64 s[12:13], s[20:21], s[12:13]
	s_delay_alu instid0(SALU_CYCLE_1) | instskip(SKIP_1) | instid1(SALU_CYCLE_1)
	s_add_co_u32 s7, s10, s12
	s_cselect_b32 s10, -1, 0
	s_cmp_lg_u32 s10, 0
	s_add_co_ci_u32 s20, s11, s13
	s_ashr_i32 s10, s3, 31
	s_delay_alu instid0(SALU_CYCLE_1) | instskip(NEXT) | instid1(SALU_CYCLE_1)
	s_mov_b32 s11, s10
	s_add_nc_u64 s[12:13], s[2:3], s[10:11]
	s_delay_alu instid0(SALU_CYCLE_1) | instskip(NEXT) | instid1(SALU_CYCLE_1)
	s_xor_b64 s[12:13], s[12:13], s[10:11]
	s_mul_hi_u32 s23, s12, s20
	s_mul_i32 s22, s12, s20
	s_wait_alu 0xfffe
	s_mul_hi_u32 s14, s12, s7
	s_mul_hi_u32 s24, s13, s7
	s_mul_i32 s7, s13, s7
	s_add_nc_u64 s[14:15], s[14:15], s[22:23]
	s_mul_hi_u32 s3, s13, s20
	s_wait_alu 0xfffe
	s_add_co_u32 s7, s14, s7
	s_mul_i32 s22, s13, s20
	s_add_co_ci_u32 s20, s15, s24
	s_add_co_ci_u32 s23, s3, 0
	s_delay_alu instid0(SALU_CYCLE_1) | instskip(NEXT) | instid1(SALU_CYCLE_1)
	s_add_nc_u64 s[14:15], s[20:21], s[22:23]
	s_mul_u64 s[20:21], s[8:9], s[14:15]
	s_delay_alu instid0(SALU_CYCLE_1)
	s_sub_co_u32 s3, s12, s20
	s_cselect_b32 s7, -1, 0
	s_sub_co_i32 s12, s13, s21
	s_wait_alu 0xfffe
	s_cmp_lg_u32 s7, 0
	s_sub_co_ci_u32 s12, s12, s9
	s_sub_co_u32 s20, s3, s8
	s_cselect_b32 s22, -1, 0
	s_delay_alu instid0(SALU_CYCLE_1) | instskip(SKIP_2) | instid1(SALU_CYCLE_1)
	s_cmp_lg_u32 s22, 0
	s_add_nc_u64 s[22:23], s[14:15], 1
	s_sub_co_ci_u32 s12, s12, 0
	s_cmp_ge_u32 s12, s9
	s_cselect_b32 s24, -1, 0
	s_cmp_ge_u32 s20, s8
	s_cselect_b32 s20, -1, 0
	s_cmp_eq_u32 s12, s9
	s_cselect_b32 s12, s20, s24
	s_add_nc_u64 s[24:25], s[14:15], 2
	s_cmp_lg_u32 s12, 0
	s_cselect_b32 s12, s24, s22
	s_cselect_b32 s20, s25, s23
	s_cmp_lg_u32 s7, 0
	s_sub_co_ci_u32 s7, s13, s21
	s_wait_alu 0xfffe
	s_cmp_ge_u32 s7, s9
	s_cselect_b32 s13, -1, 0
	s_cmp_ge_u32 s3, s8
	s_cselect_b32 s3, -1, 0
	s_cmp_eq_u32 s7, s9
	s_cselect_b32 s3, s3, s13
	s_delay_alu instid0(SALU_CYCLE_1) | instskip(SKIP_4) | instid1(SALU_CYCLE_1)
	s_cmp_lg_u32 s3, 0
	s_mov_b32 s3, s17
	s_cselect_b32 s9, s20, s15
	s_cselect_b32 s8, s12, s14
	s_xor_b64 s[10:11], s[10:11], 0
	s_xor_b64 s[8:9], s[8:9], s[10:11]
	s_delay_alu instid0(SALU_CYCLE_1)
	s_sub_nc_u64 s[20:21], s[8:9], s[10:11]
	s_and_not1_b32 vcc_lo, exec_lo, s3
	s_cbranch_vccnz .LBB55_3
.LBB55_2:
	v_cvt_f32_u32_e32 v1, s16
	s_sub_co_i32 s7, 0, s16
	s_delay_alu instid0(VALU_DEP_1) | instskip(NEXT) | instid1(TRANS32_DEP_1)
	v_rcp_iflag_f32_e32 v1, v1
	v_mul_f32_e32 v1, 0x4f7ffffe, v1
	s_delay_alu instid0(VALU_DEP_1) | instskip(NEXT) | instid1(VALU_DEP_1)
	v_cvt_u32_f32_e32 v1, v1
	v_readfirstlane_b32 s3, v1
	s_wait_alu 0xfffe
	s_mul_i32 s7, s7, s3
	s_wait_alu 0xfffe
	s_mul_hi_u32 s7, s3, s7
	s_wait_alu 0xfffe
	s_add_co_i32 s3, s3, s7
	s_delay_alu instid0(SALU_CYCLE_1) | instskip(NEXT) | instid1(SALU_CYCLE_1)
	s_mul_hi_u32 s3, s2, s3
	s_mul_i32 s7, s3, s16
	s_wait_alu 0xfffe
	s_sub_co_i32 s2, s2, s7
	s_add_co_i32 s7, s3, 1
	s_sub_co_i32 s8, s2, s16
	s_cmp_ge_u32 s2, s16
	s_wait_alu 0xfffe
	s_cselect_b32 s3, s7, s3
	s_cselect_b32 s2, s8, s2
	s_add_co_i32 s7, s3, 1
	s_cmp_ge_u32 s2, s16
	s_wait_alu 0xfffe
	s_cselect_b32 s20, s7, s3
.LBB55_3:
	s_add_co_i32 s2, ttmp9, 1
	s_mov_b32 s8, 0
	s_ashr_i32 s3, s2, 31
	s_delay_alu instid0(SALU_CYCLE_1) | instskip(NEXT) | instid1(SALU_CYCLE_1)
	s_mul_u64 s[2:3], s[18:19], s[2:3]
	s_mov_b32 s9, s3
	s_delay_alu instid0(SALU_CYCLE_1)
	s_cmp_lg_u64 s[8:9], 0
	s_cbranch_scc0 .LBB55_22
; %bb.4:
	s_add_nc_u64 s[10:11], s[16:17], 0
	s_mov_b32 s23, s8
	s_xor_b64 s[10:11], s[10:11], 0
	s_mov_b32 s27, s8
	s_cvt_f32_u32 s7, s10
	s_cvt_f32_u32 s9, s11
	s_sub_nc_u64 s[14:15], 0, s[10:11]
	s_wait_alu 0xfffe
	s_delay_alu instid0(SALU_CYCLE_1) | instskip(SKIP_1) | instid1(SALU_CYCLE_2)
	s_fmamk_f32 s7, s9, 0x4f800000, s7
	s_wait_alu 0xfffe
	v_s_rcp_f32 s7, s7
	s_delay_alu instid0(TRANS32_DEP_1) | instskip(SKIP_1) | instid1(SALU_CYCLE_2)
	s_mul_f32 s7, s7, 0x5f7ffffc
	s_wait_alu 0xfffe
	s_mul_f32 s9, s7, 0x2f800000
	s_delay_alu instid0(SALU_CYCLE_3) | instskip(NEXT) | instid1(SALU_CYCLE_3)
	s_trunc_f32 s9, s9
	s_fmamk_f32 s7, s9, 0xcf800000, s7
	s_cvt_u32_f32 s13, s9
	s_wait_alu 0xfffe
	s_delay_alu instid0(SALU_CYCLE_1) | instskip(NEXT) | instid1(SALU_CYCLE_3)
	s_cvt_u32_f32 s12, s7
	s_mul_u64 s[24:25], s[14:15], s[12:13]
	s_delay_alu instid0(SALU_CYCLE_1)
	s_mul_hi_u32 s29, s12, s25
	s_mul_i32 s28, s12, s25
	s_mul_hi_u32 s22, s12, s24
	s_mul_i32 s9, s13, s24
	s_add_nc_u64 s[22:23], s[22:23], s[28:29]
	s_mul_hi_u32 s7, s13, s24
	s_mul_hi_u32 s21, s13, s25
	s_add_co_u32 s9, s22, s9
	s_wait_alu 0xfffe
	s_add_co_ci_u32 s26, s23, s7
	s_mul_i32 s24, s13, s25
	s_add_co_ci_u32 s25, s21, 0
	s_delay_alu instid0(SALU_CYCLE_1)
	s_add_nc_u64 s[22:23], s[26:27], s[24:25]
	s_mov_b32 s25, s8
	s_add_co_u32 s12, s12, s22
	s_cselect_b32 s7, -1, 0
	s_wait_alu 0xfffe
	s_cmp_lg_u32 s7, 0
	s_add_co_ci_u32 s13, s13, s23
	s_mov_b32 s23, s8
	s_mul_u64 s[14:15], s[14:15], s[12:13]
	s_delay_alu instid0(SALU_CYCLE_1)
	s_mul_hi_u32 s27, s12, s15
	s_mul_i32 s26, s12, s15
	s_mul_hi_u32 s22, s12, s14
	s_mul_i32 s9, s13, s14
	s_add_nc_u64 s[22:23], s[22:23], s[26:27]
	s_mul_hi_u32 s7, s13, s14
	s_mul_hi_u32 s21, s13, s15
	s_add_co_u32 s9, s22, s9
	s_wait_alu 0xfffe
	s_add_co_ci_u32 s24, s23, s7
	s_mul_i32 s14, s13, s15
	s_add_co_ci_u32 s15, s21, 0
	s_mov_b32 s23, s8
	s_add_nc_u64 s[14:15], s[24:25], s[14:15]
	s_delay_alu instid0(SALU_CYCLE_1) | instskip(SKIP_1) | instid1(SALU_CYCLE_1)
	s_add_co_u32 s7, s12, s14
	s_cselect_b32 s9, -1, 0
	s_cmp_lg_u32 s9, 0
	s_add_co_ci_u32 s9, s13, s15
	s_ashr_i32 s12, s3, 31
	s_delay_alu instid0(SALU_CYCLE_1) | instskip(NEXT) | instid1(SALU_CYCLE_1)
	s_mov_b32 s13, s12
	s_add_nc_u64 s[14:15], s[2:3], s[12:13]
	s_delay_alu instid0(SALU_CYCLE_1) | instskip(NEXT) | instid1(SALU_CYCLE_1)
	s_xor_b64 s[14:15], s[14:15], s[12:13]
	s_mul_hi_u32 s27, s14, s9
	s_mul_i32 s26, s14, s9
	s_wait_alu 0xfffe
	s_mul_hi_u32 s22, s14, s7
	s_mul_hi_u32 s21, s15, s7
	s_mul_i32 s7, s15, s7
	s_add_nc_u64 s[22:23], s[22:23], s[26:27]
	s_mul_hi_u32 s3, s15, s9
	s_wait_alu 0xfffe
	s_add_co_u32 s7, s22, s7
	s_add_co_ci_u32 s24, s23, s21
	s_mul_i32 s26, s15, s9
	s_add_co_ci_u32 s27, s3, 0
	s_delay_alu instid0(SALU_CYCLE_1) | instskip(NEXT) | instid1(SALU_CYCLE_1)
	s_add_nc_u64 s[22:23], s[24:25], s[26:27]
	s_mul_u64 s[24:25], s[10:11], s[22:23]
	s_add_nc_u64 s[26:27], s[22:23], 1
	s_sub_co_u32 s3, s14, s24
	s_cselect_b32 s7, -1, 0
	s_sub_co_i32 s9, s15, s25
	s_wait_alu 0xfffe
	s_cmp_lg_u32 s7, 0
	s_add_nc_u64 s[28:29], s[22:23], 2
	s_sub_co_ci_u32 s9, s9, s11
	s_sub_co_u32 s14, s3, s10
	s_cselect_b32 s21, -1, 0
	s_delay_alu instid0(SALU_CYCLE_1) | instskip(SKIP_1) | instid1(SALU_CYCLE_1)
	s_cmp_lg_u32 s21, 0
	s_sub_co_ci_u32 s9, s9, 0
	s_cmp_ge_u32 s9, s11
	s_cselect_b32 s21, -1, 0
	s_cmp_ge_u32 s14, s10
	s_cselect_b32 s14, -1, 0
	s_cmp_eq_u32 s9, s11
	s_cselect_b32 s9, s14, s21
	s_delay_alu instid0(SALU_CYCLE_1)
	s_cmp_lg_u32 s9, 0
	s_cselect_b32 s9, s28, s26
	s_cselect_b32 s14, s29, s27
	s_cmp_lg_u32 s7, 0
	s_sub_co_ci_u32 s7, s15, s25
	s_wait_alu 0xfffe
	s_cmp_ge_u32 s7, s11
	s_cselect_b32 s15, -1, 0
	s_cmp_ge_u32 s3, s10
	s_cselect_b32 s3, -1, 0
	s_cmp_eq_u32 s7, s11
	s_cselect_b32 s3, s3, s15
	s_delay_alu instid0(SALU_CYCLE_1) | instskip(SKIP_3) | instid1(SALU_CYCLE_1)
	s_cmp_lg_u32 s3, 0
	s_cselect_b32 s11, s14, s23
	s_cselect_b32 s10, s9, s22
	s_xor_b64 s[12:13], s[12:13], 0
	s_xor_b64 s[10:11], s[10:11], s[12:13]
	s_delay_alu instid0(SALU_CYCLE_1)
	s_sub_nc_u64 s[10:11], s[10:11], s[12:13]
	s_load_b96 s[12:14], s[0:1], 0x44
	s_and_not1_b32 vcc_lo, exec_lo, s8
	s_cbranch_vccnz .LBB55_6
.LBB55_5:
	v_cvt_f32_u32_e32 v1, s16
	s_sub_co_i32 s7, 0, s16
	s_delay_alu instid0(VALU_DEP_1) | instskip(NEXT) | instid1(TRANS32_DEP_1)
	v_rcp_iflag_f32_e32 v1, v1
	v_mul_f32_e32 v1, 0x4f7ffffe, v1
	s_delay_alu instid0(VALU_DEP_1) | instskip(NEXT) | instid1(VALU_DEP_1)
	v_cvt_u32_f32_e32 v1, v1
	v_readfirstlane_b32 s3, v1
	s_wait_alu 0xfffe
	s_mul_i32 s7, s7, s3
	s_wait_alu 0xfffe
	s_mul_hi_u32 s7, s3, s7
	s_wait_alu 0xfffe
	s_add_co_i32 s3, s3, s7
	s_delay_alu instid0(SALU_CYCLE_1) | instskip(NEXT) | instid1(SALU_CYCLE_1)
	s_mul_hi_u32 s3, s2, s3
	s_mul_i32 s7, s3, s16
	s_wait_alu 0xfffe
	s_sub_co_i32 s2, s2, s7
	s_add_co_i32 s7, s3, 1
	s_sub_co_i32 s8, s2, s16
	s_cmp_ge_u32 s2, s16
	s_wait_alu 0xfffe
	s_cselect_b32 s3, s7, s3
	s_cselect_b32 s2, s8, s2
	s_add_co_i32 s7, s3, 1
	s_cmp_ge_u32 s2, s16
	s_wait_alu 0xfffe
	s_cselect_b32 s10, s7, s3
.LBB55_6:
	s_mov_b32 s21, 0
	s_wait_kmcnt 0x0
	s_mov_b32 s22, s12
	s_mov_b32 s23, s21
	s_cmp_eq_u32 s20, s10
	s_mul_u64 s[2:3], s[20:21], s[22:23]
	s_cselect_b32 s7, -1, 0
	s_add_co_i32 s2, s3, s20
	s_mov_b32 s11, s21
	s_lshr_b32 s12, s2, s13
	s_mul_u64 s[2:3], s[10:11], s[22:23]
	s_mul_i32 s2, s12, s14
	s_delay_alu instid0(SALU_CYCLE_1) | instskip(SKIP_2) | instid1(SALU_CYCLE_1)
	s_cmp_eq_u32 s2, s20
	s_cselect_b32 s2, -1, 0
	s_add_co_i32 s3, s3, s10
	s_lshr_b32 s3, s3, s13
	s_delay_alu instid0(SALU_CYCLE_1)
	s_cmp_eq_u32 s12, s3
	s_mul_i32 s3, s3, s14
	s_cselect_b32 s8, -1, 0
	s_cmp_lg_u32 s3, s10
	s_cselect_b32 s3, -1, 0
	s_wait_alu 0xfffe
	s_or_b32 s2, s7, s2
	s_and_b32 s3, s8, s3
	s_delay_alu instid0(SALU_CYCLE_1) | instskip(NEXT) | instid1(SALU_CYCLE_1)
	s_or_b32 s2, s2, s3
	s_and_b32 vcc_lo, exec_lo, s2
	s_cbranch_vccnz .LBB55_24
; %bb.7:
	s_load_b256 s[24:31], s[0:1], 0x20
	s_mov_b32 s3, s21
	s_and_b32 s15, ttmp7, 0xffff
	s_wait_kmcnt 0x0
	s_mov_b32 s2, s24
	s_delay_alu instid0(SALU_CYCLE_1) | instskip(NEXT) | instid1(SALU_CYCLE_1)
	s_mul_u64 s[2:3], s[20:21], s[2:3]
	s_add_co_i32 s2, s3, s20
	s_delay_alu instid0(SALU_CYCLE_1) | instskip(SKIP_4) | instid1(SALU_CYCLE_1)
	s_lshr_b32 s3, s2, s25
	s_load_b32 s2, s[0:1], 0x40
	s_mul_i32 s7, s3, s26
	s_wait_alu 0xfffe
	s_sub_co_i32 s8, s20, s7
	s_mul_hi_u32 s7, s8, s27
	s_wait_alu 0xfffe
	s_add_co_i32 s7, s8, s7
	s_wait_alu 0xfffe
	s_lshr_b32 s7, s7, s28
	s_wait_alu 0xfffe
	s_mul_i32 s9, s7, s29
	s_delay_alu instid0(SALU_CYCLE_1) | instskip(NEXT) | instid1(SALU_CYCLE_1)
	s_sub_co_i32 s8, s8, s9
	s_mul_hi_u32 s9, s8, s30
	s_delay_alu instid0(SALU_CYCLE_1) | instskip(NEXT) | instid1(SALU_CYCLE_1)
	s_add_co_i32 s9, s8, s9
	s_lshr_b32 s24, s9, s31
	s_mov_b32 s9, s21
	s_wait_kmcnt 0x0
	s_mul_i32 s2, s24, s2
	s_delay_alu instid0(SALU_CYCLE_1) | instskip(NEXT) | instid1(SALU_CYCLE_1)
	s_sub_co_i32 s8, s8, s2
	s_mul_u64 s[10:11], s[8:9], s[22:23]
	s_delay_alu instid0(SALU_CYCLE_1) | instskip(NEXT) | instid1(SALU_CYCLE_1)
	s_add_co_i32 s2, s8, s11
	s_lshr_b32 s21, s2, s13
	s_delay_alu instid0(SALU_CYCLE_1) | instskip(NEXT) | instid1(SALU_CYCLE_1)
	s_lshl_b32 s2, s21, 6
	s_add_co_i32 s8, s2, s15
	s_lshr_b32 s2, ttmp7, 16
	s_cmp_lt_i32 s8, s4
	s_cselect_b32 s8, -1, 0
	s_add_co_i32 s9, s24, s2
	s_delay_alu instid0(SALU_CYCLE_1) | instskip(SKIP_1) | instid1(SALU_CYCLE_1)
	s_cmp_lt_i32 s9, s6
	s_cselect_b32 s9, -1, 0
	s_and_b32 s8, s8, s9
	s_delay_alu instid0(SALU_CYCLE_1)
	s_and_not1_b32 vcc_lo, exec_lo, s8
	s_cbranch_vccnz .LBB55_24
; %bb.8:
	s_mul_i32 s3, s3, s4
	s_mul_i32 s7, s7, s6
	s_add_co_i32 s3, s3, s15
	s_load_b128 s[8:11], s[0:1], 0x0
	s_mul_i32 s3, s3, s5
	s_mul_i32 s1, s5, s21
	s_add_co_i32 s3, s3, s2
	s_lshl_b32 s1, s1, 13
	s_add_co_i32 s0, s3, s7
	s_add_co_i32 s15, s15, s2
	;; [unrolled: 1-line block ×3, first 2 shown]
	v_cvt_f32_u32_e32 v4, s16
	s_lshl_b32 s0, s0, 7
	s_add_co_i32 s34, ttmp9, -1
	s_add_co_i32 s1, s1, s0
	s_delay_alu instid0(VALU_DEP_1)
	v_rcp_iflag_f32_e32 v4, v4
	v_or_b32_e32 v1, s1, v0
	s_add_nc_u64 s[0:1], s[16:17], 0
	v_lshl_or_b32 v0, s15, 7, v0
	s_wait_alu 0xfffe
	s_xor_b64 s[6:7], s[0:1], 0
	s_lshl_b32 s0, ttmp9, 6
	v_ashrrev_i32_e32 v2, 31, v1
	s_wait_alu 0xfffe
	s_cvt_f32_u32 s1, s6
	s_cvt_f32_u32 s2, s7
	s_add_co_i32 s0, s0, s15
	s_sub_nc_u64 s[30:31], 0, s[6:7]
	v_lshlrev_b64_e32 v[1:2], 2, v[1:2]
	s_wait_alu 0xfffe
	s_fmamk_f32 s2, s2, 0x4f800000, s1
	s_ashr_i32 s1, s0, 31
	s_wait_alu 0xfffe
	s_lshl_b64 s[0:1], s[0:1], 3
	v_s_rcp_f32 s2, s2
	s_wait_kmcnt 0x0
	v_add_co_u32 v1, vcc_lo, s8, v1
	s_delay_alu instid0(VALU_DEP_1)
	v_add_co_ci_u32_e64 v2, null, s9, v2, vcc_lo
	s_wait_alu 0xfffe
	s_add_nc_u64 s[0:1], s[10:11], s[0:1]
	s_mov_b32 s8, 0
	s_load_b64 s[26:27], s[0:1], 0x0
	global_load_b32 v3, v[1:2], off
	s_mul_f32 s2, s2, 0x5f7ffffc
	v_mul_f32_e32 v4, 0x4f7ffffe, v4
	s_lshl_b32 s0, s16, 8
	s_wait_alu 0xfffe
	s_mul_f32 s1, s2, 0x2f800000
	s_wait_alu 0xfffe
	s_delay_alu instid0(SALU_CYCLE_2)
	s_trunc_f32 s3, s1
	s_mov_b32 s1, s8
	s_wait_alu 0xfffe
	s_lshl_b64 s[0:1], s[0:1], 2
	s_fmamk_f32 s2, s3, 0xcf800000, s2
	s_cvt_u32_f32 s29, s3
	s_wait_alu 0xfffe
	s_add_nc_u64 s[24:25], s[10:11], s[0:1]
	s_cvt_u32_f32 s28, s2
	s_wait_kmcnt 0x0
	v_mov_b32_e32 v5, s27
	v_cvt_u32_f32_e32 v4, v4
.LBB55_9:                               ; =>This Inner Loop Header: Depth=1
	s_wait_alu 0xfffe
	s_ashr_i32 s35, s34, 31
	s_mov_b32 s2, -1
	s_wait_alu 0xfffe
	s_mul_u64 s[0:1], s[34:35], s[18:19]
                                        ; implicit-def: $sgpr38_sgpr39
	s_wait_alu 0xfffe
	s_mov_b32 s9, s1
	s_wait_alu 0xfffe
	s_cmp_lg_u64 s[8:9], 0
	s_cbranch_scc0 .LBB55_11
; %bb.10:                               ;   in Loop: Header=BB55_9 Depth=1
	s_mul_u64 s[2:3], s[30:31], s[28:29]
	s_mov_b32 s37, s8
	s_wait_alu 0xfffe
	s_mul_hi_u32 s5, s28, s3
	s_mul_i32 s4, s28, s3
	s_mul_hi_u32 s36, s28, s2
	s_mul_hi_u32 s9, s29, s2
	s_wait_alu 0xfffe
	s_add_nc_u64 s[4:5], s[36:37], s[4:5]
	s_mul_i32 s2, s29, s2
	s_mul_hi_u32 s17, s29, s3
	s_wait_alu 0xfffe
	s_add_co_u32 s2, s4, s2
	s_add_co_ci_u32 s2, s5, s9
	s_add_co_ci_u32 s5, s17, 0
	s_mul_i32 s4, s29, s3
	s_mov_b32 s3, s8
	s_mov_b32 s39, s8
	s_wait_alu 0xfffe
	s_add_nc_u64 s[2:3], s[2:3], s[4:5]
	s_wait_alu 0xfffe
	s_add_co_u32 s2, s28, s2
	s_cselect_b32 s4, -1, 0
	s_wait_alu 0xfffe
	s_cmp_lg_u32 s4, 0
	s_add_co_ci_u32 s3, s29, s3
	s_wait_alu 0xfffe
	s_mul_u64 s[4:5], s[30:31], s[2:3]
	s_wait_alu 0xfffe
	s_mul_hi_u32 s37, s2, s5
	s_mul_i32 s36, s2, s5
	s_mul_hi_u32 s38, s2, s4
	s_mul_hi_u32 s9, s3, s4
	s_mul_i32 s4, s3, s4
	s_wait_alu 0xfffe
	s_add_nc_u64 s[36:37], s[38:39], s[36:37]
	s_mul_hi_u32 s17, s3, s5
	s_wait_alu 0xfffe
	s_add_co_u32 s4, s36, s4
	s_add_co_ci_u32 s4, s37, s9
	s_add_co_ci_u32 s37, s17, 0
	s_mul_i32 s36, s3, s5
	s_mov_b32 s5, s8
	s_wait_alu 0xfffe
	s_add_nc_u64 s[4:5], s[4:5], s[36:37]
	s_mov_b32 s37, s8
	s_wait_alu 0xfffe
	s_add_co_u32 s9, s2, s4
	s_cselect_b32 s2, -1, 0
	s_wait_alu 0xfffe
	s_cmp_lg_u32 s2, 0
	s_add_co_ci_u32 s17, s3, s5
	s_ashr_i32 s2, s1, 31
	s_wait_alu 0xfffe
	s_mov_b32 s3, s2
	s_wait_alu 0xfffe
	s_add_nc_u64 s[4:5], s[0:1], s[2:3]
	s_wait_alu 0xfffe
	s_xor_b64 s[4:5], s[4:5], s[2:3]
	s_wait_alu 0xfffe
	s_mul_hi_u32 s39, s4, s17
	s_mul_i32 s38, s4, s17
	s_mul_hi_u32 s36, s4, s9
	s_mul_i32 s21, s5, s9
	s_wait_alu 0xfffe
	s_add_nc_u64 s[36:37], s[36:37], s[38:39]
	s_mul_hi_u32 s9, s5, s9
	s_mul_hi_u32 s1, s5, s17
	s_wait_alu 0xfffe
	s_add_co_u32 s21, s36, s21
	s_add_co_ci_u32 s36, s37, s9
	s_add_co_ci_u32 s39, s1, 0
	s_mul_i32 s38, s5, s17
	s_mov_b32 s37, s8
	s_wait_alu 0xfffe
	s_add_nc_u64 s[36:37], s[36:37], s[38:39]
	s_wait_alu 0xfffe
	s_mul_u64 s[38:39], s[6:7], s[36:37]
	s_add_nc_u64 s[40:41], s[36:37], 1
	s_sub_co_u32 s1, s4, s38
	s_cselect_b32 s4, -1, 0
	s_sub_co_i32 s9, s5, s39
	s_wait_alu 0xfffe
	s_cmp_lg_u32 s4, 0
	s_add_nc_u64 s[42:43], s[36:37], 2
	s_sub_co_ci_u32 s9, s9, s7
	s_sub_co_u32 s17, s1, s6
	s_cselect_b32 s21, -1, 0
	s_delay_alu instid0(SALU_CYCLE_1)
	s_cmp_lg_u32 s21, 0
	s_wait_alu 0xfffe
	s_sub_co_ci_u32 s9, s9, 0
	s_wait_alu 0xfffe
	s_cmp_ge_u32 s9, s7
	s_cselect_b32 s21, -1, 0
	s_cmp_ge_u32 s17, s6
	s_cselect_b32 s17, -1, 0
	s_cmp_eq_u32 s9, s7
	s_wait_alu 0xfffe
	s_cselect_b32 s9, s17, s21
	s_wait_alu 0xfffe
	s_cmp_lg_u32 s9, 0
	s_cselect_b32 s9, s42, s40
	s_cselect_b32 s17, s43, s41
	s_cmp_lg_u32 s4, 0
	s_sub_co_ci_u32 s4, s5, s39
	s_wait_alu 0xfffe
	s_cmp_ge_u32 s4, s7
	s_cselect_b32 s5, -1, 0
	s_cmp_ge_u32 s1, s6
	s_cselect_b32 s1, -1, 0
	s_cmp_eq_u32 s4, s7
	s_wait_alu 0xfffe
	s_cselect_b32 s1, s1, s5
	s_wait_alu 0xfffe
	s_cmp_lg_u32 s1, 0
	s_cselect_b32 s5, s17, s37
	s_cselect_b32 s4, s9, s36
	s_xor_b64 s[2:3], s[2:3], 0
	s_wait_alu 0xfffe
	s_xor_b64 s[4:5], s[4:5], s[2:3]
	s_wait_alu 0xfffe
	s_sub_nc_u64 s[38:39], s[4:5], s[2:3]
	s_mov_b32 s2, 0
.LBB55_11:                              ;   in Loop: Header=BB55_9 Depth=1
	s_wait_alu 0xfffe
	s_and_not1_b32 vcc_lo, exec_lo, s2
	s_wait_alu 0xfffe
	s_cbranch_vccnz .LBB55_13
; %bb.12:                               ;   in Loop: Header=BB55_9 Depth=1
	v_readfirstlane_b32 s1, v4
	s_sub_co_i32 s2, 0, s16
	s_wait_alu 0xfffe
	s_mul_i32 s2, s2, s1
	s_wait_alu 0xfffe
	s_mul_hi_u32 s2, s1, s2
	s_wait_alu 0xfffe
	s_add_co_i32 s1, s1, s2
	s_wait_alu 0xfffe
	s_mul_hi_u32 s1, s0, s1
	s_wait_alu 0xfffe
	s_mul_i32 s2, s1, s16
	s_wait_alu 0xfffe
	s_sub_co_i32 s0, s0, s2
	s_add_co_i32 s2, s1, 1
	s_wait_alu 0xfffe
	s_sub_co_i32 s3, s0, s16
	s_cmp_ge_u32 s0, s16
	s_cselect_b32 s1, s2, s1
	s_wait_alu 0xfffe
	s_cselect_b32 s0, s3, s0
	s_add_co_i32 s2, s1, 1
	s_wait_alu 0xfffe
	s_cmp_ge_u32 s0, s16
	s_cselect_b32 s38, s2, s1
.LBB55_13:                              ;   in Loop: Header=BB55_9 Depth=1
	v_readfirstlane_b32 s9, v0
	s_cmp_lg_u32 s20, s38
	s_mov_b32 s0, -1
                                        ; implicit-def: $sgpr21
                                        ; implicit-def: $vgpr6
                                        ; implicit-def: $vgpr7
                                        ; implicit-def: $sgpr17
                                        ; implicit-def: $sgpr27
	s_cbranch_scc1 .LBB55_16
; %bb.14:                               ;   in Loop: Header=BB55_9 Depth=1
	s_wait_alu 0xfffe
	s_and_not1_b32 vcc_lo, exec_lo, s0
	s_wait_alu 0xfffe
	s_cbranch_vccz .LBB55_19
.LBB55_15:                              ;   in Loop: Header=BB55_9 Depth=1
	s_and_not1_b32 vcc_lo, exec_lo, s21
	s_wait_alu 0xfffe
	s_cbranch_vccnz .LBB55_20
	s_branch .LBB55_23
.LBB55_16:                              ;   in Loop: Header=BB55_9 Depth=1
	s_add_co_i32 s0, s34, s16
	s_mov_b32 s1, s8
	s_wait_alu 0xfffe
	s_lshl_b32 s0, s0, 6
	v_max_num_f32_e64 v6, s26, s26
	s_wait_alu 0xfffe
	s_add_co_i32 s0, s0, s15
	s_mov_b32 s39, s8
	s_wait_alu 0xfffe
	s_lshl_b64 s[0:1], s[0:1], 3
	s_mul_u64 s[40:41], s[38:39], s[22:23]
	s_wait_alu 0xfffe
	s_add_nc_u64 s[0:1], s[10:11], s[0:1]
	s_mov_b32 s27, s20
	s_load_b64 s[36:37], s[0:1], 0x0
	v_readfirstlane_b32 s0, v6
	s_wait_kmcnt 0x0
	v_max_num_f32_e64 v7, s36, s36
	s_delay_alu instid0(VALU_DEP_1) | instskip(SKIP_2) | instid1(SALU_CYCLE_2)
	v_readfirstlane_b32 s1, v7
	s_max_num_f32 s9, s0, s1
	s_wait_alu 0xfffe
	s_sub_f32 s33, s26, s9
	s_sub_f32 s35, s36, s9
	s_wait_alu 0xfffe
	s_delay_alu instid0(SALU_CYCLE_1)
	s_cmp_nlt_f32 s33, 0xc2ce8ed0
	s_cselect_b32 s0, -1, 0
	s_cmp_ngt_f32 s33, 0x42b17218
	s_cselect_b32 s1, -1, 0
	s_cmp_ge_f32 s33, 0xc1a00000
	s_cselect_b32 s2, -1, 0
	s_cmp_nlt_f32 s35, 0xc2ce8ed0
	s_cselect_b32 s3, -1, 0
	s_cmp_ngt_f32 s35, 0x42b17218
	s_cselect_b32 s4, -1, 0
	s_cmp_ge_f32 s35, 0xc1a00000
	s_cselect_b32 s5, -1, 0
	s_add_co_i32 s17, s41, s38
	s_wait_alu 0xfffe
	s_lshr_b32 s17, s17, s13
	s_wait_alu 0xfffe
	s_mul_i32 s21, s17, s14
	s_delay_alu instid0(SALU_CYCLE_1)
	s_cmp_eq_u32 s21, s38
	s_cselect_b32 s21, -1, 0
	s_cmp_lt_u32 s17, s12
	s_cselect_b32 s17, -1, 0
	s_wait_alu 0xfffe
	s_or_b32 s17, s17, s21
	s_mov_b32 s21, -1
	s_wait_alu 0xfffe
	s_and_b32 vcc_lo, exec_lo, s17
	s_mov_b32 s17, s34
	s_wait_alu 0xfffe
	s_cbranch_vccnz .LBB55_18
; %bb.17:                               ;   in Loop: Header=BB55_9 Depth=1
	s_add_co_i32 s17, s34, -1
	s_mov_b32 s21, 0
	s_mov_b32 s27, s38
.LBB55_18:                              ;   in Loop: Header=BB55_9 Depth=1
	v_lshl_add_u32 v6, s34, 13, v0
	s_mul_f32 s36, s35, 0x3fb8aa3b
	s_mul_f32 s38, s33, 0x3fb8aa3b
	s_wait_alu 0xfffe
	s_delay_alu instid0(SALU_CYCLE_1)
	s_xor_b32 s39, s36, 0x80000000
	v_ashrrev_i32_e32 v7, 31, v6
	s_rndne_f32 s40, s36
	s_fmamk_f32 s39, s35, 0x3fb8aa3b, s39
	s_xor_b32 s41, s38, 0x80000000
	s_rndne_f32 s42, s38
	v_lshlrev_b64_e32 v[6:7], 2, v[6:7]
	s_sub_f32 s36, s36, s40
	s_fmamk_f32 s35, s35, 0x32a5705f, s39
	s_fmamk_f32 s39, s33, 0x3fb8aa3b, s41
	s_sub_f32 s38, s38, s42
	s_delay_alu instid0(VALU_DEP_1)
	v_add_co_u32 v6, vcc_lo, s24, v6
	s_wait_alu 0xfffd
	v_add_co_ci_u32_e64 v7, null, s25, v7, vcc_lo
	s_wait_alu 0xfffe
	s_add_f32 s35, s36, s35
	s_fmamk_f32 s33, s33, 0x32a5705f, s39
	s_cvt_i32_f32 s36, s40
	global_load_b32 v6, v[6:7], off
	s_wait_alu 0xfffe
	v_s_exp_f32 s35, s35
	s_add_f32 s33, s38, s33
	s_wait_alu 0xfffe
	s_delay_alu instid0(SALU_CYCLE_2) | instskip(NEXT) | instid1(TRANS32_DEP_2)
	v_s_exp_f32 s33, s33
	v_ldexp_f32 v7, s35, s36
	s_cvt_i32_f32 s35, s42
	s_wait_alu 0xf1fe
	s_delay_alu instid0(TRANS32_DEP_1) | instid1(SALU_CYCLE_2)
	v_ldexp_f32 v8, s33, s35
	s_delay_alu instid0(VALU_DEP_2) | instskip(NEXT) | instid1(VALU_DEP_2)
	v_cndmask_b32_e64 v7, 0, v7, s3
	v_cndmask_b32_e64 v8, 0, v8, s0
	s_delay_alu instid0(VALU_DEP_2) | instskip(NEXT) | instid1(VALU_DEP_2)
	v_cndmask_b32_e64 v7, 0x7f800000, v7, s4
	v_cndmask_b32_e64 v8, 0x7f800000, v8, s1
	;; [unrolled: 3-line block ×3, first 2 shown]
	s_wait_loadcnt 0x0
	s_delay_alu instid0(VALU_DEP_2) | instskip(SKIP_1) | instid1(VALU_DEP_1)
	v_mul_f32_e32 v6, v6, v7
	v_mul_f32_e32 v7, s37, v7
	v_fmac_f32_e32 v7, v5, v8
	s_delay_alu instid0(VALU_DEP_3)
	v_fmac_f32_e32 v6, v3, v8
	s_cbranch_execnz .LBB55_15
.LBB55_19:                              ;   in Loop: Header=BB55_9 Depth=1
	s_wait_loadcnt 0x0
	v_dual_mov_b32 v7, v5 :: v_dual_mov_b32 v6, v3
	s_add_co_i32 s17, s34, -1
	s_mov_b32 s27, s20
	s_mov_b32 s9, s26
	s_cbranch_execz .LBB55_23
.LBB55_20:                              ;   in Loop: Header=BB55_9 Depth=1
	v_mov_b32_e32 v5, v7
	s_wait_loadcnt 0x0
	v_mov_b32_e32 v3, v6
	s_wait_alu 0xfffe
	s_mov_b32 s20, s27
	s_mov_b32 s34, s17
	;; [unrolled: 1-line block ×3, first 2 shown]
	s_branch .LBB55_9
.LBB55_21:
                                        ; implicit-def: $sgpr20_sgpr21
	s_branch .LBB55_2
.LBB55_22:
                                        ; implicit-def: $sgpr10_sgpr11
	s_load_b96 s[12:14], s[0:1], 0x44
	s_branch .LBB55_5
.LBB55_23:
	v_div_scale_f32 v0, null, v7, v7, v6
	s_wait_loadcnt 0x0
	s_delay_alu instid0(VALU_DEP_1) | instskip(NEXT) | instid1(TRANS32_DEP_1)
	v_rcp_f32_e32 v3, v0
	v_fma_f32 v4, -v0, v3, 1.0
	s_delay_alu instid0(VALU_DEP_1) | instskip(SKIP_1) | instid1(VALU_DEP_1)
	v_fmac_f32_e32 v3, v4, v3
	v_div_scale_f32 v4, vcc_lo, v6, v7, v6
	v_mul_f32_e32 v5, v4, v3
	s_delay_alu instid0(VALU_DEP_1) | instskip(NEXT) | instid1(VALU_DEP_1)
	v_fma_f32 v8, -v0, v5, v4
	v_fmac_f32_e32 v5, v8, v3
	s_delay_alu instid0(VALU_DEP_1) | instskip(SKIP_1) | instid1(VALU_DEP_1)
	v_fma_f32 v0, -v0, v5, v4
	s_wait_alu 0xfffd
	v_div_fmas_f32 v0, v0, v3, v5
	s_delay_alu instid0(VALU_DEP_1)
	v_div_fixup_f32 v0, v0, v7, v6
	global_store_b32 v[1:2], v0, off
.LBB55_24:
	s_endpgm
	.section	.rodata,"a",@progbits
	.p2align	6, 0x0
	.amdhsa_kernel _ZL33flash_attn_stream_k_fixup_generalILi128ELi64ELi1EEvPfPK15HIP_vector_typeIfLj2EEiiiiS1_IjLj3EES5_S5_S5_
		.amdhsa_group_segment_fixed_size 0
		.amdhsa_private_segment_fixed_size 0
		.amdhsa_kernarg_size 336
		.amdhsa_user_sgpr_count 2
		.amdhsa_user_sgpr_dispatch_ptr 0
		.amdhsa_user_sgpr_queue_ptr 0
		.amdhsa_user_sgpr_kernarg_segment_ptr 1
		.amdhsa_user_sgpr_dispatch_id 0
		.amdhsa_user_sgpr_private_segment_size 0
		.amdhsa_wavefront_size32 1
		.amdhsa_uses_dynamic_stack 0
		.amdhsa_enable_private_segment 0
		.amdhsa_system_sgpr_workgroup_id_x 1
		.amdhsa_system_sgpr_workgroup_id_y 1
		.amdhsa_system_sgpr_workgroup_id_z 1
		.amdhsa_system_sgpr_workgroup_info 0
		.amdhsa_system_vgpr_workitem_id 0
		.amdhsa_next_free_vgpr 9
		.amdhsa_next_free_sgpr 44
		.amdhsa_reserve_vcc 1
		.amdhsa_float_round_mode_32 0
		.amdhsa_float_round_mode_16_64 0
		.amdhsa_float_denorm_mode_32 3
		.amdhsa_float_denorm_mode_16_64 3
		.amdhsa_fp16_overflow 0
		.amdhsa_workgroup_processor_mode 1
		.amdhsa_memory_ordered 1
		.amdhsa_forward_progress 1
		.amdhsa_inst_pref_size 28
		.amdhsa_round_robin_scheduling 0
		.amdhsa_exception_fp_ieee_invalid_op 0
		.amdhsa_exception_fp_denorm_src 0
		.amdhsa_exception_fp_ieee_div_zero 0
		.amdhsa_exception_fp_ieee_overflow 0
		.amdhsa_exception_fp_ieee_underflow 0
		.amdhsa_exception_fp_ieee_inexact 0
		.amdhsa_exception_int_div_zero 0
	.end_amdhsa_kernel
	.section	.text._ZL33flash_attn_stream_k_fixup_generalILi128ELi64ELi1EEvPfPK15HIP_vector_typeIfLj2EEiiiiS1_IjLj3EES5_S5_S5_,"axG",@progbits,_ZL33flash_attn_stream_k_fixup_generalILi128ELi64ELi1EEvPfPK15HIP_vector_typeIfLj2EEiiiiS1_IjLj3EES5_S5_S5_,comdat
.Lfunc_end55:
	.size	_ZL33flash_attn_stream_k_fixup_generalILi128ELi64ELi1EEvPfPK15HIP_vector_typeIfLj2EEiiiiS1_IjLj3EES5_S5_S5_, .Lfunc_end55-_ZL33flash_attn_stream_k_fixup_generalILi128ELi64ELi1EEvPfPK15HIP_vector_typeIfLj2EEiiiiS1_IjLj3EES5_S5_S5_
                                        ; -- End function
	.set _ZL33flash_attn_stream_k_fixup_generalILi128ELi64ELi1EEvPfPK15HIP_vector_typeIfLj2EEiiiiS1_IjLj3EES5_S5_S5_.num_vgpr, 9
	.set _ZL33flash_attn_stream_k_fixup_generalILi128ELi64ELi1EEvPfPK15HIP_vector_typeIfLj2EEiiiiS1_IjLj3EES5_S5_S5_.num_agpr, 0
	.set _ZL33flash_attn_stream_k_fixup_generalILi128ELi64ELi1EEvPfPK15HIP_vector_typeIfLj2EEiiiiS1_IjLj3EES5_S5_S5_.numbered_sgpr, 44
	.set _ZL33flash_attn_stream_k_fixup_generalILi128ELi64ELi1EEvPfPK15HIP_vector_typeIfLj2EEiiiiS1_IjLj3EES5_S5_S5_.num_named_barrier, 0
	.set _ZL33flash_attn_stream_k_fixup_generalILi128ELi64ELi1EEvPfPK15HIP_vector_typeIfLj2EEiiiiS1_IjLj3EES5_S5_S5_.private_seg_size, 0
	.set _ZL33flash_attn_stream_k_fixup_generalILi128ELi64ELi1EEvPfPK15HIP_vector_typeIfLj2EEiiiiS1_IjLj3EES5_S5_S5_.uses_vcc, 1
	.set _ZL33flash_attn_stream_k_fixup_generalILi128ELi64ELi1EEvPfPK15HIP_vector_typeIfLj2EEiiiiS1_IjLj3EES5_S5_S5_.uses_flat_scratch, 0
	.set _ZL33flash_attn_stream_k_fixup_generalILi128ELi64ELi1EEvPfPK15HIP_vector_typeIfLj2EEiiiiS1_IjLj3EES5_S5_S5_.has_dyn_sized_stack, 0
	.set _ZL33flash_attn_stream_k_fixup_generalILi128ELi64ELi1EEvPfPK15HIP_vector_typeIfLj2EEiiiiS1_IjLj3EES5_S5_S5_.has_recursion, 0
	.set _ZL33flash_attn_stream_k_fixup_generalILi128ELi64ELi1EEvPfPK15HIP_vector_typeIfLj2EEiiiiS1_IjLj3EES5_S5_S5_.has_indirect_call, 0
	.section	.AMDGPU.csdata,"",@progbits
; Kernel info:
; codeLenInByte = 3556
; TotalNumSgprs: 46
; NumVgprs: 9
; ScratchSize: 0
; MemoryBound: 0
; FloatMode: 240
; IeeeMode: 1
; LDSByteSize: 0 bytes/workgroup (compile time only)
; SGPRBlocks: 0
; VGPRBlocks: 1
; NumSGPRsForWavesPerEU: 46
; NumVGPRsForWavesPerEU: 9
; Occupancy: 16
; WaveLimiterHint : 0
; COMPUTE_PGM_RSRC2:SCRATCH_EN: 0
; COMPUTE_PGM_RSRC2:USER_SGPR: 2
; COMPUTE_PGM_RSRC2:TRAP_HANDLER: 0
; COMPUTE_PGM_RSRC2:TGID_X_EN: 1
; COMPUTE_PGM_RSRC2:TGID_Y_EN: 1
; COMPUTE_PGM_RSRC2:TGID_Z_EN: 1
; COMPUTE_PGM_RSRC2:TIDIG_COMP_CNT: 0
	.section	.text._ZL15flash_attn_tileILi128ELi128ELi32ELi1ELb0EEvPKcS1_S1_S1_S1_PKiPfP15HIP_vector_typeIfLj2EEffffjfiS5_IjLj3EEiiiiiiiiiiiliiliiiiil,"axG",@progbits,_ZL15flash_attn_tileILi128ELi128ELi32ELi1ELb0EEvPKcS1_S1_S1_S1_PKiPfP15HIP_vector_typeIfLj2EEffffjfiS5_IjLj3EEiiiiiiiiiiiliiliiiiil,comdat
	.globl	_ZL15flash_attn_tileILi128ELi128ELi32ELi1ELb0EEvPKcS1_S1_S1_S1_PKiPfP15HIP_vector_typeIfLj2EEffffjfiS5_IjLj3EEiiiiiiiiiiiliiliiiiil ; -- Begin function _ZL15flash_attn_tileILi128ELi128ELi32ELi1ELb0EEvPKcS1_S1_S1_S1_PKiPfP15HIP_vector_typeIfLj2EEffffjfiS5_IjLj3EEiiiiiiiiiiiliiliiiiil
	.p2align	8
	.type	_ZL15flash_attn_tileILi128ELi128ELi32ELi1ELb0EEvPKcS1_S1_S1_S1_PKiPfP15HIP_vector_typeIfLj2EEffffjfiS5_IjLj3EEiiiiiiiiiiiliiliiiiil,@function
_ZL15flash_attn_tileILi128ELi128ELi32ELi1ELb0EEvPKcS1_S1_S1_S1_PKiPfP15HIP_vector_typeIfLj2EEffffjfiS5_IjLj3EEiiiiiiiiiiiliiliiiiil: ; @_ZL15flash_attn_tileILi128ELi128ELi32ELi1ELb0EEvPKcS1_S1_S1_S1_PKiPfP15HIP_vector_typeIfLj2EEffffjfiS5_IjLj3EEiiiiiiiiiiiliiliiiiil
; %bb.0:
	s_clause 0x1
	s_load_b128 s[20:23], s[0:1], 0x5c
	s_load_b64 s[2:3], s[0:1], 0x80
	s_lshr_b32 s6, ttmp7, 16
	s_load_b64 s[30:31], s[0:1], 0xb8
	s_mov_b32 s41, 0
	s_mov_b64 s[38:39], 0
	s_wait_kmcnt 0x0
	s_cvt_f32_u32 s4, s23
	s_sub_co_i32 s5, 0, s23
	s_delay_alu instid0(SALU_CYCLE_2) | instskip(NEXT) | instid1(TRANS32_DEP_1)
	v_rcp_iflag_f32_e32 v1, s4
	v_readfirstlane_b32 s4, v1
	s_mul_f32 s4, s4, 0x4f7ffffe
	s_wait_alu 0xfffe
	s_delay_alu instid0(SALU_CYCLE_2) | instskip(SKIP_1) | instid1(SALU_CYCLE_2)
	s_cvt_u32_f32 s4, s4
	s_wait_alu 0xfffe
	s_mul_i32 s5, s5, s4
	s_wait_alu 0xfffe
	s_mul_hi_u32 s5, s4, s5
	s_wait_alu 0xfffe
	s_add_co_i32 s4, s4, s5
	s_wait_alu 0xfffe
	s_mul_hi_u32 s4, s6, s4
	s_wait_alu 0xfffe
	s_mul_i32 s5, s4, s23
	s_add_co_i32 s7, s4, 1
	s_wait_alu 0xfffe
	s_sub_co_i32 s5, s6, s5
	s_wait_alu 0xfffe
	s_sub_co_i32 s8, s5, s23
	s_cmp_ge_u32 s5, s23
	s_cselect_b32 s4, s7, s4
	s_cselect_b32 s5, s8, s5
	s_wait_alu 0xfffe
	s_add_co_i32 s7, s4, 1
	s_cmp_ge_u32 s5, s23
	s_cselect_b32 s36, s7, s4
	s_abs_i32 s4, s3
	s_abs_i32 s9, s23
	s_wait_alu 0xfffe
	s_cvt_f32_u32 s5, s4
	s_sub_co_i32 s7, 0, s4
	s_mul_i32 s8, s36, s23
	s_xor_b32 s3, s23, s3
	s_wait_alu 0xfffe
	v_rcp_iflag_f32_e32 v1, s5
	s_sub_co_i32 s34, s6, s8
	s_ashr_i32 s3, s3, 31
	s_delay_alu instid0(TRANS32_DEP_1) | instskip(SKIP_2) | instid1(SALU_CYCLE_2)
	v_readfirstlane_b32 s5, v1
	s_mul_f32 s5, s5, 0x4f7ffffe
	s_wait_alu 0xfffe
	s_cvt_u32_f32 s5, s5
	s_wait_alu 0xfffe
	s_delay_alu instid0(SALU_CYCLE_2) | instskip(NEXT) | instid1(SALU_CYCLE_1)
	s_mul_i32 s7, s7, s5
	s_mul_hi_u32 s7, s5, s7
	s_delay_alu instid0(SALU_CYCLE_1)
	s_add_co_i32 s5, s5, s7
	s_wait_alu 0xfffe
	s_mul_hi_u32 s5, s9, s5
	s_wait_alu 0xfffe
	s_mul_i32 s6, s5, s4
	s_add_co_i32 s7, s5, 1
	s_sub_co_i32 s6, s9, s6
	s_delay_alu instid0(SALU_CYCLE_1)
	s_sub_co_i32 s8, s6, s4
	s_cmp_ge_u32 s6, s4
	s_cselect_b32 s5, s7, s5
	s_cselect_b32 s6, s8, s6
	s_wait_alu 0xfffe
	s_add_co_i32 s7, s5, 1
	s_cmp_ge_u32 s6, s4
	s_cselect_b32 s4, s7, s5
	s_abs_i32 s40, s34
	s_wait_alu 0xfffe
	s_xor_b32 s4, s4, s3
	s_wait_alu 0xfffe
	s_sub_co_i32 s33, s4, s3
	s_delay_alu instid0(SALU_CYCLE_1) | instskip(NEXT) | instid1(SALU_CYCLE_1)
	s_abs_i32 s3, s33
	s_cvt_f32_u32 s4, s3
	s_sub_co_i32 s25, 0, s3
	s_wait_alu 0xfffe
	s_delay_alu instid0(SALU_CYCLE_1) | instskip(SKIP_1) | instid1(TRANS32_DEP_1)
	v_rcp_iflag_f32_e32 v1, s4
	s_load_b512 s[4:19], s[0:1], 0x0
	v_readfirstlane_b32 s24, v1
	s_mul_f32 s24, s24, 0x4f7ffffe
	s_delay_alu instid0(SALU_CYCLE_3) | instskip(NEXT) | instid1(SALU_CYCLE_3)
	s_cvt_u32_f32 s24, s24
	s_mul_i32 s25, s25, s24
	s_delay_alu instid0(SALU_CYCLE_1) | instskip(NEXT) | instid1(SALU_CYCLE_1)
	s_mul_hi_u32 s25, s24, s25
	s_add_co_i32 s42, s24, s25
	s_wait_kmcnt 0x0
	s_cmp_eq_u64 s[10:11], 0
	s_cbranch_scc1 .LBB56_2
; %bb.1:
	s_abs_i32 s26, s30
	s_delay_alu instid0(SALU_CYCLE_1) | instskip(NEXT) | instid1(SALU_CYCLE_3)
	s_cvt_f32_u32 s24, s26
	v_rcp_iflag_f32_e32 v1, s24
	s_delay_alu instid0(TRANS32_DEP_1) | instskip(SKIP_2) | instid1(SALU_CYCLE_2)
	v_readfirstlane_b32 s24, v1
	s_mul_f32 s24, s24, 0x4f7ffffe
	s_wait_alu 0xfffe
	s_cvt_u32_f32 s27, s24
	s_sub_co_i32 s24, 0, s26
	s_wait_alu 0xfffe
	s_delay_alu instid0(SALU_CYCLE_1) | instskip(SKIP_4) | instid1(SALU_CYCLE_1)
	s_mul_i32 s24, s24, s27
	s_wait_alu 0xfffe
	s_mul_hi_u32 s28, s27, s24
	s_load_b64 s[24:25], s[0:1], 0xc8
	s_add_co_i32 s27, s27, s28
	s_mul_hi_u32 s27, s36, s27
	s_delay_alu instid0(SALU_CYCLE_1) | instskip(NEXT) | instid1(SALU_CYCLE_1)
	s_mul_i32 s27, s27, s26
	s_sub_co_i32 s27, s36, s27
	s_delay_alu instid0(SALU_CYCLE_1) | instskip(SKIP_2) | instid1(SALU_CYCLE_1)
	s_sub_co_i32 s28, s27, s26
	s_cmp_ge_u32 s27, s26
	s_cselect_b32 s27, s28, s27
	s_sub_co_i32 s28, s27, s26
	s_cmp_ge_u32 s27, s26
	s_cselect_b32 s26, s28, s27
	s_delay_alu instid0(SALU_CYCLE_1)
	s_ashr_i32 s27, s26, 31
	s_wait_kmcnt 0x0
	s_mul_u64 s[24:25], s[24:25], s[26:27]
	s_wait_alu 0xfffe
	s_add_nc_u64 s[38:39], s[10:11], s[24:25]
.LBB56_2:
	s_clause 0x1
	s_load_b128 s[24:27], s[0:1], 0x40
	s_load_b32 s10, s[0:1], 0x50
	v_mov_b32_e32 v48, 1.0
	s_mov_b32 s43, s41
	s_wait_kmcnt 0x0
	s_cmp_le_f32 s25, 0
	s_cbranch_scc1 .LBB56_4
; %bb.3:
	v_sub_co_u32 v1, s10, s34, s10
	s_and_b32 s25, s10, exec_lo
	s_cselect_b32 s25, s26, s27
	s_add_co_i32 s26, s34, 1
	v_readfirstlane_b32 s11, v1
	s_lshl_b32 s11, s11, 1
	s_wait_alu 0xfffe
	s_or_b32 s11, s11, 1
	s_and_b32 s10, s10, exec_lo
	s_wait_alu 0xfffe
	s_cselect_b32 s10, s26, s11
	s_cmp_neq_f32 s25, 1.0
	s_wait_alu 0xfffe
	s_cvt_f32_i32 s10, s10
	s_wait_alu 0xfffe
	s_delay_alu instid0(SALU_CYCLE_2)
	s_cselect_b32 s11, s10, 1.0
	s_wait_alu 0xfffe
	s_cmp_neq_f32 s11, 0
	s_cselect_b32 s10, s25, 1.0
	s_wait_alu 0xfffe
	v_frexp_mant_f32_e64 v1, |s10|
	s_delay_alu instid0(VALU_DEP_1) | instskip(SKIP_3) | instid1(SALU_CYCLE_1)
	v_readfirstlane_b32 s25, v1
	v_cvt_f64_f32_e64 v[1:2], |s10|
	s_cmp_lt_f32 s25, 0x3f2aaaab
	s_cselect_b32 s26, -1, 0
	s_and_b32 s27, s26, exec_lo
	s_cselect_b32 s27, 2.0, 1.0
	s_delay_alu instid0(SALU_CYCLE_1) | instskip(SKIP_1) | instid1(SALU_CYCLE_2)
	s_mul_f32 s25, s25, s27
	s_wait_alu 0xfffe
	s_add_f32 s27, s25, 1.0
	s_add_f32 s29, s25, -1.0
	s_delay_alu instid0(SALU_CYCLE_2) | instskip(SKIP_1) | instid1(SALU_CYCLE_3)
	v_s_rcp_f32 s28, s27
	s_add_f32 s37, s27, -1.0
	s_sub_f32 s25, s25, s37
	s_delay_alu instid0(TRANS32_DEP_1) | instskip(NEXT) | instid1(SALU_CYCLE_3)
	s_mul_f32 s30, s29, s28
	s_mul_f32 s35, s27, s30
	s_wait_alu 0xfffe
	s_delay_alu instid0(SALU_CYCLE_2) | instskip(NEXT) | instid1(VALU_DEP_1)
	s_xor_b32 s44, s35, 0x80000000
	v_frexp_exp_i32_f64_e32 v1, v[1:2]
	s_fmac_f32 s44, s30, s27
	s_delay_alu instid0(SALU_CYCLE_3) | instskip(NEXT) | instid1(SALU_CYCLE_3)
	s_fmac_f32 s44, s30, s25
	s_add_f32 s25, s35, s44
	s_wait_alu 0xfffe
	s_delay_alu instid0(SALU_CYCLE_2) | instskip(SKIP_2) | instid1(SALU_CYCLE_1)
	s_sub_f32 s27, s29, s25
	s_sub_f32 s35, s25, s35
	s_wait_alu 0xfffe
	s_sub_f32 s29, s29, s27
	s_delay_alu instid0(SALU_CYCLE_1) | instskip(NEXT) | instid1(SALU_CYCLE_2)
	s_sub_f32 s35, s35, s44
	s_sub_f32 s25, s29, s25
	s_wait_alu 0xfffe
	s_delay_alu instid0(SALU_CYCLE_2) | instskip(SKIP_2) | instid1(SALU_CYCLE_1)
	s_add_f32 s25, s35, s25
	s_mov_b32 s35, 0x3e76c4e1
	s_wait_alu 0xfffe
	s_add_f32 s25, s27, s25
	s_wait_alu 0xfffe
	s_delay_alu instid0(SALU_CYCLE_2) | instskip(SKIP_1) | instid1(SALU_CYCLE_2)
	s_mul_f32 s25, s28, s25
	s_wait_alu 0xfffe
	s_add_f32 s27, s30, s25
	s_wait_alu 0xfffe
	s_delay_alu instid0(SALU_CYCLE_2) | instskip(SKIP_1) | instid1(SALU_CYCLE_2)
	s_sub_f32 s28, s27, s30
	s_mul_f32 s29, s27, s27
	s_sub_f32 s25, s25, s28
	s_delay_alu instid0(SALU_CYCLE_2) | instskip(NEXT) | instid1(SALU_CYCLE_1)
	s_xor_b32 s28, s29, 0x80000000
	s_fmac_f32 s28, s27, s27
	s_wait_alu 0xfffe
	s_add_f32 s30, s25, s25
	s_delay_alu instid0(SALU_CYCLE_3) | instskip(NEXT) | instid1(SALU_CYCLE_3)
	s_fmac_f32 s28, s27, s30
	s_add_f32 s30, s29, s28
	s_delay_alu instid0(SALU_CYCLE_3) | instskip(SKIP_2) | instid1(SALU_CYCLE_1)
	s_fmaak_f32 s35, s30, s35, 0x3e91f4c4
	s_sub_f32 s29, s30, s29
	s_wait_alu 0xfffe
	s_fmaak_f32 s35, s30, s35, 0x3ecccdef
	s_delay_alu instid0(SALU_CYCLE_1) | instskip(SKIP_3) | instid1(SALU_CYCLE_1)
	s_sub_f32 s28, s28, s29
	s_mul_f32 s29, s27, s30
	s_wait_alu 0xfffe
	s_mul_f32 s37, s30, s35
	s_xor_b32 s45, s29, 0x80000000
	s_delay_alu instid0(SALU_CYCLE_2) | instskip(SKIP_2) | instid1(SALU_CYCLE_2)
	s_xor_b32 s44, s37, 0x80000000
	s_fmac_f32 s45, s30, s27
	s_fmac_f32 s44, s30, s35
	;; [unrolled: 1-line block ×3, first 2 shown]
	s_delay_alu instid0(SALU_CYCLE_2) | instskip(NEXT) | instid1(SALU_CYCLE_2)
	s_fmac_f32 s44, s28, s35
	s_fmac_f32 s45, s28, s27
	s_delay_alu instid0(SALU_CYCLE_2) | instskip(SKIP_1) | instid1(SALU_CYCLE_2)
	s_add_f32 s35, s37, s44
	s_wait_alu 0xfffe
	s_sub_f32 s37, s35, s37
	s_add_f32 s46, s35, 0x3f2aaaaa
	s_delay_alu instid0(SALU_CYCLE_2) | instskip(NEXT) | instid1(SALU_CYCLE_2)
	s_sub_f32 s37, s44, s37
	s_add_f32 s44, s46, 0xbf2aaaaa
	s_delay_alu instid0(SALU_CYCLE_2) | instskip(NEXT) | instid1(SALU_CYCLE_2)
	s_add_f32 s30, s37, 0x31739010
	s_sub_f32 s35, s35, s44
	s_wait_alu 0xfffe
	s_delay_alu instid0(SALU_CYCLE_2) | instskip(SKIP_1) | instid1(SALU_CYCLE_2)
	s_add_f32 s28, s30, s35
	s_add_f32 s30, s29, s45
	;; [unrolled: 1-line block ×3, first 2 shown]
	s_delay_alu instid0(SALU_CYCLE_2) | instskip(SKIP_1) | instid1(SALU_CYCLE_1)
	s_sub_f32 s29, s30, s29
	s_wait_alu 0xfffe
	s_mul_f32 s37, s30, s35
	s_sub_f32 s44, s46, s35
	s_sub_f32 s29, s45, s29
	s_delay_alu instid0(SALU_CYCLE_1) | instskip(NEXT) | instid1(SALU_CYCLE_1)
	s_xor_b32 s46, s37, 0x80000000
	s_add_f32 s28, s28, s44
	s_fmac_f32 s46, s30, s35
	v_readfirstlane_b32 s44, v1
	v_ldexp_f32 v1, s27, 1
	s_cmp_lg_u32 s26, 0
	s_fmac_f32 s46, s30, s28
	s_sub_co_ci_u32 s26, s44, 0
	s_delay_alu instid0(VALU_DEP_1) | instskip(NEXT) | instid1(SALU_CYCLE_1)
	v_readfirstlane_b32 s27, v1
	s_fmac_f32 s46, s29, s35
	s_wait_alu 0xfffe
	s_cvt_f32_i32 s26, s26
	v_ldexp_f32 v1, s25, 1
	s_add_f32 s28, s37, s46
	s_wait_alu 0xfffe
	s_mul_f32 s25, s26, 0x3f317218
	s_delay_alu instid0(VALU_DEP_1)
	v_readfirstlane_b32 s35, v1
	s_add_f32 s29, s27, s28
	s_sub_f32 s30, s28, s37
	s_wait_alu 0xfffe
	s_xor_b32 s37, s25, 0x80000000
	s_sub_f32 s27, s29, s27
	s_sub_f32 s30, s46, s30
	s_fmamk_f32 s37, s26, 0x3f317218, s37
	s_wait_alu 0xfffe
	s_sub_f32 s27, s28, s27
	s_add_f32 s28, s35, s30
	s_fmamk_f32 s26, s26, 0xb102e308, s37
	s_wait_alu 0xfffe
	s_delay_alu instid0(SALU_CYCLE_1) | instskip(NEXT) | instid1(SALU_CYCLE_1)
	s_add_f32 s27, s28, s27
	s_add_f32 s28, s25, s26
	s_wait_alu 0xfffe
	s_delay_alu instid0(SALU_CYCLE_1) | instskip(NEXT) | instid1(SALU_CYCLE_1)
	s_add_f32 s30, s29, s27
	s_sub_f32 s25, s28, s25
	s_delay_alu instid0(SALU_CYCLE_2)
	s_add_f32 s35, s28, s30
	s_sub_f32 s29, s30, s29
	s_wait_alu 0xfffe
	s_sub_f32 s25, s26, s25
	s_sub_f32 s37, s35, s28
	;; [unrolled: 1-line block ×3, first 2 shown]
	s_delay_alu instid0(SALU_CYCLE_2) | instskip(SKIP_4) | instid1(SALU_CYCLE_3)
	s_sub_f32 s44, s35, s37
	s_sub_f32 s27, s30, s37
	s_wait_alu 0xfffe
	s_add_f32 s29, s25, s26
	s_sub_f32 s28, s28, s44
	s_add_f32 s27, s27, s28
	s_delay_alu instid0(SALU_CYCLE_1) | instskip(SKIP_1) | instid1(SALU_CYCLE_1)
	s_sub_f32 s28, s29, s25
	s_wait_alu 0xfffe
	s_add_f32 s27, s29, s27
	s_delay_alu instid0(SALU_CYCLE_1) | instskip(SKIP_4) | instid1(SALU_CYCLE_2)
	s_sub_f32 s29, s29, s28
	s_sub_f32 s26, s26, s28
	s_wait_alu 0xfffe
	s_add_f32 s30, s35, s27
	s_sub_f32 s25, s25, s29
	s_sub_f32 s28, s30, s35
	s_wait_alu 0xfffe
	s_delay_alu instid0(SALU_CYCLE_1) | instskip(NEXT) | instid1(SALU_CYCLE_1)
	s_add_f32 s25, s26, s25
	s_sub_f32 s26, s27, s28
	s_wait_alu 0xfffe
	s_delay_alu instid0(SALU_CYCLE_2) | instskip(SKIP_1) | instid1(SALU_CYCLE_2)
	s_add_f32 s25, s25, s26
	s_wait_alu 0xfffe
	s_add_f32 s26, s30, s25
	s_wait_alu 0xfffe
	s_delay_alu instid0(SALU_CYCLE_2) | instskip(SKIP_2) | instid1(SALU_CYCLE_1)
	s_mul_f32 s27, s11, s26
	s_sub_f32 s28, s26, s30
	s_wait_alu 0xfffe
	s_xor_b32 s29, s27, 0x80000000
	s_delay_alu instid0(SALU_CYCLE_1) | instskip(SKIP_2) | instid1(SALU_CYCLE_2)
	s_sub_f32 s25, s25, s28
	s_fmac_f32 s29, s11, s26
	s_wait_alu 0xfffe
	s_fmac_f32 s29, s11, s25
	v_cmp_class_f32_e64 s25, s27, 0x204
	s_delay_alu instid0(SALU_CYCLE_2) | instskip(SKIP_2) | instid1(SALU_CYCLE_1)
	s_add_f32 s26, s27, s29
	s_and_b32 s25, s25, exec_lo
	s_wait_alu 0xfffe
	s_sub_f32 s25, s26, s27
	s_cselect_b32 s26, s27, s26
	s_wait_alu 0xfffe
	s_and_b32 s27, s26, 0x7fffffff
	s_sub_f32 s25, s29, s25
	s_wait_alu 0xfffe
	s_cmp_neq_f32 s27, 0x7f800000
	s_delay_alu instid0(SALU_CYCLE_1)
	s_cselect_b32 s25, s25, 0
	s_cmp_eq_f32 s26, 0x42b17218
	s_cselect_b32 s27, 0x37000000, 0
	s_wait_alu 0xfffe
	s_sub_f32 s26, s26, s27
	s_add_f32 s25, s27, s25
	s_wait_alu 0xfffe
	s_delay_alu instid0(SALU_CYCLE_1) | instskip(NEXT) | instid1(SALU_CYCLE_3)
	s_mul_f32 s28, s26, 0x3fb8aa3b
	s_xor_b32 s29, s28, 0x80000000
	s_rndne_f32 s30, s28
	s_fmamk_f32 s29, s26, 0x3fb8aa3b, s29
	s_cmp_nlt_f32 s26, 0xc2ce8ed0
	s_delay_alu instid0(SALU_CYCLE_1) | instskip(NEXT) | instid1(SALU_CYCLE_1)
	s_sub_f32 s28, s28, s30
	s_fmamk_f32 s29, s26, 0x32a5705f, s29
	s_cselect_b32 vcc_lo, -1, 0
	s_cmp_ngt_f32 s26, 0x42b17218
	s_trunc_f32 s26, s11
	s_add_f32 s28, s28, s29
	s_cvt_i32_f32 s29, s30
	s_delay_alu instid0(SALU_CYCLE_2)
	v_s_exp_f32 s28, s28
	s_wait_alu 0xf1ff
	s_delay_alu instid0(TRANS32_DEP_1) | instid1(SALU_CYCLE_1)
	v_ldexp_f32 v1, s28, s29
	s_mul_f32 s28, s11, 0.5
	s_delay_alu instid0(VALU_DEP_1)
	v_cndmask_b32_e32 v1, 0, v1, vcc_lo
	s_cselect_b32 vcc_lo, -1, 0
	s_wait_alu 0xfffe
	s_cmp_eq_f32 s26, s11
	s_trunc_f32 s29, s28
	v_cndmask_b32_e32 v1, 0x7f800000, v1, vcc_lo
	s_cselect_b32 s30, -1, 0
	s_wait_alu 0xfffe
	s_cmp_neq_f32 s29, s28
	s_delay_alu instid0(VALU_DEP_1)
	v_fma_f32 v2, s25, v1, v1
	v_cmp_class_f32_e64 vcc_lo, v1, 0x204
	s_cselect_b32 s27, -1, 0
	s_wait_alu 0xfffe
	s_and_b32 s25, s30, s27
	s_wait_alu 0xfffd
	v_cndmask_b32_e32 v1, v2, v1, vcc_lo
	s_wait_alu 0xfffe
	s_and_b32 s27, s25, exec_lo
	s_cselect_b32 s27, s10, 1.0
	s_cmp_eq_f32 s26, s11
	v_cmp_class_f32_e64 s26, s10, 0x204
	s_wait_alu 0xfffe
	v_bfi_b32 v1, 0x7fffffff, v1, s27
	s_cselect_b32 vcc_lo, -1, 0
	s_cmp_lt_f32 s10, 0
	s_wait_alu 0xfffe
	s_delay_alu instid0(VALU_DEP_1) | instskip(SKIP_3) | instid1(VALU_DEP_1)
	v_cndmask_b32_e32 v2, 0x7fc00000, v1, vcc_lo
	s_cselect_b32 vcc_lo, -1, 0
	s_cmp_eq_f32 s10, 0
	s_wait_alu 0xfffe
	v_cndmask_b32_e32 v1, v1, v2, vcc_lo
	s_cselect_b32 s27, -1, 0
	s_wait_alu 0xfffe
	s_or_b32 vcc_lo, s27, s26
	s_cmp_lt_f32 s11, 0
	s_cselect_b32 s11, -1, 0
	s_wait_alu 0xfffe
	s_xor_b32 s11, s11, s27
	s_wait_alu 0xfffe
	s_and_b32 s11, s11, exec_lo
	s_cselect_b32 s11, 0, 0x7f800000
	s_and_b32 s25, s25, exec_lo
	s_cselect_b32 s25, s10, 0
	s_cmp_o_f32 s10, s10
	s_wait_alu 0xfffe
	v_mov_b32_e32 v2, s25
	s_delay_alu instid0(VALU_DEP_1) | instskip(NEXT) | instid1(VALU_DEP_1)
	v_bfi_b32 v2, 0x7fffffff, s11, v2
	v_cndmask_b32_e32 v1, v1, v2, vcc_lo
	s_cselect_b32 vcc_lo, -1, 0
	s_wait_alu 0xfffe
	s_delay_alu instid0(VALU_DEP_1)
	v_cndmask_b32_e32 v48, 0x7fc00000, v1, vcc_lo
.LBB56_4:
	v_bfe_u32 v37, v0, 10, 10
	s_lshl_b32 s11, ttmp9, 5
	s_load_b96 s[28:30], s[0:1], 0x70
	v_and_b32_e32 v33, 0x3ff, v0
	s_ashr_i32 s35, s34, 31
	v_lshlrev_b32_e32 v30, 2, v37
	v_lshlrev_b32_e32 v35, 10, v37
	s_mov_b32 s37, 0
	v_dual_mov_b32 v21, 0 :: v_dual_lshlrev_b32 v36, 3, v33
	s_delay_alu instid0(VALU_DEP_3) | instskip(SKIP_2) | instid1(VALU_DEP_4)
	v_or_b32_e32 v24, 3, v30
	v_or_b32_e32 v26, 2, v30
	;; [unrolled: 1-line block ×3, first 2 shown]
	v_add_nc_u32_e32 v16, 0x6800, v36
	s_delay_alu instid0(VALU_DEP_4) | instskip(NEXT) | instid1(VALU_DEP_3)
	v_add_nc_u32_e32 v25, s11, v24
	v_add_nc_u32_e32 v31, s11, v27
	s_delay_alu instid0(VALU_DEP_3) | instskip(SKIP_1) | instid1(VALU_DEP_4)
	v_add_nc_u32_e32 v17, v16, v35
	v_lshl_add_u32 v18, v27, 8, v16
	v_mul_hi_u32 v3, v25, s20
	v_lshl_add_u32 v19, v26, 8, v16
	s_wait_kmcnt 0x0
	s_mul_i32 s44, s34, s29
	s_ashr_i32 s29, s28, 31
	v_mul_hi_u32 v0, v31, s20
	s_wait_alu 0xfffe
	s_lshr_b64 s[46:47], s[28:29], 2
	s_lshr_b32 s10, s29, 2
	s_mul_i32 s26, s36, s30
	v_add_nc_u32_e32 v3, v25, v3
	s_wait_alu 0xfffe
	s_ashr_i32 s27, s26, 31
	s_ashr_i32 s45, s44, 31
	s_wait_alu 0xfffe
	s_add_nc_u64 s[4:5], s[4:5], s[26:27]
	v_add_nc_u32_e32 v0, v31, v0
	v_lshrrev_b32_e32 v3, s21, v3
	s_wait_alu 0xfffe
	s_add_nc_u64 s[4:5], s[4:5], s[44:45]
	v_lshl_add_u32 v16, v24, 8, v16
	v_lshrrev_b32_e32 v0, s21, v0
	v_mul_lo_u32 v3, v3, s22
	s_delay_alu instid0(VALU_DEP_2) | instskip(NEXT) | instid1(VALU_DEP_2)
	v_mul_lo_u32 v4, v0, s22
	v_sub_nc_u32_e32 v13, v25, v3
	s_delay_alu instid0(VALU_DEP_2) | instskip(NEXT) | instid1(VALU_DEP_2)
	v_sub_nc_u32_e32 v10, v31, v4
	v_mad_co_u64_u32 v[6:7], null, s46, v13, 0
	v_add_nc_u32_e32 v28, s11, v26
	s_delay_alu instid0(VALU_DEP_1) | instskip(NEXT) | instid1(VALU_DEP_1)
	v_mul_hi_u32 v2, v28, s20
	v_add_nc_u32_e32 v2, v28, v2
	s_delay_alu instid0(VALU_DEP_1) | instskip(NEXT) | instid1(VALU_DEP_1)
	v_lshrrev_b32_e32 v2, s21, v2
	v_mul_lo_u32 v2, v2, s22
	s_delay_alu instid0(VALU_DEP_1) | instskip(SKIP_1) | instid1(VALU_DEP_2)
	v_sub_nc_u32_e32 v11, v28, v2
	v_mad_co_u64_u32 v[2:3], null, s46, v10, 0
	v_mad_co_u64_u32 v[4:5], null, s46, v11, 0
	v_add_nc_u32_e32 v32, s11, v30
	s_delay_alu instid0(VALU_DEP_1) | instskip(NEXT) | instid1(VALU_DEP_1)
	v_mul_hi_u32 v1, v32, s20
	v_add_nc_u32_e32 v1, v32, v1
	s_delay_alu instid0(VALU_DEP_1) | instskip(NEXT) | instid1(VALU_DEP_1)
	v_lshrrev_b32_e32 v1, s21, v1
	v_mul_lo_u32 v1, v1, s22
	s_delay_alu instid0(VALU_DEP_1) | instskip(NEXT) | instid1(VALU_DEP_1)
	v_sub_nc_u32_e32 v53, v32, v1
	v_mad_co_u64_u32 v[0:1], null, s46, v53, 0
	s_delay_alu instid0(VALU_DEP_1) | instskip(SKIP_3) | instid1(VALU_DEP_3)
	v_mad_co_u64_u32 v[8:9], null, s10, v53, v[1:2]
	v_mov_b32_e32 v1, v3
	v_mov_b32_e32 v3, v5
	v_dual_mov_b32 v5, v7 :: v_dual_lshlrev_b32 v12, 4, v33
	v_mad_co_u64_u32 v[9:10], null, s10, v10, v[1:2]
	v_mov_b32_e32 v1, v8
	s_delay_alu instid0(VALU_DEP_4) | instskip(NEXT) | instid1(VALU_DEP_4)
	v_mad_co_u64_u32 v[7:8], null, s10, v11, v[3:4]
	v_mad_co_u64_u32 v[10:11], null, s10, v13, v[5:6]
	s_delay_alu instid0(VALU_DEP_3)
	v_lshlrev_b64_e32 v[0:1], 2, v[0:1]
	v_mov_b32_e32 v3, v9
	s_wait_alu 0xfffe
	v_add_co_u32 v12, s4, s4, v12
	v_mov_b32_e32 v5, v7
	s_wait_alu 0xf1ff
	v_add_co_ci_u32_e64 v13, null, s5, 0, s4
	v_mov_b32_e32 v7, v10
	v_lshlrev_b64_e32 v[8:9], 2, v[2:3]
	v_add_co_u32 v0, vcc_lo, v12, v0
	v_lshlrev_b64_e32 v[4:5], 2, v[4:5]
	s_wait_alu 0xfffd
	v_add_co_ci_u32_e64 v1, null, v13, v1, vcc_lo
	v_lshlrev_b64_e32 v[10:11], 2, v[6:7]
	v_add_co_u32 v6, vcc_lo, v12, v8
	s_wait_alu 0xfffd
	v_add_co_ci_u32_e64 v7, null, v13, v9, vcc_lo
	v_add_co_u32 v8, vcc_lo, v12, v4
	global_load_b128 v[0:3], v[0:1], off
	s_wait_alu 0xfffd
	v_add_co_ci_u32_e64 v9, null, v13, v5, vcc_lo
	v_add_co_u32 v12, vcc_lo, v12, v10
	s_wait_alu 0xfffd
	v_add_co_ci_u32_e64 v13, null, v13, v11, vcc_lo
	s_clause 0x2
	global_load_b128 v[4:7], v[6:7], off
	global_load_b128 v[8:11], v[8:9], off
	;; [unrolled: 1-line block ×3, first 2 shown]
	s_ashr_i32 s10, s33, 31
	s_mul_u64 s[4:5], s[40:41], s[42:43]
	s_cmp_eq_u64 s[14:15], 0
	s_wait_loadcnt 0x3
	v_fma_mixlo_f16 v1, s24, v1, 0
	v_fma_mixlo_f16 v0, s24, v0, 0
	v_fma_mixlo_f16 v3, s24, v3, 0
	v_fma_mixlo_f16 v2, s24, v2, 0
	s_delay_alu instid0(VALU_DEP_4) | instskip(NEXT) | instid1(VALU_DEP_4)
	v_lshlrev_b32_e32 v1, 16, v1
	v_and_b32_e32 v0, 0xffff, v0
	s_delay_alu instid0(VALU_DEP_4) | instskip(NEXT) | instid1(VALU_DEP_4)
	v_lshlrev_b32_e32 v3, 16, v3
	v_and_b32_e32 v2, 0xffff, v2
	s_wait_loadcnt 0x2
	v_fma_mixlo_f16 v4, s24, v4, 0
	v_fma_mixlo_f16 v5, s24, v5, 0
	;; [unrolled: 1-line block ×4, first 2 shown]
	s_wait_loadcnt 0x1
	v_fma_mixlo_f16 v8, s24, v8, 0
	v_fma_mixlo_f16 v9, s24, v9, 0
	;; [unrolled: 1-line block ×4, first 2 shown]
	s_wait_loadcnt 0x0
	v_fma_mixlo_f16 v12, s24, v12, 0
	v_fma_mixlo_f16 v13, s24, v13, 0
	v_or_b32_e32 v0, v1, v0
	v_or3_b32 v1, v3, v2, 0
	v_lshlrev_b32_e32 v2, 16, v5
	v_and_b32_e32 v3, 0xffff, v4
	v_lshlrev_b32_e32 v4, 16, v7
	v_and_b32_e32 v5, 0xffff, v6
	;; [unrolled: 2-line block ×3, first 2 shown]
	v_fma_mixlo_f16 v14, s24, v14, 0
	v_fma_mixlo_f16 v15, s24, v15, 0
	v_lshlrev_b32_e32 v8, 16, v11
	v_and_b32_e32 v9, 0xffff, v10
	v_lshlrev_b32_e32 v10, 16, v13
	v_and_b32_e32 v11, 0xffff, v12
	v_or_b32_e32 v2, v2, v3
	v_or3_b32 v3, v4, v5, 0
	v_or_b32_e32 v4, v6, v7
	v_lshlrev_b32_e32 v12, 16, v15
	v_and_b32_e32 v13, 0xffff, v14
	v_or_b32_e32 v6, v10, v11
	v_or3_b32 v0, 0, 0, v0
	v_or3_b32 v2, 0, 0, v2
	;; [unrolled: 1-line block ×6, first 2 shown]
	ds_store_b64 v17, v[0:1]
	ds_store_b64 v18, v[2:3]
	;; [unrolled: 1-line block ×4, first 2 shown]
	s_wait_dscnt 0x0
	s_barrier_signal -1
	s_barrier_wait -1
	global_inv scope:SCOPE_SE
	s_cbranch_scc1 .LBB56_6
; %bb.5:
	s_load_b32 s2, s[0:1], 0xd0
	s_mov_b32 s25, s37
	s_wait_kmcnt 0x0
	s_mul_i32 s2, s2, s36
	s_delay_alu instid0(SALU_CYCLE_1)
	s_add_co_i32 s24, s2, ttmp9
	s_wait_alu 0xfffe
	s_lshl_b64 s[24:25], s[24:25], 2
	s_wait_alu 0xfffe
	s_add_nc_u64 s[14:15], s[14:15], s[24:25]
	s_load_b32 s2, s[14:15], 0x0
.LBB56_6:
	s_clause 0x2
	s_load_b64 s[14:15], s[0:1], 0x8c
	s_load_b128 s[24:27], s[0:1], 0x98
	s_load_b64 s[42:43], s[0:1], 0xa8
	s_mul_i32 s4, s5, s3
	s_ashr_i32 s30, s31, 1
	s_wait_alu 0xfffe
	s_sub_co_i32 s4, s40, s4
	s_xor_b32 s29, s35, s10
	s_add_co_i32 s10, s5, 1
	s_wait_alu 0xfffe
	s_sub_co_i32 s31, s4, s3
	v_lshlrev_b32_e32 v29, 2, v33
	v_lshrrev_b32_e32 v61, 3, v33
	v_mul_u32_u24_e32 v54, 0x90, v33
	v_or_b32_e32 v52, 1, v32
	v_or_b32_e32 v51, 2, v32
	;; [unrolled: 1-line block ×3, first 2 shown]
	v_add_nc_u32_e32 v44, 0x4800, v35
	v_lshrrev_b32_e32 v39, 4, v33
	v_and_b32_e32 v60, 28, v29
	v_and_b32_e32 v38, 60, v29
	v_mbcnt_lo_u32_b32 v34, -1, 0
	s_wait_kmcnt 0x0
	s_ashr_i32 s28, s14, 2
	s_ashr_i32 s14, s26, 2
	s_cmp_ge_u32 s4, s3
	s_mul_u64 s[24:25], s[24:25], s[36:37]
	s_cselect_b32 s10, s10, s5
	s_cselect_b32 s4, s31, s4
	s_wait_alu 0xfffe
	s_add_co_i32 s26, s10, 1
	s_cmp_ge_u32 s4, s3
	s_mul_u64 s[40:41], s[42:43], s[36:37]
	s_wait_alu 0xfffe
	s_cselect_b32 s3, s26, s10
	s_add_nc_u64 s[4:5], s[6:7], s[24:25]
	s_xor_b32 s3, s3, s29
	s_add_nc_u64 s[6:7], s[8:9], s[40:41]
	s_sub_co_i32 s25, s3, s29
	s_and_b32 s10, ttmp7, 0xffff
	s_wait_alu 0xfffe
	s_mul_i32 s8, s25, s15
	s_mul_i32 s26, s25, s27
	s_add_co_i32 s3, s2, 0xffffff80
	s_lshl_b32 s24, s10, 7
	s_ashr_i32 s9, s8, 31
	s_wait_alu 0xfffe
	s_ashr_i32 s27, s26, 31
	s_add_nc_u64 s[4:5], s[4:5], s[8:9]
	s_cmp_ge_i32 s24, s3
	s_wait_alu 0xfffe
	s_add_nc_u64 s[26:27], s[6:7], s[26:27]
	s_cbranch_scc1 .LBB56_43
; %bb.7:
	v_dual_mov_b32 v40, 0 :: v_dual_add_nc_u32 v1, v61, v30
	v_dual_mov_b32 v41, 0 :: v_dual_lshlrev_b32 v2, 2, v60
	s_lshl_b32 s6, s28, 5
	s_delay_alu instid0(VALU_DEP_2)
	v_mul_lo_u32 v0, s28, v1
	v_mul_hi_u32 v3, s20, v52
	v_mul_hi_u32 v4, s20, v51
	;; [unrolled: 1-line block ×3, first 2 shown]
	v_lshl_add_u32 v6, v37, 1, v39
	v_mad_u32_u24 v56, 0x90, v1, v2
	s_ashr_i32 s29, s28, 31
	s_cmp_lg_u64 s[38:39], 0
	v_dual_mov_b32 v43, 0 :: v_dual_add_nc_u32 v2, s6, v0
	v_mul_lo_u32 v12, s14, v6
	v_dual_mov_b32 v80, 0xfeffffff :: v_dual_add_nc_u32 v3, v52, v3
	s_delay_alu instid0(VALU_DEP_3) | instskip(SKIP_2) | instid1(VALU_DEP_3)
	v_dual_mov_b32 v47, 0 :: v_dual_add_nc_u32 v8, s6, v2
	v_dual_mov_b32 v45, 0 :: v_dual_add_nc_u32 v4, v51, v4
	;; [unrolled: 1-line block ×4, first 2 shown]
	s_cselect_b32 s8, -1, 0
	s_lshl_b32 s6, s14, 4
	v_lshrrev_b32_e32 v7, s21, v3
	v_lshrrev_b32_e32 v4, s21, v4
	;; [unrolled: 1-line block ×3, first 2 shown]
	s_wait_alu 0xfffe
	v_dual_mov_b32 v79, 0 :: v_dual_add_nc_u32 v14, s6, v12
	v_mul_lo_u32 v7, v7, s22
	v_mul_lo_u32 v4, v4, s22
	;; [unrolled: 1-line block ×3, first 2 shown]
	s_delay_alu instid0(VALU_DEP_4) | instskip(SKIP_2) | instid1(VALU_DEP_3)
	v_dual_mov_b32 v77, 0 :: v_dual_add_nc_u32 v16, s6, v14
	v_dual_mov_b32 v78, 0xfeffffff :: v_dual_lshlrev_b32 v13, 2, v38
	v_ashrrev_i32_e32 v1, 31, v0
	v_dual_mov_b32 v73, 0 :: v_dual_add_nc_u32 v18, s6, v16
	v_sub_nc_u32_e32 v7, v52, v7
	v_sub_nc_u32_e32 v4, v51, v4
	;; [unrolled: 1-line block ×3, first 2 shown]
	v_ashrrev_i32_e32 v3, 31, v2
	v_ashrrev_i32_e32 v9, 31, v8
	;; [unrolled: 1-line block ×3, first 2 shown]
	v_lshl_or_b32 v64, v6, 8, v13
	v_ashrrev_i32_e32 v13, 31, v12
	v_ashrrev_i32_e32 v15, 31, v14
	;; [unrolled: 1-line block ×4, first 2 shown]
	v_mul_lo_u32 v62, v53, s30
	v_mul_lo_u32 v63, v7, s30
	;; [unrolled: 1-line block ×4, first 2 shown]
	v_lshlrev_b64_e32 v[4:5], 2, v[0:1]
	v_lshlrev_b64_e32 v[6:7], 2, v[2:3]
	;; [unrolled: 1-line block ×8, first 2 shown]
	v_dual_mov_b32 v42, 0 :: v_dual_add_nc_u32 v55, 0x6800, v35
	v_dual_mov_b32 v74, 0 :: v_dual_add_nc_u32 v57, 0x1200, v56
	;; [unrolled: 1-line block ×3, first 2 shown]
	v_add_nc_u32_e32 v59, 0x3600, v56
	v_add_nc_u32_e32 v67, 0x1000, v64
	;; [unrolled: 1-line block ×4, first 2 shown]
	v_lshlrev_b32_e32 v70, 2, v60
	v_dual_mov_b32 v76, 0xfeffffff :: v_dual_lshlrev_b32 v71, 2, v38
	v_mbcnt_lo_u32_b32 v72, -1, 0
	s_ashr_i32 s15, s14, 31
	s_add_nc_u64 s[6:7], s[0:1], 0xd0
.LBB56_8:                               ; =>This Inner Loop Header: Depth=1
	s_ashr_i32 s25, s24, 31
	v_dual_mov_b32 v92, 0 :: v_dual_mov_b32 v87, 0
	s_wait_alu 0xfffe
	s_mul_u64 s[40:41], s[24:25], s[28:29]
	v_mov_b32_e32 v83, 0
	s_wait_alu 0xfffe
	s_lshl_b64 s[40:41], s[40:41], 2
	v_dual_mov_b32 v81, 0 :: v_dual_mov_b32 v86, 0
	s_wait_alu 0xfffe
	s_add_nc_u64 s[40:41], s[4:5], s[40:41]
	v_mov_b32_e32 v82, 0
	s_wait_alu 0xfffe
	v_add_co_u32 v0, vcc_lo, s40, v4
	s_wait_alu 0xfffd
	v_add_co_ci_u32_e64 v1, null, s41, v5, vcc_lo
	v_add_co_u32 v2, vcc_lo, s40, v6
	s_wait_alu 0xfffd
	v_add_co_ci_u32_e64 v3, null, s41, v7, vcc_lo
	;; [unrolled: 3-line block ×8, first 2 shown]
	s_clause 0x3
	global_load_b128 v[88:91], v[0:1], off
	global_load_b128 v[93:96], v[2:3], off
	;; [unrolled: 1-line block ×4, first 2 shown]
	s_wait_loadcnt 0x3
	ds_store_b128 v56, v[88:91]
	s_wait_loadcnt 0x2
	ds_store_b128 v57, v[93:96]
	;; [unrolled: 2-line block ×4, first 2 shown]
	s_wait_dscnt 0x0
	s_barrier_signal -1
	s_barrier_wait -1
	global_inv scope:SCOPE_SE
	ds_load_b128 v[97:100], v54
	ds_load_b128 v[101:104], v55
	ds_load_b128 v[105:108], v55 offset:256
	ds_load_b128 v[117:120], v54 offset:4608
	;; [unrolled: 1-line block ×6, first 2 shown]
	s_wait_dscnt 0x6
	;;#ASMSTART
	v_dot2_f32_f16 v92, v97, v101, v92
	;;#ASMEND
	;;#ASMSTART
	v_dot2_f32_f16 v92, v98, v102, v92
	;;#ASMEND
	;; [unrolled: 3-line block ×4, first 2 shown]
	s_wait_dscnt 0x5
	;;#ASMSTART
	v_dot2_f32_f16 v87, v97, v105, v87
	;;#ASMEND
	;;#ASMSTART
	v_dot2_f32_f16 v87, v98, v106, v87
	;;#ASMEND
	;; [unrolled: 3-line block ×3, first 2 shown]
	v_mov_b32_e32 v94, 0
	;;#ASMSTART
	v_dot2_f32_f16 v87, v100, v108, v87
	;;#ASMEND
	s_wait_dscnt 0x3
	;;#ASMSTART
	v_dot2_f32_f16 v83, v97, v109, v83
	;;#ASMEND
	;;#ASMSTART
	v_dot2_f32_f16 v83, v98, v110, v83
	;;#ASMEND
	;; [unrolled: 3-line block ×4, first 2 shown]
	s_wait_dscnt 0x2
	;;#ASMSTART
	v_dot2_f32_f16 v81, v97, v113, v81
	;;#ASMEND
	;;#ASMSTART
	v_dot2_f32_f16 v81, v98, v114, v81
	;;#ASMEND
	;; [unrolled: 3-line block ×6, first 2 shown]
	v_mov_b32_e32 v89, 0
	;;#ASMSTART
	v_dot2_f32_f16 v94, v119, v103, v94
	;;#ASMEND
	;;#ASMSTART
	v_dot2_f32_f16 v94, v120, v104, v94
	;;#ASMEND
	;; [unrolled: 3-line block ×12, first 2 shown]
	v_dual_mov_b32 v95, 0 :: v_dual_mov_b32 v88, 0
	;;#ASMSTART
	v_dot2_f32_f16 v82, v119, v115, v82
	;;#ASMEND
	;;#ASMSTART
	v_dot2_f32_f16 v82, v120, v116, v82
	;;#ASMEND
	s_wait_dscnt 0x1
	;;#ASMSTART
	v_dot2_f32_f16 v95, v121, v101, v95
	;;#ASMEND
	;;#ASMSTART
	v_dot2_f32_f16 v95, v122, v102, v95
	;;#ASMEND
	v_dual_mov_b32 v91, 0 :: v_dual_mov_b32 v84, 0
	;;#ASMSTART
	v_dot2_f32_f16 v95, v123, v103, v95
	;;#ASMEND
	;;#ASMSTART
	v_dot2_f32_f16 v95, v124, v104, v95
	;;#ASMEND
	;; [unrolled: 3-line block ×12, first 2 shown]
	v_dual_mov_b32 v96, 0 :: v_dual_mov_b32 v93, 0
	;;#ASMSTART
	v_dot2_f32_f16 v84, v123, v115, v84
	;;#ASMEND
	;;#ASMSTART
	v_dot2_f32_f16 v84, v124, v116, v84
	;;#ASMEND
	s_wait_dscnt 0x0
	;;#ASMSTART
	v_dot2_f32_f16 v96, v125, v101, v96
	;;#ASMEND
	;;#ASMSTART
	v_dot2_f32_f16 v96, v126, v102, v96
	;;#ASMEND
	;; [unrolled: 3-line block ×6, first 2 shown]
	v_dual_mov_b32 v90, 0 :: v_dual_mov_b32 v85, 0
	;;#ASMSTART
	v_dot2_f32_f16 v93, v127, v107, v93
	;;#ASMEND
	;;#ASMSTART
	v_dot2_f32_f16 v93, v128, v108, v93
	;;#ASMEND
	;; [unrolled: 3-line block ×10, first 2 shown]
	ds_load_b128 v[97:100], v54 offset:16
	ds_load_b128 v[101:104], v55 offset:16
	;; [unrolled: 1-line block ×8, first 2 shown]
	s_wait_dscnt 0x6
	;;#ASMSTART
	v_dot2_f32_f16 v92, v97, v101, v92
	;;#ASMEND
	;;#ASMSTART
	v_dot2_f32_f16 v92, v98, v102, v92
	;;#ASMEND
	;;#ASMSTART
	v_dot2_f32_f16 v92, v99, v103, v92
	;;#ASMEND
	;;#ASMSTART
	v_dot2_f32_f16 v92, v100, v104, v92
	;;#ASMEND
	s_wait_dscnt 0x5
	;;#ASMSTART
	v_dot2_f32_f16 v87, v97, v105, v87
	;;#ASMEND
	;;#ASMSTART
	v_dot2_f32_f16 v87, v98, v106, v87
	;;#ASMEND
	;;#ASMSTART
	v_dot2_f32_f16 v87, v99, v107, v87
	;;#ASMEND
	;;#ASMSTART
	v_dot2_f32_f16 v87, v100, v108, v87
	;;#ASMEND
	;; [unrolled: 13-line block ×5, first 2 shown]
	;;#ASMSTART
	v_dot2_f32_f16 v89, v117, v105, v89
	;;#ASMEND
	;;#ASMSTART
	v_dot2_f32_f16 v89, v118, v106, v89
	;;#ASMEND
	;;#ASMSTART
	v_dot2_f32_f16 v89, v119, v107, v89
	;;#ASMEND
	;;#ASMSTART
	v_dot2_f32_f16 v89, v120, v108, v89
	;;#ASMEND
	;;#ASMSTART
	v_dot2_f32_f16 v86, v117, v109, v86
	;;#ASMEND
	;;#ASMSTART
	v_dot2_f32_f16 v86, v118, v110, v86
	;;#ASMEND
	;;#ASMSTART
	v_dot2_f32_f16 v86, v119, v111, v86
	;;#ASMEND
	;;#ASMSTART
	v_dot2_f32_f16 v86, v120, v112, v86
	;;#ASMEND
	;;#ASMSTART
	v_dot2_f32_f16 v82, v117, v113, v82
	;;#ASMEND
	;;#ASMSTART
	v_dot2_f32_f16 v82, v118, v114, v82
	;;#ASMEND
	;;#ASMSTART
	v_dot2_f32_f16 v82, v119, v115, v82
	;;#ASMEND
	;;#ASMSTART
	v_dot2_f32_f16 v82, v120, v116, v82
	;;#ASMEND
	s_wait_dscnt 0x1
	;;#ASMSTART
	v_dot2_f32_f16 v95, v121, v101, v95
	;;#ASMEND
	;;#ASMSTART
	v_dot2_f32_f16 v95, v122, v102, v95
	;;#ASMEND
	;; [unrolled: 3-line block ×16, first 2 shown]
	s_wait_dscnt 0x0
	;;#ASMSTART
	v_dot2_f32_f16 v96, v125, v101, v96
	;;#ASMEND
	;;#ASMSTART
	v_dot2_f32_f16 v96, v126, v102, v96
	;;#ASMEND
	;; [unrolled: 3-line block ×16, first 2 shown]
	ds_load_b128 v[97:100], v54 offset:32
	ds_load_b128 v[101:104], v55 offset:32
	;; [unrolled: 1-line block ×8, first 2 shown]
	s_wait_dscnt 0x6
	;;#ASMSTART
	v_dot2_f32_f16 v92, v97, v101, v92
	;;#ASMEND
	;;#ASMSTART
	v_dot2_f32_f16 v92, v98, v102, v92
	;;#ASMEND
	;;#ASMSTART
	v_dot2_f32_f16 v92, v99, v103, v92
	;;#ASMEND
	;;#ASMSTART
	v_dot2_f32_f16 v92, v100, v104, v92
	;;#ASMEND
	s_wait_dscnt 0x5
	;;#ASMSTART
	v_dot2_f32_f16 v87, v97, v105, v87
	;;#ASMEND
	;;#ASMSTART
	v_dot2_f32_f16 v87, v98, v106, v87
	;;#ASMEND
	;;#ASMSTART
	v_dot2_f32_f16 v87, v99, v107, v87
	;;#ASMEND
	;;#ASMSTART
	v_dot2_f32_f16 v87, v100, v108, v87
	;;#ASMEND
	;; [unrolled: 13-line block ×5, first 2 shown]
	;;#ASMSTART
	v_dot2_f32_f16 v89, v117, v105, v89
	;;#ASMEND
	;;#ASMSTART
	v_dot2_f32_f16 v89, v118, v106, v89
	;;#ASMEND
	;; [unrolled: 3-line block ×12, first 2 shown]
	s_wait_dscnt 0x1
	;;#ASMSTART
	v_dot2_f32_f16 v95, v121, v101, v95
	;;#ASMEND
	;;#ASMSTART
	v_dot2_f32_f16 v95, v122, v102, v95
	;;#ASMEND
	;; [unrolled: 3-line block ×16, first 2 shown]
	s_wait_dscnt 0x0
	;;#ASMSTART
	v_dot2_f32_f16 v96, v125, v101, v96
	;;#ASMEND
	;;#ASMSTART
	v_dot2_f32_f16 v96, v126, v102, v96
	;;#ASMEND
	;;#ASMSTART
	v_dot2_f32_f16 v96, v127, v103, v96
	;;#ASMEND
	;;#ASMSTART
	v_dot2_f32_f16 v96, v128, v104, v96
	;;#ASMEND
	;;#ASMSTART
	v_dot2_f32_f16 v93, v125, v105, v93
	;;#ASMEND
	;;#ASMSTART
	v_dot2_f32_f16 v93, v126, v106, v93
	;;#ASMEND
	;;#ASMSTART
	v_dot2_f32_f16 v93, v127, v107, v93
	;;#ASMEND
	;;#ASMSTART
	v_dot2_f32_f16 v93, v128, v108, v93
	;;#ASMEND
	;;#ASMSTART
	v_dot2_f32_f16 v90, v125, v109, v90
	;;#ASMEND
	;;#ASMSTART
	v_dot2_f32_f16 v90, v126, v110, v90
	;;#ASMEND
	;;#ASMSTART
	v_dot2_f32_f16 v90, v127, v111, v90
	;;#ASMEND
	;;#ASMSTART
	v_dot2_f32_f16 v90, v128, v112, v90
	;;#ASMEND
	;;#ASMSTART
	v_dot2_f32_f16 v85, v125, v113, v85
	;;#ASMEND
	;;#ASMSTART
	v_dot2_f32_f16 v85, v126, v114, v85
	;;#ASMEND
	;;#ASMSTART
	v_dot2_f32_f16 v85, v127, v115, v85
	;;#ASMEND
	;;#ASMSTART
	v_dot2_f32_f16 v85, v128, v116, v85
	;;#ASMEND
	ds_load_b128 v[97:100], v54 offset:48
	ds_load_b128 v[101:104], v55 offset:48
	ds_load_b128 v[105:108], v55 offset:304
	ds_load_b128 v[109:112], v55 offset:560
	ds_load_b128 v[113:116], v55 offset:816
	ds_load_b128 v[117:120], v54 offset:4656
	ds_load_b128 v[121:124], v54 offset:9264
	ds_load_b128 v[125:128], v54 offset:13872
	s_wait_dscnt 0x6
	;;#ASMSTART
	v_dot2_f32_f16 v92, v97, v101, v92
	;;#ASMEND
	;;#ASMSTART
	v_dot2_f32_f16 v92, v98, v102, v92
	;;#ASMEND
	;;#ASMSTART
	v_dot2_f32_f16 v92, v99, v103, v92
	;;#ASMEND
	;;#ASMSTART
	v_dot2_f32_f16 v92, v100, v104, v92
	;;#ASMEND
	s_wait_dscnt 0x5
	;;#ASMSTART
	v_dot2_f32_f16 v87, v97, v105, v87
	;;#ASMEND
	;;#ASMSTART
	v_dot2_f32_f16 v87, v98, v106, v87
	;;#ASMEND
	;;#ASMSTART
	v_dot2_f32_f16 v87, v99, v107, v87
	;;#ASMEND
	;;#ASMSTART
	v_dot2_f32_f16 v87, v100, v108, v87
	;;#ASMEND
	;; [unrolled: 13-line block ×5, first 2 shown]
	;;#ASMSTART
	v_dot2_f32_f16 v89, v117, v105, v89
	;;#ASMEND
	;;#ASMSTART
	v_dot2_f32_f16 v89, v118, v106, v89
	;;#ASMEND
	;; [unrolled: 3-line block ×12, first 2 shown]
	s_wait_dscnt 0x1
	;;#ASMSTART
	v_dot2_f32_f16 v95, v121, v101, v95
	;;#ASMEND
	;;#ASMSTART
	v_dot2_f32_f16 v95, v122, v102, v95
	;;#ASMEND
	;; [unrolled: 3-line block ×16, first 2 shown]
	s_wait_dscnt 0x0
	;;#ASMSTART
	v_dot2_f32_f16 v96, v125, v101, v96
	;;#ASMEND
	;;#ASMSTART
	v_dot2_f32_f16 v96, v126, v102, v96
	;;#ASMEND
	;; [unrolled: 3-line block ×16, first 2 shown]
	ds_load_b128 v[97:100], v54 offset:64
	ds_load_b128 v[101:104], v55 offset:64
	;; [unrolled: 1-line block ×8, first 2 shown]
	s_wait_dscnt 0x6
	;;#ASMSTART
	v_dot2_f32_f16 v92, v97, v101, v92
	;;#ASMEND
	;;#ASMSTART
	v_dot2_f32_f16 v92, v98, v102, v92
	;;#ASMEND
	;;#ASMSTART
	v_dot2_f32_f16 v92, v99, v103, v92
	;;#ASMEND
	;;#ASMSTART
	v_dot2_f32_f16 v92, v100, v104, v92
	;;#ASMEND
	s_wait_dscnt 0x5
	;;#ASMSTART
	v_dot2_f32_f16 v87, v97, v105, v87
	;;#ASMEND
	;;#ASMSTART
	v_dot2_f32_f16 v87, v98, v106, v87
	;;#ASMEND
	;;#ASMSTART
	v_dot2_f32_f16 v87, v99, v107, v87
	;;#ASMEND
	;;#ASMSTART
	v_dot2_f32_f16 v87, v100, v108, v87
	;;#ASMEND
	;; [unrolled: 13-line block ×5, first 2 shown]
	;;#ASMSTART
	v_dot2_f32_f16 v89, v117, v105, v89
	;;#ASMEND
	;;#ASMSTART
	v_dot2_f32_f16 v89, v118, v106, v89
	;;#ASMEND
	;; [unrolled: 3-line block ×12, first 2 shown]
	s_wait_dscnt 0x1
	;;#ASMSTART
	v_dot2_f32_f16 v95, v121, v101, v95
	;;#ASMEND
	;;#ASMSTART
	v_dot2_f32_f16 v95, v122, v102, v95
	;;#ASMEND
	;; [unrolled: 3-line block ×16, first 2 shown]
	s_wait_dscnt 0x0
	;;#ASMSTART
	v_dot2_f32_f16 v96, v125, v101, v96
	;;#ASMEND
	;;#ASMSTART
	v_dot2_f32_f16 v96, v126, v102, v96
	;;#ASMEND
	;; [unrolled: 3-line block ×16, first 2 shown]
	ds_load_b128 v[97:100], v54 offset:80
	ds_load_b128 v[101:104], v55 offset:80
	;; [unrolled: 1-line block ×8, first 2 shown]
	s_wait_dscnt 0x6
	;;#ASMSTART
	v_dot2_f32_f16 v92, v97, v101, v92
	;;#ASMEND
	;;#ASMSTART
	v_dot2_f32_f16 v92, v98, v102, v92
	;;#ASMEND
	;;#ASMSTART
	v_dot2_f32_f16 v92, v99, v103, v92
	;;#ASMEND
	;;#ASMSTART
	v_dot2_f32_f16 v92, v100, v104, v92
	;;#ASMEND
	s_wait_dscnt 0x5
	;;#ASMSTART
	v_dot2_f32_f16 v87, v97, v105, v87
	;;#ASMEND
	;;#ASMSTART
	v_dot2_f32_f16 v87, v98, v106, v87
	;;#ASMEND
	;;#ASMSTART
	v_dot2_f32_f16 v87, v99, v107, v87
	;;#ASMEND
	;;#ASMSTART
	v_dot2_f32_f16 v87, v100, v108, v87
	;;#ASMEND
	;; [unrolled: 13-line block ×5, first 2 shown]
	;;#ASMSTART
	v_dot2_f32_f16 v89, v117, v105, v89
	;;#ASMEND
	;;#ASMSTART
	v_dot2_f32_f16 v89, v118, v106, v89
	;;#ASMEND
	;; [unrolled: 3-line block ×12, first 2 shown]
	s_wait_dscnt 0x1
	;;#ASMSTART
	v_dot2_f32_f16 v95, v121, v101, v95
	;;#ASMEND
	;;#ASMSTART
	v_dot2_f32_f16 v95, v122, v102, v95
	;;#ASMEND
	;; [unrolled: 3-line block ×16, first 2 shown]
	s_wait_dscnt 0x0
	;;#ASMSTART
	v_dot2_f32_f16 v96, v125, v101, v96
	;;#ASMEND
	;;#ASMSTART
	v_dot2_f32_f16 v96, v126, v102, v96
	;;#ASMEND
	;; [unrolled: 3-line block ×16, first 2 shown]
	ds_load_b128 v[97:100], v54 offset:96
	ds_load_b128 v[101:104], v55 offset:96
	;; [unrolled: 1-line block ×8, first 2 shown]
	s_wait_dscnt 0x6
	;;#ASMSTART
	v_dot2_f32_f16 v92, v97, v101, v92
	;;#ASMEND
	;;#ASMSTART
	v_dot2_f32_f16 v92, v98, v102, v92
	;;#ASMEND
	;;#ASMSTART
	v_dot2_f32_f16 v92, v99, v103, v92
	;;#ASMEND
	;;#ASMSTART
	v_dot2_f32_f16 v92, v100, v104, v92
	;;#ASMEND
	s_wait_dscnt 0x5
	;;#ASMSTART
	v_dot2_f32_f16 v87, v97, v105, v87
	;;#ASMEND
	;;#ASMSTART
	v_dot2_f32_f16 v87, v98, v106, v87
	;;#ASMEND
	;;#ASMSTART
	v_dot2_f32_f16 v87, v99, v107, v87
	;;#ASMEND
	;;#ASMSTART
	v_dot2_f32_f16 v87, v100, v108, v87
	;;#ASMEND
	;; [unrolled: 13-line block ×5, first 2 shown]
	;;#ASMSTART
	v_dot2_f32_f16 v89, v117, v105, v89
	;;#ASMEND
	;;#ASMSTART
	v_dot2_f32_f16 v89, v118, v106, v89
	;;#ASMEND
	;; [unrolled: 3-line block ×12, first 2 shown]
	s_wait_dscnt 0x1
	;;#ASMSTART
	v_dot2_f32_f16 v95, v121, v101, v95
	;;#ASMEND
	;;#ASMSTART
	v_dot2_f32_f16 v95, v122, v102, v95
	;;#ASMEND
	;; [unrolled: 3-line block ×16, first 2 shown]
	s_wait_dscnt 0x0
	;;#ASMSTART
	v_dot2_f32_f16 v96, v125, v101, v96
	;;#ASMEND
	;;#ASMSTART
	v_dot2_f32_f16 v96, v126, v102, v96
	;;#ASMEND
	;; [unrolled: 3-line block ×16, first 2 shown]
	ds_load_b128 v[97:100], v54 offset:112
	ds_load_b128 v[101:104], v55 offset:112
	;; [unrolled: 1-line block ×8, first 2 shown]
	s_wait_dscnt 0x6
	;;#ASMSTART
	v_dot2_f32_f16 v92, v97, v101, v92
	;;#ASMEND
	;;#ASMSTART
	v_dot2_f32_f16 v92, v98, v102, v92
	;;#ASMEND
	;;#ASMSTART
	v_dot2_f32_f16 v92, v99, v103, v92
	;;#ASMEND
	;;#ASMSTART
	v_dot2_f32_f16 v92, v100, v104, v92
	;;#ASMEND
	s_wait_dscnt 0x5
	;;#ASMSTART
	v_dot2_f32_f16 v87, v97, v105, v87
	;;#ASMEND
	;;#ASMSTART
	v_dot2_f32_f16 v87, v98, v106, v87
	;;#ASMEND
	;;#ASMSTART
	v_dot2_f32_f16 v87, v99, v107, v87
	;;#ASMEND
	;;#ASMSTART
	v_dot2_f32_f16 v87, v100, v108, v87
	;;#ASMEND
	;; [unrolled: 13-line block ×5, first 2 shown]
	;;#ASMSTART
	v_dot2_f32_f16 v89, v117, v105, v89
	;;#ASMEND
	;;#ASMSTART
	v_dot2_f32_f16 v89, v118, v106, v89
	;;#ASMEND
	;; [unrolled: 3-line block ×12, first 2 shown]
	s_wait_dscnt 0x1
	;;#ASMSTART
	v_dot2_f32_f16 v95, v121, v101, v95
	;;#ASMEND
	;;#ASMSTART
	v_dot2_f32_f16 v95, v122, v102, v95
	;;#ASMEND
	;; [unrolled: 3-line block ×16, first 2 shown]
	s_wait_dscnt 0x0
	;;#ASMSTART
	v_dot2_f32_f16 v96, v125, v101, v96
	;;#ASMEND
	;;#ASMSTART
	v_dot2_f32_f16 v96, v126, v102, v96
	;;#ASMEND
	;; [unrolled: 3-line block ×16, first 2 shown]
	s_wait_loadcnt 0x0
	s_barrier_signal -1
	s_barrier_wait -1
	global_inv scope:SCOPE_SE
	s_clause 0x3
	global_load_b128 v[97:100], v[0:1], off offset:128
	global_load_b128 v[0:3], v[2:3], off offset:128
	;; [unrolled: 1-line block ×4, first 2 shown]
	s_and_not1_b32 vcc_lo, exec_lo, s8
	s_wait_loadcnt 0x3
	ds_store_b128 v56, v[97:100]
	s_wait_loadcnt 0x2
	ds_store_b128 v57, v[0:3]
	;; [unrolled: 2-line block ×4, first 2 shown]
	s_wait_dscnt 0x0
	s_barrier_signal -1
	s_barrier_wait -1
	global_inv scope:SCOPE_SE
	ds_load_b128 v[0:3], v54
	ds_load_b128 v[20:23], v55 offset:128
	ds_load_b128 v[97:100], v55 offset:384
	;; [unrolled: 1-line block ×7, first 2 shown]
	s_wait_dscnt 0x6
	;;#ASMSTART
	v_dot2_f32_f16 v92, v0, v20, v92
	;;#ASMEND
	;;#ASMSTART
	v_dot2_f32_f16 v92, v1, v21, v92
	;;#ASMEND
	;;#ASMSTART
	v_dot2_f32_f16 v92, v2, v22, v92
	;;#ASMEND
	;;#ASMSTART
	v_dot2_f32_f16 v92, v3, v23, v92
	;;#ASMEND
	s_wait_dscnt 0x5
	;;#ASMSTART
	v_dot2_f32_f16 v87, v0, v97, v87
	;;#ASMEND
	;;#ASMSTART
	v_dot2_f32_f16 v87, v1, v98, v87
	;;#ASMEND
	;;#ASMSTART
	v_dot2_f32_f16 v87, v2, v99, v87
	;;#ASMEND
	;;#ASMSTART
	v_dot2_f32_f16 v87, v3, v100, v87
	;;#ASMEND
	;; [unrolled: 13-line block ×5, first 2 shown]
	;;#ASMSTART
	v_dot2_f32_f16 v89, v109, v97, v89
	;;#ASMEND
	;;#ASMSTART
	v_dot2_f32_f16 v89, v110, v98, v89
	;;#ASMEND
	;; [unrolled: 3-line block ×12, first 2 shown]
	s_wait_dscnt 0x1
	;;#ASMSTART
	v_dot2_f32_f16 v95, v113, v20, v95
	;;#ASMEND
	;;#ASMSTART
	v_dot2_f32_f16 v95, v114, v21, v95
	;;#ASMEND
	;; [unrolled: 3-line block ×16, first 2 shown]
	s_wait_dscnt 0x0
	;;#ASMSTART
	v_dot2_f32_f16 v96, v117, v20, v96
	;;#ASMEND
	;;#ASMSTART
	v_dot2_f32_f16 v96, v118, v21, v96
	;;#ASMEND
	;; [unrolled: 3-line block ×16, first 2 shown]
	ds_load_b128 v[0:3], v54 offset:16
	ds_load_b128 v[20:23], v55 offset:144
	;; [unrolled: 1-line block ×8, first 2 shown]
	s_wait_dscnt 0x6
	;;#ASMSTART
	v_dot2_f32_f16 v92, v0, v20, v92
	;;#ASMEND
	;;#ASMSTART
	v_dot2_f32_f16 v92, v1, v21, v92
	;;#ASMEND
	;;#ASMSTART
	v_dot2_f32_f16 v92, v2, v22, v92
	;;#ASMEND
	;;#ASMSTART
	v_dot2_f32_f16 v92, v3, v23, v92
	;;#ASMEND
	s_wait_dscnt 0x5
	;;#ASMSTART
	v_dot2_f32_f16 v87, v0, v97, v87
	;;#ASMEND
	;;#ASMSTART
	v_dot2_f32_f16 v87, v1, v98, v87
	;;#ASMEND
	;;#ASMSTART
	v_dot2_f32_f16 v87, v2, v99, v87
	;;#ASMEND
	;;#ASMSTART
	v_dot2_f32_f16 v87, v3, v100, v87
	;;#ASMEND
	;; [unrolled: 13-line block ×5, first 2 shown]
	;;#ASMSTART
	v_dot2_f32_f16 v89, v109, v97, v89
	;;#ASMEND
	;;#ASMSTART
	v_dot2_f32_f16 v89, v110, v98, v89
	;;#ASMEND
	;; [unrolled: 3-line block ×12, first 2 shown]
	s_wait_dscnt 0x1
	;;#ASMSTART
	v_dot2_f32_f16 v95, v113, v20, v95
	;;#ASMEND
	;;#ASMSTART
	v_dot2_f32_f16 v95, v114, v21, v95
	;;#ASMEND
	;; [unrolled: 3-line block ×16, first 2 shown]
	s_wait_dscnt 0x0
	;;#ASMSTART
	v_dot2_f32_f16 v96, v117, v20, v96
	;;#ASMEND
	;;#ASMSTART
	v_dot2_f32_f16 v96, v118, v21, v96
	;;#ASMEND
	;; [unrolled: 3-line block ×16, first 2 shown]
	ds_load_b128 v[0:3], v54 offset:32
	ds_load_b128 v[20:23], v55 offset:160
	;; [unrolled: 1-line block ×8, first 2 shown]
	s_wait_dscnt 0x6
	;;#ASMSTART
	v_dot2_f32_f16 v92, v0, v20, v92
	;;#ASMEND
	;;#ASMSTART
	v_dot2_f32_f16 v92, v1, v21, v92
	;;#ASMEND
	;;#ASMSTART
	v_dot2_f32_f16 v92, v2, v22, v92
	;;#ASMEND
	;;#ASMSTART
	v_dot2_f32_f16 v92, v3, v23, v92
	;;#ASMEND
	s_wait_dscnt 0x5
	;;#ASMSTART
	v_dot2_f32_f16 v87, v0, v97, v87
	;;#ASMEND
	;;#ASMSTART
	v_dot2_f32_f16 v87, v1, v98, v87
	;;#ASMEND
	;;#ASMSTART
	v_dot2_f32_f16 v87, v2, v99, v87
	;;#ASMEND
	;;#ASMSTART
	v_dot2_f32_f16 v87, v3, v100, v87
	;;#ASMEND
	;; [unrolled: 13-line block ×5, first 2 shown]
	;;#ASMSTART
	v_dot2_f32_f16 v89, v109, v97, v89
	;;#ASMEND
	;;#ASMSTART
	v_dot2_f32_f16 v89, v110, v98, v89
	;;#ASMEND
	;; [unrolled: 3-line block ×12, first 2 shown]
	s_wait_dscnt 0x1
	;;#ASMSTART
	v_dot2_f32_f16 v95, v113, v20, v95
	;;#ASMEND
	;;#ASMSTART
	v_dot2_f32_f16 v95, v114, v21, v95
	;;#ASMEND
	;; [unrolled: 3-line block ×16, first 2 shown]
	s_wait_dscnt 0x0
	;;#ASMSTART
	v_dot2_f32_f16 v96, v117, v20, v96
	;;#ASMEND
	;;#ASMSTART
	v_dot2_f32_f16 v96, v118, v21, v96
	;;#ASMEND
	;; [unrolled: 3-line block ×16, first 2 shown]
	ds_load_b128 v[0:3], v54 offset:48
	ds_load_b128 v[20:23], v55 offset:176
	;; [unrolled: 1-line block ×8, first 2 shown]
	s_wait_dscnt 0x6
	;;#ASMSTART
	v_dot2_f32_f16 v92, v0, v20, v92
	;;#ASMEND
	;;#ASMSTART
	v_dot2_f32_f16 v92, v1, v21, v92
	;;#ASMEND
	;;#ASMSTART
	v_dot2_f32_f16 v92, v2, v22, v92
	;;#ASMEND
	;;#ASMSTART
	v_dot2_f32_f16 v92, v3, v23, v92
	;;#ASMEND
	s_wait_dscnt 0x5
	;;#ASMSTART
	v_dot2_f32_f16 v87, v0, v97, v87
	;;#ASMEND
	;;#ASMSTART
	v_dot2_f32_f16 v87, v1, v98, v87
	;;#ASMEND
	;;#ASMSTART
	v_dot2_f32_f16 v87, v2, v99, v87
	;;#ASMEND
	;;#ASMSTART
	v_dot2_f32_f16 v87, v3, v100, v87
	;;#ASMEND
	;; [unrolled: 13-line block ×5, first 2 shown]
	;;#ASMSTART
	v_dot2_f32_f16 v89, v109, v97, v89
	;;#ASMEND
	;;#ASMSTART
	v_dot2_f32_f16 v89, v110, v98, v89
	;;#ASMEND
	;; [unrolled: 3-line block ×12, first 2 shown]
	s_wait_dscnt 0x1
	;;#ASMSTART
	v_dot2_f32_f16 v95, v113, v20, v95
	;;#ASMEND
	;;#ASMSTART
	v_dot2_f32_f16 v95, v114, v21, v95
	;;#ASMEND
	;; [unrolled: 3-line block ×16, first 2 shown]
	s_wait_dscnt 0x0
	;;#ASMSTART
	v_dot2_f32_f16 v96, v117, v20, v96
	;;#ASMEND
	;;#ASMSTART
	v_dot2_f32_f16 v96, v118, v21, v96
	;;#ASMEND
	;; [unrolled: 3-line block ×16, first 2 shown]
	ds_load_b128 v[0:3], v54 offset:64
	ds_load_b128 v[20:23], v55 offset:192
	;; [unrolled: 1-line block ×8, first 2 shown]
	s_wait_dscnt 0x6
	;;#ASMSTART
	v_dot2_f32_f16 v92, v0, v20, v92
	;;#ASMEND
	;;#ASMSTART
	v_dot2_f32_f16 v92, v1, v21, v92
	;;#ASMEND
	;;#ASMSTART
	v_dot2_f32_f16 v92, v2, v22, v92
	;;#ASMEND
	;;#ASMSTART
	v_dot2_f32_f16 v92, v3, v23, v92
	;;#ASMEND
	s_wait_dscnt 0x5
	;;#ASMSTART
	v_dot2_f32_f16 v87, v0, v97, v87
	;;#ASMEND
	;;#ASMSTART
	v_dot2_f32_f16 v87, v1, v98, v87
	;;#ASMEND
	;;#ASMSTART
	v_dot2_f32_f16 v87, v2, v99, v87
	;;#ASMEND
	;;#ASMSTART
	v_dot2_f32_f16 v87, v3, v100, v87
	;;#ASMEND
	s_wait_dscnt 0x4
	;;#ASMSTART
	v_dot2_f32_f16 v83, v0, v101, v83
	;;#ASMEND
	;;#ASMSTART
	v_dot2_f32_f16 v83, v1, v102, v83
	;;#ASMEND
	;;#ASMSTART
	v_dot2_f32_f16 v83, v2, v103, v83
	;;#ASMEND
	;;#ASMSTART
	v_dot2_f32_f16 v83, v3, v104, v83
	;;#ASMEND
	s_wait_dscnt 0x3
	;;#ASMSTART
	v_dot2_f32_f16 v81, v0, v105, v81
	;;#ASMEND
	;;#ASMSTART
	v_dot2_f32_f16 v81, v1, v106, v81
	;;#ASMEND
	;;#ASMSTART
	v_dot2_f32_f16 v81, v2, v107, v81
	;;#ASMEND
	;;#ASMSTART
	v_dot2_f32_f16 v81, v3, v108, v81
	;;#ASMEND
	s_wait_dscnt 0x2
	;;#ASMSTART
	v_dot2_f32_f16 v94, v109, v20, v94
	;;#ASMEND
	;;#ASMSTART
	v_dot2_f32_f16 v94, v110, v21, v94
	;;#ASMEND
	;;#ASMSTART
	v_dot2_f32_f16 v94, v111, v22, v94
	;;#ASMEND
	;;#ASMSTART
	v_dot2_f32_f16 v94, v112, v23, v94
	;;#ASMEND
	;;#ASMSTART
	v_dot2_f32_f16 v89, v109, v97, v89
	;;#ASMEND
	;;#ASMSTART
	v_dot2_f32_f16 v89, v110, v98, v89
	;;#ASMEND
	;; [unrolled: 3-line block ×12, first 2 shown]
	s_wait_dscnt 0x1
	;;#ASMSTART
	v_dot2_f32_f16 v95, v113, v20, v95
	;;#ASMEND
	;;#ASMSTART
	v_dot2_f32_f16 v95, v114, v21, v95
	;;#ASMEND
	;; [unrolled: 3-line block ×16, first 2 shown]
	s_wait_dscnt 0x0
	;;#ASMSTART
	v_dot2_f32_f16 v96, v117, v20, v96
	;;#ASMEND
	;;#ASMSTART
	v_dot2_f32_f16 v96, v118, v21, v96
	;;#ASMEND
	;;#ASMSTART
	v_dot2_f32_f16 v96, v119, v22, v96
	;;#ASMEND
	;;#ASMSTART
	v_dot2_f32_f16 v96, v120, v23, v96
	;;#ASMEND
	;;#ASMSTART
	v_dot2_f32_f16 v93, v117, v97, v93
	;;#ASMEND
	;;#ASMSTART
	v_dot2_f32_f16 v93, v118, v98, v93
	;;#ASMEND
	;;#ASMSTART
	v_dot2_f32_f16 v93, v119, v99, v93
	;;#ASMEND
	;;#ASMSTART
	v_dot2_f32_f16 v93, v120, v100, v93
	;;#ASMEND
	;;#ASMSTART
	v_dot2_f32_f16 v90, v117, v101, v90
	;;#ASMEND
	;;#ASMSTART
	v_dot2_f32_f16 v90, v118, v102, v90
	;;#ASMEND
	;;#ASMSTART
	v_dot2_f32_f16 v90, v119, v103, v90
	;;#ASMEND
	;;#ASMSTART
	v_dot2_f32_f16 v90, v120, v104, v90
	;;#ASMEND
	;;#ASMSTART
	v_dot2_f32_f16 v85, v117, v105, v85
	;;#ASMEND
	;;#ASMSTART
	v_dot2_f32_f16 v85, v118, v106, v85
	;;#ASMEND
	;;#ASMSTART
	v_dot2_f32_f16 v85, v119, v107, v85
	;;#ASMEND
	;;#ASMSTART
	v_dot2_f32_f16 v85, v120, v108, v85
	;;#ASMEND
	ds_load_b128 v[0:3], v54 offset:80
	ds_load_b128 v[20:23], v55 offset:208
	;; [unrolled: 1-line block ×8, first 2 shown]
	s_wait_dscnt 0x6
	;;#ASMSTART
	v_dot2_f32_f16 v92, v0, v20, v92
	;;#ASMEND
	;;#ASMSTART
	v_dot2_f32_f16 v92, v1, v21, v92
	;;#ASMEND
	;;#ASMSTART
	v_dot2_f32_f16 v92, v2, v22, v92
	;;#ASMEND
	;;#ASMSTART
	v_dot2_f32_f16 v92, v3, v23, v92
	;;#ASMEND
	s_wait_dscnt 0x5
	;;#ASMSTART
	v_dot2_f32_f16 v87, v0, v97, v87
	;;#ASMEND
	;;#ASMSTART
	v_dot2_f32_f16 v87, v1, v98, v87
	;;#ASMEND
	;;#ASMSTART
	v_dot2_f32_f16 v87, v2, v99, v87
	;;#ASMEND
	;;#ASMSTART
	v_dot2_f32_f16 v87, v3, v100, v87
	;;#ASMEND
	;; [unrolled: 13-line block ×5, first 2 shown]
	;;#ASMSTART
	v_dot2_f32_f16 v89, v109, v97, v89
	;;#ASMEND
	;;#ASMSTART
	v_dot2_f32_f16 v89, v110, v98, v89
	;;#ASMEND
	;; [unrolled: 3-line block ×12, first 2 shown]
	s_wait_dscnt 0x1
	;;#ASMSTART
	v_dot2_f32_f16 v95, v113, v20, v95
	;;#ASMEND
	;;#ASMSTART
	v_dot2_f32_f16 v95, v114, v21, v95
	;;#ASMEND
	;; [unrolled: 3-line block ×16, first 2 shown]
	s_wait_dscnt 0x0
	;;#ASMSTART
	v_dot2_f32_f16 v96, v117, v20, v96
	;;#ASMEND
	;;#ASMSTART
	v_dot2_f32_f16 v96, v118, v21, v96
	;;#ASMEND
	;; [unrolled: 3-line block ×16, first 2 shown]
	ds_load_b128 v[0:3], v54 offset:96
	ds_load_b128 v[20:23], v55 offset:224
	;; [unrolled: 1-line block ×8, first 2 shown]
	s_wait_dscnt 0x6
	;;#ASMSTART
	v_dot2_f32_f16 v92, v0, v20, v92
	;;#ASMEND
	;;#ASMSTART
	v_dot2_f32_f16 v92, v1, v21, v92
	;;#ASMEND
	;;#ASMSTART
	v_dot2_f32_f16 v92, v2, v22, v92
	;;#ASMEND
	;;#ASMSTART
	v_dot2_f32_f16 v92, v3, v23, v92
	;;#ASMEND
	s_wait_dscnt 0x5
	;;#ASMSTART
	v_dot2_f32_f16 v87, v0, v97, v87
	;;#ASMEND
	;;#ASMSTART
	v_dot2_f32_f16 v87, v1, v98, v87
	;;#ASMEND
	;;#ASMSTART
	v_dot2_f32_f16 v87, v2, v99, v87
	;;#ASMEND
	;;#ASMSTART
	v_dot2_f32_f16 v87, v3, v100, v87
	;;#ASMEND
	;; [unrolled: 13-line block ×5, first 2 shown]
	;;#ASMSTART
	v_dot2_f32_f16 v89, v109, v97, v89
	;;#ASMEND
	;;#ASMSTART
	v_dot2_f32_f16 v89, v110, v98, v89
	;;#ASMEND
	;;#ASMSTART
	v_dot2_f32_f16 v89, v111, v99, v89
	;;#ASMEND
	;;#ASMSTART
	v_dot2_f32_f16 v89, v112, v100, v89
	;;#ASMEND
	;;#ASMSTART
	v_dot2_f32_f16 v86, v109, v101, v86
	;;#ASMEND
	;;#ASMSTART
	v_dot2_f32_f16 v86, v110, v102, v86
	;;#ASMEND
	;;#ASMSTART
	v_dot2_f32_f16 v86, v111, v103, v86
	;;#ASMEND
	;;#ASMSTART
	v_dot2_f32_f16 v86, v112, v104, v86
	;;#ASMEND
	;;#ASMSTART
	v_dot2_f32_f16 v82, v109, v105, v82
	;;#ASMEND
	;;#ASMSTART
	v_dot2_f32_f16 v82, v110, v106, v82
	;;#ASMEND
	;;#ASMSTART
	v_dot2_f32_f16 v82, v111, v107, v82
	;;#ASMEND
	;;#ASMSTART
	v_dot2_f32_f16 v82, v112, v108, v82
	;;#ASMEND
	s_wait_dscnt 0x1
	;;#ASMSTART
	v_dot2_f32_f16 v95, v113, v20, v95
	;;#ASMEND
	;;#ASMSTART
	v_dot2_f32_f16 v95, v114, v21, v95
	;;#ASMEND
	;; [unrolled: 3-line block ×16, first 2 shown]
	s_wait_dscnt 0x0
	;;#ASMSTART
	v_dot2_f32_f16 v96, v117, v20, v96
	;;#ASMEND
	;;#ASMSTART
	v_dot2_f32_f16 v96, v118, v21, v96
	;;#ASMEND
	;; [unrolled: 3-line block ×16, first 2 shown]
	ds_load_b128 v[20:23], v54 offset:112
	ds_load_b128 v[99:102], v55 offset:240
	;; [unrolled: 1-line block ×8, first 2 shown]
	s_wait_dscnt 0x6
	;;#ASMSTART
	v_dot2_f32_f16 v92, v20, v99, v92
	;;#ASMEND
	;;#ASMSTART
	v_dot2_f32_f16 v92, v21, v100, v92
	;;#ASMEND
	;;#ASMSTART
	v_dot2_f32_f16 v92, v22, v101, v92
	;;#ASMEND
	;;#ASMSTART
	v_dot2_f32_f16 v92, v23, v102, v92
	;;#ASMEND
	s_wait_dscnt 0x5
	;;#ASMSTART
	v_dot2_f32_f16 v87, v20, v103, v87
	;;#ASMEND
	;;#ASMSTART
	v_dot2_f32_f16 v87, v21, v104, v87
	;;#ASMEND
	;;#ASMSTART
	v_dot2_f32_f16 v87, v22, v105, v87
	;;#ASMEND
	;;#ASMSTART
	v_dot2_f32_f16 v87, v23, v106, v87
	;;#ASMEND
	s_wait_dscnt 0x4
	;;#ASMSTART
	v_dot2_f32_f16 v83, v20, v107, v83
	;;#ASMEND
	;;#ASMSTART
	v_dot2_f32_f16 v83, v21, v108, v83
	;;#ASMEND
	;;#ASMSTART
	v_dot2_f32_f16 v83, v22, v109, v83
	;;#ASMEND
	;;#ASMSTART
	v_dot2_f32_f16 v83, v23, v110, v83
	;;#ASMEND
	s_wait_dscnt 0x2
	;;#ASMSTART
	v_dot2_f32_f16 v81, v20, v111, v81
	;;#ASMEND
	;;#ASMSTART
	v_dot2_f32_f16 v81, v21, v112, v81
	;;#ASMEND
	;;#ASMSTART
	v_dot2_f32_f16 v81, v22, v113, v81
	;;#ASMEND
	;;#ASMSTART
	v_dot2_f32_f16 v81, v23, v114, v81
	;;#ASMEND
	;;#ASMSTART
	v_dot2_f32_f16 v94, v115, v99, v94
	;;#ASMEND
	;;#ASMSTART
	v_dot2_f32_f16 v94, v116, v100, v94
	;;#ASMEND
	;;#ASMSTART
	v_dot2_f32_f16 v94, v117, v101, v94
	;;#ASMEND
	;;#ASMSTART
	v_dot2_f32_f16 v94, v118, v102, v94
	;;#ASMEND
	;;#ASMSTART
	v_dot2_f32_f16 v89, v115, v103, v89
	;;#ASMEND
	;;#ASMSTART
	v_dot2_f32_f16 v89, v116, v104, v89
	;;#ASMEND
	;;#ASMSTART
	v_dot2_f32_f16 v89, v117, v105, v89
	;;#ASMEND
	;;#ASMSTART
	v_dot2_f32_f16 v89, v118, v106, v89
	;;#ASMEND
	;;#ASMSTART
	v_dot2_f32_f16 v86, v115, v107, v86
	;;#ASMEND
	;;#ASMSTART
	v_dot2_f32_f16 v86, v116, v108, v86
	;;#ASMEND
	;;#ASMSTART
	v_dot2_f32_f16 v86, v117, v109, v86
	;;#ASMEND
	;;#ASMSTART
	v_dot2_f32_f16 v86, v118, v110, v86
	;;#ASMEND
	;;#ASMSTART
	v_dot2_f32_f16 v82, v115, v111, v82
	;;#ASMEND
	;;#ASMSTART
	v_dot2_f32_f16 v82, v116, v112, v82
	;;#ASMEND
	;;#ASMSTART
	v_dot2_f32_f16 v82, v117, v113, v82
	;;#ASMEND
	;;#ASMSTART
	v_dot2_f32_f16 v82, v118, v114, v82
	;;#ASMEND
	s_wait_dscnt 0x1
	;;#ASMSTART
	v_dot2_f32_f16 v95, v119, v99, v95
	;;#ASMEND
	;;#ASMSTART
	v_dot2_f32_f16 v95, v120, v100, v95
	;;#ASMEND
	;; [unrolled: 3-line block ×11, first 2 shown]
	v_add_nc_u32_e32 v98, s24, v33
	;;#ASMSTART
	v_dot2_f32_f16 v88, v122, v110, v88
	;;#ASMEND
	;;#ASMSTART
	v_dot2_f32_f16 v84, v119, v111, v84
	;;#ASMEND
	;; [unrolled: 3-line block ×5, first 2 shown]
	s_wait_dscnt 0x0
	;;#ASMSTART
	v_dot2_f32_f16 v96, v123, v99, v96
	;;#ASMEND
	;;#ASMSTART
	v_dot2_f32_f16 v96, v124, v100, v96
	;;#ASMEND
	v_add_nc_u32_e32 v0, v98, v62
	;;#ASMSTART
	v_dot2_f32_f16 v96, v125, v101, v96
	;;#ASMEND
	;;#ASMSTART
	v_dot2_f32_f16 v96, v126, v102, v96
	;;#ASMEND
	;; [unrolled: 3-line block ×7, first 2 shown]
	v_mov_b32_e32 v2, 0
	v_ashrrev_i32_e32 v1, 31, v0
	;;#ASMSTART
	v_dot2_f32_f16 v90, v124, v108, v90
	;;#ASMEND
	;;#ASMSTART
	v_dot2_f32_f16 v90, v125, v109, v90
	;;#ASMEND
	;; [unrolled: 3-line block ×7, first 2 shown]
	s_wait_alu 0xfffe
	s_cbranch_vccnz .LBB56_10
; %bb.9:                                ;   in Loop: Header=BB56_8 Depth=1
	v_lshlrev_b64_e32 v[2:3], 1, v[0:1]
	s_delay_alu instid0(VALU_DEP_1) | instskip(SKIP_1) | instid1(VALU_DEP_2)
	v_add_co_u32 v2, vcc_lo, s38, v2
	s_wait_alu 0xfffd
	v_add_co_ci_u32_e64 v3, null, s39, v3, vcc_lo
	global_load_u16 v2, v[2:3], off
	s_wait_loadcnt 0x0
	v_cvt_f32_f16_e32 v2, v2
	s_delay_alu instid0(VALU_DEP_1)
	v_mul_f32_e32 v2, v48, v2
.LBB56_10:                              ;   in Loop: Header=BB56_8 Depth=1
	v_dual_mov_b32 v3, 0 :: v_dual_mov_b32 v20, 0
	s_and_not1_b32 vcc_lo, exec_lo, s8
	s_wait_alu 0xfffe
	s_cbranch_vccnz .LBB56_12
; %bb.11:                               ;   in Loop: Header=BB56_8 Depth=1
	v_lshlrev_b64_e32 v[20:21], 1, v[0:1]
	s_delay_alu instid0(VALU_DEP_1) | instskip(SKIP_1) | instid1(VALU_DEP_2)
	v_add_co_u32 v20, vcc_lo, s38, v20
	s_wait_alu 0xfffd
	v_add_co_ci_u32_e64 v21, null, s39, v21, vcc_lo
	global_load_u16 v20, v[20:21], off offset:64
	s_wait_loadcnt 0x0
	v_cvt_f32_f16_e32 v20, v20
	s_delay_alu instid0(VALU_DEP_1)
	v_mul_f32_e32 v20, v48, v20
.LBB56_12:                              ;   in Loop: Header=BB56_8 Depth=1
	s_and_not1_b32 vcc_lo, exec_lo, s8
	s_wait_alu 0xfffe
	s_cbranch_vccnz .LBB56_14
; %bb.13:                               ;   in Loop: Header=BB56_8 Depth=1
	v_lshlrev_b64_e32 v[21:22], 1, v[0:1]
	s_delay_alu instid0(VALU_DEP_1) | instskip(SKIP_1) | instid1(VALU_DEP_2)
	v_add_co_u32 v21, vcc_lo, s38, v21
	s_wait_alu 0xfffd
	v_add_co_ci_u32_e64 v22, null, s39, v22, vcc_lo
	global_load_u16 v3, v[21:22], off offset:128
	s_wait_loadcnt 0x0
	v_cvt_f32_f16_e32 v3, v3
	s_delay_alu instid0(VALU_DEP_1)
	v_mul_f32_e32 v3, v48, v3
.LBB56_14:                              ;   in Loop: Header=BB56_8 Depth=1
	v_mov_b32_e32 v97, 0
	v_mov_b32_e32 v99, 0
	s_and_not1_b32 vcc_lo, exec_lo, s8
	s_wait_alu 0xfffe
	s_cbranch_vccnz .LBB56_16
; %bb.15:                               ;   in Loop: Header=BB56_8 Depth=1
	v_lshlrev_b64_e32 v[0:1], 1, v[0:1]
	s_delay_alu instid0(VALU_DEP_1) | instskip(SKIP_1) | instid1(VALU_DEP_2)
	v_add_co_u32 v0, vcc_lo, s38, v0
	s_wait_alu 0xfffd
	v_add_co_ci_u32_e64 v1, null, s39, v1, vcc_lo
	global_load_u16 v0, v[0:1], off offset:192
	s_wait_loadcnt 0x0
	v_cvt_f32_f16_e32 v0, v0
	s_delay_alu instid0(VALU_DEP_1)
	v_mul_f32_e32 v99, v48, v0
.LBB56_16:                              ;   in Loop: Header=BB56_8 Depth=1
	v_dual_add_f32 v21, v92, v2 :: v_dual_add_f32 v22, v94, v20
	v_xor_b32_e32 v0, 16, v72
	v_add_f32_e32 v23, v95, v3
	s_delay_alu instid0(VALU_DEP_3) | instskip(NEXT) | instid1(VALU_DEP_4)
	v_dual_add_f32 v94, v96, v99 :: v_dual_add_f32 v1, 0x40051340, v21
	v_add_f32_e32 v2, 0x40051340, v22
	s_delay_alu instid0(VALU_DEP_4) | instskip(NEXT) | instid1(VALU_DEP_3)
	v_cmp_gt_i32_e32 vcc_lo, 32, v0
	v_dual_add_f32 v3, 0x40051340, v23 :: v_dual_add_f32 v20, 0x40051340, v94
	s_delay_alu instid0(VALU_DEP_3) | instskip(SKIP_2) | instid1(VALU_DEP_1)
	v_max3_num_f32 v1, v80, v1, v2
	s_wait_alu 0xfffd
	v_cndmask_b32_e32 v0, v72, v0, vcc_lo
	v_lshlrev_b32_e32 v2, 2, v0
	s_delay_alu instid0(VALU_DEP_3)
	v_max3_num_f32 v0, v1, v3, v20
	v_xor_b32_e32 v3, 8, v72
	ds_bpermute_b32 v1, v2, v0
	v_cmp_gt_i32_e32 vcc_lo, 32, v3
	s_wait_alu 0xfffd
	v_cndmask_b32_e32 v3, v72, v3, vcc_lo
	s_wait_dscnt 0x0
	v_max_num_f32_e32 v1, v1, v1
	s_delay_alu instid0(VALU_DEP_2) | instskip(SKIP_1) | instid1(VALU_DEP_3)
	v_lshlrev_b32_e32 v95, 2, v3
	v_xor_b32_e32 v3, 4, v72
	v_max_num_f32_e32 v0, v0, v1
	s_delay_alu instid0(VALU_DEP_2) | instskip(SKIP_3) | instid1(VALU_DEP_1)
	v_cmp_gt_i32_e32 vcc_lo, 32, v3
	ds_bpermute_b32 v1, v95, v0
	s_wait_alu 0xfffd
	v_cndmask_b32_e32 v3, v72, v3, vcc_lo
	v_lshlrev_b32_e32 v92, 2, v3
	v_xor_b32_e32 v3, 2, v72
	s_delay_alu instid0(VALU_DEP_1) | instskip(SKIP_3) | instid1(VALU_DEP_1)
	v_cmp_gt_i32_e32 vcc_lo, 32, v3
	s_wait_alu 0xfffd
	v_cndmask_b32_e32 v3, v72, v3, vcc_lo
	s_wait_dscnt 0x0
	v_dual_max_num_f32 v1, v1, v1 :: v_dual_lshlrev_b32 v20, 2, v3
	v_xor_b32_e32 v3, 1, v72
	s_delay_alu instid0(VALU_DEP_1) | instskip(SKIP_4) | instid1(VALU_DEP_2)
	v_cmp_gt_i32_e32 vcc_lo, 32, v3
	s_wait_alu 0xfffd
	v_cndmask_b32_e32 v3, v72, v3, vcc_lo
	v_max_num_f32_e32 v0, v0, v1
	s_and_not1_b32 vcc_lo, exec_lo, s8
	v_lshlrev_b32_e32 v3, 2, v3
	ds_bpermute_b32 v1, v92, v0
	s_wait_dscnt 0x0
	v_max_num_f32_e32 v1, v1, v1
	s_delay_alu instid0(VALU_DEP_1) | instskip(SKIP_3) | instid1(VALU_DEP_1)
	v_max_num_f32_e32 v0, v0, v1
	ds_bpermute_b32 v1, v20, v0
	s_wait_dscnt 0x0
	v_max_num_f32_e32 v1, v1, v1
	v_dual_max_num_f32 v99, v0, v1 :: v_dual_add_nc_u32 v0, v98, v63
	ds_bpermute_b32 v100, v3, v99
	v_ashrrev_i32_e32 v1, 31, v0
	s_wait_alu 0xfffe
	s_cbranch_vccnz .LBB56_18
; %bb.17:                               ;   in Loop: Header=BB56_8 Depth=1
	s_delay_alu instid0(VALU_DEP_1) | instskip(NEXT) | instid1(VALU_DEP_1)
	v_lshlrev_b64_e32 v[96:97], 1, v[0:1]
	v_add_co_u32 v96, vcc_lo, s38, v96
	s_wait_alu 0xfffd
	s_delay_alu instid0(VALU_DEP_2) | instskip(SKIP_3) | instid1(VALU_DEP_1)
	v_add_co_ci_u32_e64 v97, null, s39, v97, vcc_lo
	global_load_u16 v96, v[96:97], off
	s_wait_loadcnt 0x0
	v_cvt_f32_f16_e32 v96, v96
	v_mul_f32_e32 v97, v48, v96
.LBB56_18:                              ;   in Loop: Header=BB56_8 Depth=1
	v_dual_mov_b32 v101, 0 :: v_dual_mov_b32 v102, 0
	s_and_not1_b32 vcc_lo, exec_lo, s8
	s_wait_alu 0xfffe
	s_cbranch_vccnz .LBB56_20
; %bb.19:                               ;   in Loop: Header=BB56_8 Depth=1
	v_lshlrev_b64_e32 v[102:103], 1, v[0:1]
	s_delay_alu instid0(VALU_DEP_1) | instskip(SKIP_1) | instid1(VALU_DEP_2)
	v_add_co_u32 v102, vcc_lo, s38, v102
	s_wait_alu 0xfffd
	v_add_co_ci_u32_e64 v103, null, s39, v103, vcc_lo
	global_load_u16 v96, v[102:103], off offset:64
	s_wait_loadcnt 0x0
	v_cvt_f32_f16_e32 v96, v96
	s_delay_alu instid0(VALU_DEP_1)
	v_mul_f32_e32 v102, v48, v96
.LBB56_20:                              ;   in Loop: Header=BB56_8 Depth=1
	s_and_not1_b32 vcc_lo, exec_lo, s8
	s_wait_alu 0xfffe
	s_cbranch_vccnz .LBB56_22
; %bb.21:                               ;   in Loop: Header=BB56_8 Depth=1
	v_lshlrev_b64_e32 v[103:104], 1, v[0:1]
	s_delay_alu instid0(VALU_DEP_1) | instskip(SKIP_1) | instid1(VALU_DEP_2)
	v_add_co_u32 v103, vcc_lo, s38, v103
	s_wait_alu 0xfffd
	v_add_co_ci_u32_e64 v104, null, s39, v104, vcc_lo
	global_load_u16 v96, v[103:104], off offset:128
	s_wait_loadcnt 0x0
	v_cvt_f32_f16_e32 v96, v96
	s_delay_alu instid0(VALU_DEP_1)
	v_mul_f32_e32 v101, v48, v96
.LBB56_22:                              ;   in Loop: Header=BB56_8 Depth=1
	v_dual_mov_b32 v103, 0 :: v_dual_mov_b32 v104, 0
	s_and_not1_b32 vcc_lo, exec_lo, s8
	s_wait_alu 0xfffe
	s_cbranch_vccnz .LBB56_24
; %bb.23:                               ;   in Loop: Header=BB56_8 Depth=1
	v_lshlrev_b64_e32 v[0:1], 1, v[0:1]
	s_delay_alu instid0(VALU_DEP_1) | instskip(SKIP_1) | instid1(VALU_DEP_2)
	v_add_co_u32 v0, vcc_lo, s38, v0
	s_wait_alu 0xfffd
	v_add_co_ci_u32_e64 v1, null, s39, v1, vcc_lo
	global_load_u16 v0, v[0:1], off offset:192
	s_wait_loadcnt 0x0
	v_cvt_f32_f16_e32 v0, v0
	s_delay_alu instid0(VALU_DEP_1)
	v_mul_f32_e32 v104, v48, v0
.LBB56_24:                              ;   in Loop: Header=BB56_8 Depth=1
	v_dual_add_f32 v96, v87, v97 :: v_dual_add_f32 v97, v89, v102
	v_add_f32_e32 v89, v91, v101
	s_delay_alu instid0(VALU_DEP_3) | instskip(SKIP_1) | instid1(VALU_DEP_3)
	v_add_f32_e32 v87, v93, v104
	s_and_not1_b32 vcc_lo, exec_lo, s8
	v_dual_add_f32 v0, 0x40051340, v96 :: v_dual_add_f32 v1, 0x40051340, v97
	s_delay_alu instid0(VALU_DEP_3) | instskip(NEXT) | instid1(VALU_DEP_2)
	v_add_f32_e32 v91, 0x40051340, v89
	v_max3_num_f32 v0, v78, v0, v1
	v_add_f32_e32 v1, 0x40051340, v87
	s_delay_alu instid0(VALU_DEP_1) | instskip(SKIP_3) | instid1(VALU_DEP_1)
	v_max3_num_f32 v0, v0, v91, v1
	ds_bpermute_b32 v1, v2, v0
	s_wait_dscnt 0x0
	v_max_num_f32_e32 v1, v1, v1
	v_max_num_f32_e32 v0, v0, v1
	ds_bpermute_b32 v1, v95, v0
	s_wait_dscnt 0x0
	v_max_num_f32_e32 v1, v1, v1
	s_delay_alu instid0(VALU_DEP_1) | instskip(SKIP_3) | instid1(VALU_DEP_1)
	v_max_num_f32_e32 v0, v0, v1
	ds_bpermute_b32 v1, v92, v0
	s_wait_dscnt 0x0
	v_max_num_f32_e32 v1, v1, v1
	v_max_num_f32_e32 v0, v0, v1
	ds_bpermute_b32 v1, v20, v0
	s_wait_dscnt 0x0
	v_max_num_f32_e32 v1, v1, v1
	s_delay_alu instid0(VALU_DEP_1)
	v_max_num_f32_e32 v101, v0, v1
	v_add_nc_u32_e32 v0, v98, v65
	ds_bpermute_b32 v102, v3, v101
	v_ashrrev_i32_e32 v1, 31, v0
	s_wait_alu 0xfffe
	s_cbranch_vccnz .LBB56_26
; %bb.25:                               ;   in Loop: Header=BB56_8 Depth=1
	s_delay_alu instid0(VALU_DEP_1) | instskip(NEXT) | instid1(VALU_DEP_1)
	v_lshlrev_b64_e32 v[103:104], 1, v[0:1]
	v_add_co_u32 v103, vcc_lo, s38, v103
	s_wait_alu 0xfffd
	s_delay_alu instid0(VALU_DEP_2) | instskip(SKIP_3) | instid1(VALU_DEP_1)
	v_add_co_ci_u32_e64 v104, null, s39, v104, vcc_lo
	global_load_u16 v91, v[103:104], off
	s_wait_loadcnt 0x0
	v_cvt_f32_f16_e32 v91, v91
	v_mul_f32_e32 v103, v48, v91
.LBB56_26:                              ;   in Loop: Header=BB56_8 Depth=1
	v_mov_b32_e32 v105, 0
	v_mov_b32_e32 v91, 0
	s_and_not1_b32 vcc_lo, exec_lo, s8
	s_wait_alu 0xfffe
	s_cbranch_vccnz .LBB56_28
; %bb.27:                               ;   in Loop: Header=BB56_8 Depth=1
	v_lshlrev_b64_e32 v[106:107], 1, v[0:1]
	s_delay_alu instid0(VALU_DEP_1) | instskip(SKIP_1) | instid1(VALU_DEP_2)
	v_add_co_u32 v106, vcc_lo, s38, v106
	s_wait_alu 0xfffd
	v_add_co_ci_u32_e64 v107, null, s39, v107, vcc_lo
	global_load_u16 v91, v[106:107], off offset:64
	s_wait_loadcnt 0x0
	v_cvt_f32_f16_e32 v91, v91
	s_delay_alu instid0(VALU_DEP_1)
	v_mul_f32_e32 v91, v48, v91
.LBB56_28:                              ;   in Loop: Header=BB56_8 Depth=1
	s_and_not1_b32 vcc_lo, exec_lo, s8
	s_wait_alu 0xfffe
	s_cbranch_vccnz .LBB56_30
; %bb.29:                               ;   in Loop: Header=BB56_8 Depth=1
	v_lshlrev_b64_e32 v[104:105], 1, v[0:1]
	s_delay_alu instid0(VALU_DEP_1) | instskip(SKIP_1) | instid1(VALU_DEP_2)
	v_add_co_u32 v104, vcc_lo, s38, v104
	s_wait_alu 0xfffd
	v_add_co_ci_u32_e64 v105, null, s39, v105, vcc_lo
	global_load_u16 v93, v[104:105], off offset:128
	s_wait_loadcnt 0x0
	v_cvt_f32_f16_e32 v93, v93
	s_delay_alu instid0(VALU_DEP_1)
	v_mul_f32_e32 v105, v48, v93
.LBB56_30:                              ;   in Loop: Header=BB56_8 Depth=1
	v_mov_b32_e32 v104, 0
	v_mov_b32_e32 v106, 0
	s_and_not1_b32 vcc_lo, exec_lo, s8
	s_wait_alu 0xfffe
	s_cbranch_vccnz .LBB56_32
; %bb.31:                               ;   in Loop: Header=BB56_8 Depth=1
	v_lshlrev_b64_e32 v[0:1], 1, v[0:1]
	s_delay_alu instid0(VALU_DEP_1) | instskip(SKIP_1) | instid1(VALU_DEP_2)
	v_add_co_u32 v0, vcc_lo, s38, v0
	s_wait_alu 0xfffd
	v_add_co_ci_u32_e64 v1, null, s39, v1, vcc_lo
	global_load_u16 v0, v[0:1], off offset:192
	s_wait_loadcnt 0x0
	v_cvt_f32_f16_e32 v0, v0
	s_delay_alu instid0(VALU_DEP_1)
	v_mul_f32_e32 v106, v48, v0
.LBB56_32:                              ;   in Loop: Header=BB56_8 Depth=1
	v_add_f32_e32 v93, v83, v103
	v_dual_add_f32 v91, v86, v91 :: v_dual_add_f32 v86, v88, v105
	s_delay_alu instid0(VALU_DEP_3) | instskip(SKIP_1) | instid1(VALU_DEP_2)
	v_add_f32_e32 v83, v90, v106
	s_and_not1_b32 vcc_lo, exec_lo, s8
	v_dual_add_f32 v0, 0x40051340, v93 :: v_dual_add_f32 v1, 0x40051340, v91
	s_delay_alu instid0(VALU_DEP_3) | instskip(NEXT) | instid1(VALU_DEP_2)
	v_add_f32_e32 v88, 0x40051340, v86
	v_max3_num_f32 v0, v76, v0, v1
	v_add_f32_e32 v1, 0x40051340, v83
	s_delay_alu instid0(VALU_DEP_1) | instskip(SKIP_3) | instid1(VALU_DEP_1)
	v_max3_num_f32 v0, v0, v88, v1
	ds_bpermute_b32 v1, v2, v0
	s_wait_dscnt 0x0
	v_max_num_f32_e32 v1, v1, v1
	v_max_num_f32_e32 v0, v0, v1
	ds_bpermute_b32 v1, v95, v0
	s_wait_dscnt 0x0
	v_max_num_f32_e32 v1, v1, v1
	s_delay_alu instid0(VALU_DEP_1) | instskip(SKIP_3) | instid1(VALU_DEP_1)
	v_max_num_f32_e32 v0, v0, v1
	ds_bpermute_b32 v1, v92, v0
	s_wait_dscnt 0x0
	v_max_num_f32_e32 v1, v1, v1
	v_max_num_f32_e32 v0, v0, v1
	ds_bpermute_b32 v1, v20, v0
	s_wait_dscnt 0x0
	v_max_num_f32_e32 v1, v1, v1
	s_delay_alu instid0(VALU_DEP_1)
	v_dual_max_num_f32 v103, v0, v1 :: v_dual_add_nc_u32 v0, v98, v66
	ds_bpermute_b32 v105, v3, v103
	v_ashrrev_i32_e32 v1, 31, v0
	s_wait_alu 0xfffe
	s_cbranch_vccnz .LBB56_34
; %bb.33:                               ;   in Loop: Header=BB56_8 Depth=1
	s_delay_alu instid0(VALU_DEP_1) | instskip(NEXT) | instid1(VALU_DEP_1)
	v_lshlrev_b64_e32 v[106:107], 1, v[0:1]
	v_add_co_u32 v106, vcc_lo, s38, v106
	s_wait_alu 0xfffd
	s_delay_alu instid0(VALU_DEP_2) | instskip(SKIP_3) | instid1(VALU_DEP_1)
	v_add_co_ci_u32_e64 v107, null, s39, v107, vcc_lo
	global_load_u16 v88, v[106:107], off
	s_wait_loadcnt 0x0
	v_cvt_f32_f16_e32 v88, v88
	v_mul_f32_e32 v104, v48, v88
.LBB56_34:                              ;   in Loop: Header=BB56_8 Depth=1
	v_mov_b32_e32 v98, 0
	v_mov_b32_e32 v88, 0
	s_and_not1_b32 vcc_lo, exec_lo, s8
	s_wait_alu 0xfffe
	s_cbranch_vccnz .LBB56_36
; %bb.35:                               ;   in Loop: Header=BB56_8 Depth=1
	v_lshlrev_b64_e32 v[106:107], 1, v[0:1]
	s_delay_alu instid0(VALU_DEP_1) | instskip(SKIP_1) | instid1(VALU_DEP_2)
	v_add_co_u32 v106, vcc_lo, s38, v106
	s_wait_alu 0xfffd
	v_add_co_ci_u32_e64 v107, null, s39, v107, vcc_lo
	global_load_u16 v88, v[106:107], off offset:64
	s_wait_loadcnt 0x0
	v_cvt_f32_f16_e32 v88, v88
	s_delay_alu instid0(VALU_DEP_1)
	v_mul_f32_e32 v88, v48, v88
.LBB56_36:                              ;   in Loop: Header=BB56_8 Depth=1
	s_and_not1_b32 vcc_lo, exec_lo, s8
	s_wait_alu 0xfffe
	s_cbranch_vccnz .LBB56_38
; %bb.37:                               ;   in Loop: Header=BB56_8 Depth=1
	v_lshlrev_b64_e32 v[106:107], 1, v[0:1]
	s_delay_alu instid0(VALU_DEP_1) | instskip(SKIP_1) | instid1(VALU_DEP_2)
	v_add_co_u32 v106, vcc_lo, s38, v106
	s_wait_alu 0xfffd
	v_add_co_ci_u32_e64 v107, null, s39, v107, vcc_lo
	global_load_u16 v90, v[106:107], off offset:128
	s_wait_loadcnt 0x0
	v_cvt_f32_f16_e32 v90, v90
	s_delay_alu instid0(VALU_DEP_1)
	v_mul_f32_e32 v98, v48, v90
.LBB56_38:                              ;   in Loop: Header=BB56_8 Depth=1
	s_and_not1_b32 vcc_lo, exec_lo, s8
	s_wait_alu 0xfffe
	s_cbranch_vccnz .LBB56_40
; %bb.39:                               ;   in Loop: Header=BB56_8 Depth=1
	v_lshlrev_b64_e32 v[0:1], 1, v[0:1]
	s_delay_alu instid0(VALU_DEP_1) | instskip(SKIP_1) | instid1(VALU_DEP_2)
	v_add_co_u32 v0, vcc_lo, s38, v0
	s_wait_alu 0xfffd
	v_add_co_ci_u32_e64 v1, null, s39, v1, vcc_lo
	global_load_u16 v0, v[0:1], off offset:192
	s_wait_loadcnt 0x0
	v_cvt_f32_f16_e32 v0, v0
	s_delay_alu instid0(VALU_DEP_1)
	v_mul_f32_e32 v0, v48, v0
	s_branch .LBB56_41
.LBB56_40:                              ;   in Loop: Header=BB56_8 Depth=1
	v_mov_b32_e32 v0, 0
.LBB56_41:                              ;   in Loop: Header=BB56_8 Depth=1
	v_dual_add_f32 v90, v81, v104 :: v_dual_add_f32 v81, v84, v98
	v_add_f32_e32 v88, v82, v88
	s_delay_alu instid0(VALU_DEP_3)
	v_add_f32_e32 v82, v85, v0
	s_mul_u64 s[40:41], s[24:25], s[14:15]
	s_wait_loadcnt_dscnt 0x0
	v_dual_add_f32 v85, 0x40051340, v81 :: v_dual_add_f32 v0, 0x40051340, v90
	v_add_f32_e32 v1, 0x40051340, v88
	s_wait_alu 0xfffe
	s_lshl_b64 s[40:41], s[40:41], 2
	v_dual_max_num_f32 v101, v101, v101 :: v_dual_max_num_f32 v100, v100, v100
	s_wait_alu 0xfffe
	s_add_nc_u64 s[40:41], s[26:27], s[40:41]
	v_max3_num_f32 v0, v75, v0, v1
	v_dual_max_num_f32 v1, v103, v103 :: v_dual_add_f32 v98, 0x40051340, v82
	s_barrier_signal -1
	s_barrier_wait -1
	global_inv scope:SCOPE_SE
	v_max3_num_f32 v85, v0, v85, v98
	v_max_num_f32_e32 v0, v99, v99
	ds_bpermute_b32 v98, v2, v85
	v_max_num_f32_e32 v0, v0, v100
	s_delay_alu instid0(VALU_DEP_1) | instskip(NEXT) | instid1(VALU_DEP_1)
	v_dual_max_num_f32 v102, v102, v102 :: v_dual_sub_f32 v23, v23, v0
	v_dual_mul_f32 v117, 0x3fb8aa3b, v23 :: v_dual_max_num_f32 v84, v105, v105
	v_sub_f32_e32 v111, v22, v0
	v_sub_f32_e32 v112, v94, v0
	s_delay_alu instid0(VALU_DEP_3) | instskip(SKIP_2) | instid1(VALU_DEP_3)
	v_fma_f32 v123, 0x3fb8aa3b, v23, -v117
	v_sub_f32_e32 v110, v21, v0
	v_rndne_f32_e32 v124, v117
	v_dual_fmac_f32 v123, 0x32a5705f, v23 :: v_dual_max_num_f32 v2, v1, v84
	s_delay_alu instid0(VALU_DEP_3)
	v_mul_f32_e32 v115, 0x3fb8aa3b, v110
	v_max_num_f32_e32 v1, v101, v102
	s_wait_alu 0xfffe
	v_add_co_u32 v84, vcc_lo, s40, v12
	s_wait_alu 0xfffd
	v_add_co_ci_u32_e64 v99, null, s41, v13, vcc_lo
	s_wait_dscnt 0x0
	v_dual_sub_f32 v113, v96, v1 :: v_dual_max_num_f32 v98, v98, v98
	v_add_co_u32 v100, vcc_lo, s40, v14
	s_wait_alu 0xfffd
	v_add_co_ci_u32_e64 v101, null, s41, v15, vcc_lo
	s_delay_alu instid0(VALU_DEP_3)
	v_dual_mul_f32 v121, 0x3fb8aa3b, v113 :: v_dual_max_num_f32 v98, v85, v98
	v_add_co_u32 v102, vcc_lo, s40, v16
	s_wait_alu 0xfffd
	v_add_co_ci_u32_e64 v103, null, s41, v17, vcc_lo
	ds_bpermute_b32 v95, v95, v98
	v_add_co_u32 v104, vcc_lo, s40, v18
	s_wait_alu 0xfffd
	v_add_co_ci_u32_e64 v105, null, s41, v19, vcc_lo
	v_add_co_u32 v21, vcc_lo, v84, v71
	s_wait_alu 0xfffd
	v_add_co_ci_u32_e64 v22, null, 0, v99, vcc_lo
	v_add_co_u32 v84, vcc_lo, v100, v71
	v_sub_f32_e32 v117, v117, v124
	s_wait_alu 0xfffd
	v_add_co_ci_u32_e64 v85, null, 0, v101, vcc_lo
	v_sub_f32_e32 v114, v97, v1
	v_rndne_f32_e32 v130, v121
	v_fma_f32 v129, 0x3fb8aa3b, v113, -v121
	v_add_co_u32 v102, vcc_lo, v102, v71
	s_wait_alu 0xfffd
	v_add_co_ci_u32_e64 v103, null, 0, v103, vcc_lo
	s_wait_dscnt 0x0
	v_max_num_f32_e32 v94, v95, v95
	v_sub_f32_e32 v80, v80, v0
	v_add_co_u32 v106, vcc_lo, v104, v71
	v_sub_f32_e32 v121, v121, v130
	s_delay_alu instid0(VALU_DEP_4)
	v_max_num_f32_e32 v119, v98, v94
	s_clause 0x1
	global_load_b128 v[94:97], v[21:22], off
	global_load_b128 v[98:101], v[84:85], off
	v_mul_f32_e32 v120, 0x3fb8aa3b, v80
	v_fma_f32 v84, 0x3fb8aa3b, v110, -v115
	v_rndne_f32_e32 v85, v115
	ds_bpermute_b32 v21, v92, v119
	s_wait_alu 0xfffd
	v_add_co_ci_u32_e64 v107, null, 0, v105, vcc_lo
	v_fma_f32 v127, 0x3fb8aa3b, v80, -v120
	v_dual_fmac_f32 v84, 0x32a5705f, v110 :: v_dual_sub_f32 v115, v115, v85
	v_cvt_i32_f32_e32 v85, v85
	v_cmp_ngt_f32_e32 vcc_lo, 0xc2ce8ed0, v110
	s_delay_alu instid0(VALU_DEP_4)
	v_fmac_f32_e32 v127, 0x32a5705f, v80
	v_rndne_f32_e32 v128, v120
	v_dual_add_f32 v84, v115, v84 :: v_dual_add_f32 v115, v117, v123
	v_dual_sub_f32 v78, v78, v1 :: v_dual_sub_f32 v93, v93, v2
	s_clause 0x1
	global_load_b128 v[102:105], v[102:103], off
	global_load_b128 v[106:109], v[106:107], off
	v_exp_f32_e32 v84, v84
	v_exp_f32_e32 v115, v115
	v_dual_sub_f32 v86, v86, v2 :: v_dual_fmac_f32 v129, 0x32a5705f, v113
	s_wait_dscnt 0x0
	v_dual_sub_f32 v76, v76, v2 :: v_dual_max_num_f32 v21, v21, v21
	v_mul_f32_e32 v116, 0x3fb8aa3b, v111
	v_mul_f32_e32 v118, 0x3fb8aa3b, v112
	s_or_b32 s40, s24, 64
	v_sub_f32_e32 v89, v89, v1
	v_max_num_f32_e32 v21, v119, v21
	v_fma_f32 v92, 0x3fb8aa3b, v111, -v116
	v_rndne_f32_e32 v122, v116
	v_ldexp_f32 v84, v84, v85
	v_rndne_f32_e32 v126, v118
	ds_bpermute_b32 v20, v20, v21
	v_fmac_f32_e32 v92, 0x32a5705f, v111
	v_fma_f32 v125, 0x3fb8aa3b, v112, -v118
	s_wait_alu 0xfffd
	v_cndmask_b32_e32 v84, 0, v84, vcc_lo
	v_cmp_ngt_f32_e32 vcc_lo, 0xc2ce8ed0, v111
	v_sub_f32_e32 v116, v116, v122
	v_cvt_i32_f32_e32 v122, v122
	v_fmac_f32_e32 v125, 0x32a5705f, v112
	v_dual_mul_f32 v22, 0x3fb8aa3b, v114 :: v_dual_sub_f32 v119, v120, v128
	s_delay_alu instid0(VALU_DEP_4)
	v_add_f32_e32 v92, v116, v92
	v_cvt_i32_f32_e32 v120, v128
	s_wait_alu 0xfffe
	s_ashr_i32 s41, s40, 31
	v_sub_f32_e32 v87, v87, v1
	v_add_f32_e32 v117, v119, v127
	v_exp_f32_e32 v92, v92
	v_cvt_i32_f32_e32 v119, v126
	s_wait_alu 0xfffe
	s_mul_u64 s[40:41], s[40:41], s[14:15]
	v_sub_f32_e32 v91, v91, v2
	v_exp_f32_e32 v117, v117
	s_wait_dscnt 0x0
	v_max_num_f32_e32 v20, v20, v20
	v_sub_f32_e32 v118, v118, v126
	s_wait_alu 0xfffe
	s_lshl_b64 s[40:41], s[40:41], 2
	v_sub_f32_e32 v83, v83, v2
	s_wait_alu 0xfffe
	s_add_nc_u64 s[40:41], s[26:27], s[40:41]
	v_dual_max_num_f32 v21, v21, v20 :: v_dual_add_f32 v116, v118, v125
	v_cvt_i32_f32_e32 v118, v124
	v_ldexp_f32 v85, v92, v122
	ds_bpermute_b32 v3, v3, v21
	v_exp_f32_e32 v116, v116
	v_ldexp_f32 v92, v115, v118
	s_wait_alu 0xfffd
	v_cndmask_b32_e32 v85, 0, v85, vcc_lo
	v_cmp_ngt_f32_e32 vcc_lo, 0xc2ce8ed0, v23
	s_delay_alu instid0(TRANS32_DEP_1)
	v_ldexp_f32 v115, v116, v119
	v_ldexp_f32 v116, v117, v120
	s_wait_dscnt 0x0
	s_wait_alu 0xfffd
	v_dual_max_num_f32 v3, v3, v3 :: v_dual_cndmask_b32 v20, 0, v92
	v_cmp_ngt_f32_e32 vcc_lo, 0xc2ce8ed0, v112
	s_delay_alu instid0(VALU_DEP_2)
	v_max_num_f32_e32 v3, v21, v3
	s_wait_alu 0xfffd
	v_cndmask_b32_e32 v92, 0, v115, vcc_lo
	v_cmp_nlt_f32_e32 vcc_lo, 0x42b17218, v110
	v_mul_f32_e32 v115, 0x3fb8aa3b, v87
	v_sub_f32_e32 v82, v82, v3
	v_sub_f32_e32 v90, v90, v3
	;; [unrolled: 1-line block ×3, first 2 shown]
	s_wait_alu 0xfffd
	v_cndmask_b32_e32 v84, 0x7f800000, v84, vcc_lo
	v_cmp_nlt_f32_e32 vcc_lo, 0x42b17218, v111
	v_sub_f32_e32 v81, v81, v3
	s_wait_alu 0xfffd
	v_cndmask_b32_e32 v85, 0x7f800000, v85, vcc_lo
	v_cmp_ngt_f32_e32 vcc_lo, 0xc2ce8ed0, v80
	s_wait_alu 0xfffd
	v_cndmask_b32_e32 v110, 0, v116, vcc_lo
	v_cmp_nlt_f32_e32 vcc_lo, 0x42b17218, v23
	v_mul_f32_e32 v116, 0x3fb8aa3b, v78
	s_wait_alu 0xfffd
	v_cndmask_b32_e32 v23, 0x7f800000, v20, vcc_lo
	v_cmp_nlt_f32_e32 vcc_lo, 0x42b17218, v112
	v_add_f32_e32 v20, v84, v85
	v_rndne_f32_e32 v117, v116
	v_cvt_f16_f32_e32 v84, v84
	v_cvt_f16_f32_e32 v85, v85
	s_wait_alu 0xfffd
	v_cndmask_b32_e32 v92, 0x7f800000, v92, vcc_lo
	v_cmp_nlt_f32_e32 vcc_lo, 0x42b17218, v80
	s_wait_alu 0xfffd
	v_cndmask_b32_e32 v80, 0x7f800000, v110, vcc_lo
	v_add_f32_e32 v110, v121, v129
	v_cmp_ngt_f32_e32 vcc_lo, 0xc2ce8ed0, v113
	s_delay_alu instid0(VALU_DEP_3) | instskip(NEXT) | instid1(VALU_DEP_3)
	v_cvt_f16_f32_e32 v111, v80
	v_exp_f32_e32 v21, v110
	s_delay_alu instid0(VALU_DEP_1) | instskip(NEXT) | instid1(VALU_DEP_1)
	v_and_b32_e32 v111, 0xffff, v111
	v_mul_u32_u24_e32 v110, 0x10001, v111
	v_cvt_i32_f32_e32 v111, v130
	s_delay_alu instid0(VALU_DEP_2)
	v_pk_mul_f16 v49, v49, v110
	s_delay_alu instid0(TRANS32_DEP_1) | instid1(VALU_DEP_2)
	v_ldexp_f32 v21, v21, v111
	v_add_f32_e32 v20, v23, v20
	v_cvt_f16_f32_e32 v23, v23
	s_wait_alu 0xfffd
	s_delay_alu instid0(VALU_DEP_2) | instskip(SKIP_3) | instid1(VALU_DEP_3)
	v_dual_cndmask_b32 v21, 0, v21 :: v_dual_add_f32 v20, v92, v20
	v_cmp_nlt_f32_e32 vcc_lo, 0x42b17218, v113
	v_rndne_f32_e32 v113, v115
	s_wait_alu 0xfffd
	v_dual_fmac_f32 v20, v79, v80 :: v_dual_cndmask_b32 v21, 0x7f800000, v21
	v_fma_f32 v79, 0x3fb8aa3b, v114, -v22
	v_rndne_f32_e32 v80, v22
	v_cmp_ngt_f32_e32 vcc_lo, 0xc2ce8ed0, v114
	s_delay_alu instid0(VALU_DEP_2) | instskip(SKIP_1) | instid1(VALU_DEP_2)
	v_dual_fmac_f32 v79, 0x32a5705f, v114 :: v_dual_sub_f32 v22, v22, v80
	v_cvt_i32_f32_e32 v80, v80
	v_add_f32_e32 v22, v22, v79
	s_delay_alu instid0(VALU_DEP_1) | instskip(NEXT) | instid1(TRANS32_DEP_1)
	v_exp_f32_e32 v22, v22
	v_ldexp_f32 v22, v22, v80
	s_wait_alu 0xfffd
	s_delay_alu instid0(VALU_DEP_1) | instskip(SKIP_3) | instid1(VALU_DEP_3)
	v_cndmask_b32_e32 v22, 0, v22, vcc_lo
	v_cmp_nlt_f32_e32 vcc_lo, 0x42b17218, v114
	v_cvt_f16_f32_e32 v114, v21
	s_wait_alu 0xfffd
	v_cndmask_b32_e32 v22, 0x7f800000, v22, vcc_lo
	v_mul_f32_e32 v112, 0x3fb8aa3b, v89
	v_cmp_ngt_f32_e32 vcc_lo, 0xc2ce8ed0, v89
	s_delay_alu instid0(VALU_DEP_3) | instskip(NEXT) | instid1(VALU_DEP_3)
	v_add_f32_e32 v21, v21, v22
	v_fma_f32 v79, 0x3fb8aa3b, v89, -v112
	v_rndne_f32_e32 v111, v112
	s_delay_alu instid0(VALU_DEP_1) | instskip(SKIP_1) | instid1(VALU_DEP_2)
	v_dual_fmac_f32 v79, 0x32a5705f, v89 :: v_dual_sub_f32 v112, v112, v111
	v_cvt_i32_f32_e32 v111, v111
	v_add_f32_e32 v79, v112, v79
	v_fma_f32 v112, 0x3fb8aa3b, v87, -v115
	v_cvt_f16_f32_e32 v92, v92
	s_delay_alu instid0(VALU_DEP_3) | instskip(NEXT) | instid1(VALU_DEP_2)
	v_exp_f32_e32 v79, v79
	v_fmac_f32_e32 v112, 0x32a5705f, v87
	s_delay_alu instid0(TRANS32_DEP_1) | instskip(SKIP_1) | instid1(VALU_DEP_1)
	v_ldexp_f32 v79, v79, v111
	s_wait_alu 0xfffd
	v_cndmask_b32_e32 v79, 0, v79, vcc_lo
	v_cmp_nlt_f32_e32 vcc_lo, 0x42b17218, v89
	v_sub_f32_e32 v80, v115, v113
	v_fma_f32 v115, 0x3fb8aa3b, v78, -v116
	v_cvt_f16_f32_e32 v89, v22
	s_wait_alu 0xfffd
	s_delay_alu instid0(VALU_DEP_3) | instskip(NEXT) | instid1(VALU_DEP_3)
	v_dual_cndmask_b32 v79, 0x7f800000, v79 :: v_dual_add_f32 v80, v80, v112
	v_dual_fmac_f32 v115, 0x32a5705f, v78 :: v_dual_sub_f32 v112, v116, v117
	v_cmp_ngt_f32_e32 vcc_lo, 0xc2ce8ed0, v87
	s_delay_alu instid0(VALU_DEP_3) | instskip(NEXT) | instid1(VALU_DEP_4)
	v_add_f32_e32 v21, v79, v21
	v_exp_f32_e32 v80, v80
	v_cvt_f16_f32_e32 v79, v79
	v_add_f32_e32 v111, v112, v115
	v_cvt_i32_f32_e32 v112, v113
	v_mul_f32_e32 v115, 0x3fb8aa3b, v83
	s_delay_alu instid0(VALU_DEP_4) | instskip(NEXT) | instid1(VALU_DEP_4)
	v_pack_b32_f16 v79, v23, v79
	v_exp_f32_e32 v111, v111
	s_delay_alu instid0(TRANS32_DEP_2) | instid1(VALU_DEP_3)
	v_ldexp_f32 v22, v80, v112
	v_mul_f32_e32 v112, 0x3fb8aa3b, v93
	v_cvt_i32_f32_e32 v80, v117
	s_wait_alu 0xfffd
	s_delay_alu instid0(VALU_DEP_3) | instskip(NEXT) | instid1(VALU_DEP_3)
	v_cndmask_b32_e32 v22, 0, v22, vcc_lo
	v_rndne_f32_e32 v113, v112
	s_delay_alu instid0(TRANS32_DEP_1) | instid1(VALU_DEP_3)
	v_ldexp_f32 v80, v111, v80
	v_fma_f32 v111, 0x3fb8aa3b, v93, -v112
	v_cmp_nlt_f32_e32 vcc_lo, 0x42b17218, v87
	s_delay_alu instid0(VALU_DEP_4) | instskip(NEXT) | instid1(VALU_DEP_3)
	v_sub_f32_e32 v112, v112, v113
	v_fmac_f32_e32 v111, 0x32a5705f, v93
	s_wait_alu 0xfffd
	v_cndmask_b32_e32 v87, 0x7f800000, v22, vcc_lo
	v_cmp_ngt_f32_e32 vcc_lo, 0xc2ce8ed0, v78
	s_delay_alu instid0(VALU_DEP_2)
	v_add_f32_e32 v22, v87, v21
	s_wait_alu 0xfffd
	v_cndmask_b32_e32 v80, 0, v80, vcc_lo
	v_cmp_nlt_f32_e32 vcc_lo, 0x42b17218, v78
	v_add_f32_e32 v78, v112, v111
	v_cvt_i32_f32_e32 v112, v113
	v_mul_f32_e32 v113, 0x3fb8aa3b, v86
	v_cvt_f16_f32_e32 v87, v87
	s_wait_alu 0xfffd
	v_cndmask_b32_e32 v21, 0x7f800000, v80, vcc_lo
	v_mul_f32_e32 v80, 0x3fb8aa3b, v91
	v_cmp_ngt_f32_e32 vcc_lo, 0xc2ce8ed0, v93
	s_delay_alu instid0(VALU_DEP_3) | instskip(SKIP_1) | instid1(VALU_DEP_3)
	v_fmac_f32_e32 v22, v77, v21
	v_exp_f32_e32 v77, v78
	v_fma_f32 v78, 0x3fb8aa3b, v91, -v80
	v_rndne_f32_e32 v111, v80
	v_cvt_f16_f32_e32 v21, v21
	s_delay_alu instid0(VALU_DEP_3) | instskip(NEXT) | instid1(VALU_DEP_2)
	v_fmac_f32_e32 v78, 0x32a5705f, v91
	v_dual_sub_f32 v80, v80, v111 :: v_dual_and_b32 v21, 0xffff, v21
	s_delay_alu instid0(TRANS32_DEP_1) | instskip(SKIP_1) | instid1(VALU_DEP_3)
	v_ldexp_f32 v77, v77, v112
	v_rndne_f32_e32 v112, v113
	v_add_f32_e32 v78, v80, v78
	v_fma_f32 v80, 0x3fb8aa3b, v86, -v113
	s_wait_alu 0xfffd
	v_cndmask_b32_e32 v77, 0, v77, vcc_lo
	v_sub_f32_e32 v113, v113, v112
	v_exp_f32_e32 v78, v78
	v_fmac_f32_e32 v80, 0x32a5705f, v86
	v_cmp_nlt_f32_e32 vcc_lo, 0x42b17218, v93
	v_cvt_i32_f32_e32 v93, v111
	v_fma_f32 v111, 0x3fb8aa3b, v83, -v115
	v_cvt_i32_f32_e32 v112, v112
	s_wait_alu 0xfffd
	v_dual_add_f32 v80, v113, v80 :: v_dual_cndmask_b32 v77, 0x7f800000, v77
	v_rndne_f32_e32 v113, v115
	v_cmp_ngt_f32_e32 vcc_lo, 0xc2ce8ed0, v91
	v_ldexp_f32 v78, v78, v93
	s_delay_alu instid0(VALU_DEP_4)
	v_exp_f32_e32 v80, v80
	v_fmac_f32_e32 v111, 0x32a5705f, v83
	v_sub_f32_e32 v93, v115, v113
	v_cvt_f16_f32_e32 v116, v77
	s_wait_alu 0xfffd
	v_cndmask_b32_e32 v78, 0, v78, vcc_lo
	v_cmp_nlt_f32_e32 vcc_lo, 0x42b17218, v91
	s_wait_alu 0xfffd
	s_delay_alu instid0(VALU_DEP_2) | instskip(NEXT) | instid1(TRANS32_DEP_1)
	v_dual_add_f32 v93, v93, v111 :: v_dual_cndmask_b32 v78, 0x7f800000, v78
	v_ldexp_f32 v80, v80, v112
	v_cmp_ngt_f32_e32 vcc_lo, 0xc2ce8ed0, v86
	s_delay_alu instid0(VALU_DEP_3) | instskip(SKIP_1) | instid1(VALU_DEP_2)
	v_exp_f32_e32 v91, v93
	s_wait_alu 0xfffd
	v_dual_add_f32 v112, v77, v78 :: v_dual_cndmask_b32 v77, 0, v80
	v_mul_f32_e32 v115, 0x3fb8aa3b, v76
	v_cvt_i32_f32_e32 v80, v113
	v_cmp_nlt_f32_e32 vcc_lo, 0x42b17218, v86
	s_delay_alu instid0(VALU_DEP_3)
	v_fma_f32 v111, 0x3fb8aa3b, v76, -v115
	v_rndne_f32_e32 v117, v115
	s_wait_alu 0xfffd
	v_cndmask_b32_e32 v86, 0x7f800000, v77, vcc_lo
	v_cvt_f16_f32_e32 v77, v78
	v_ldexp_f32 v78, v91, v80
	v_fmac_f32_e32 v111, 0x32a5705f, v76
	v_sub_f32_e32 v93, v115, v117
	v_mul_f32_e32 v91, 0x3fb8aa3b, v90
	v_cmp_ngt_f32_e32 vcc_lo, 0xc2ce8ed0, v83
	s_delay_alu instid0(VALU_DEP_3)
	v_add_f32_e32 v93, v93, v111
	v_cvt_i32_f32_e32 v111, v117
	s_wait_alu 0xfffd
	v_cndmask_b32_e32 v78, 0, v78, vcc_lo
	v_fma_f32 v113, 0x3fb8aa3b, v90, -v91
	v_rndne_f32_e32 v115, v91
	v_exp_f32_e32 v80, v93
	v_cmp_nlt_f32_e32 vcc_lo, 0x42b17218, v83
	s_delay_alu instid0(VALU_DEP_3) | instskip(SKIP_3) | instid1(TRANS32_DEP_1)
	v_fmac_f32_e32 v113, 0x32a5705f, v90
	s_wait_alu 0xfffd
	v_cndmask_b32_e32 v83, 0x7f800000, v78, vcc_lo
	v_cmp_ngt_f32_e32 vcc_lo, 0xc2ce8ed0, v76
	v_ldexp_f32 v78, v80, v111
	v_dual_sub_f32 v80, v91, v115 :: v_dual_mul_f32 v91, 0x3fb8aa3b, v88
	s_delay_alu instid0(VALU_DEP_4) | instskip(SKIP_1) | instid1(VALU_DEP_3)
	v_cvt_f16_f32_e32 v111, v83
	s_wait_alu 0xfffd
	v_cndmask_b32_e32 v78, 0, v78, vcc_lo
	s_delay_alu instid0(VALU_DEP_3) | instskip(SKIP_3) | instid1(VALU_DEP_3)
	v_add_f32_e32 v80, v80, v113
	v_fma_f32 v113, 0x3fb8aa3b, v88, -v91
	v_rndne_f32_e32 v117, v91
	v_cmp_nlt_f32_e32 vcc_lo, 0x42b17218, v76
	v_fmac_f32_e32 v113, 0x32a5705f, v88
	s_wait_alu 0xfffd
	v_cndmask_b32_e32 v118, 0x7f800000, v78, vcc_lo
	v_sub_f32_e32 v78, v91, v117
	v_cvt_i32_f32_e32 v91, v115
	v_sub_f32_e32 v115, v75, v3
	v_cvt_i32_f32_e32 v117, v117
	s_delay_alu instid0(VALU_DEP_4) | instskip(SKIP_2) | instid1(VALU_DEP_3)
	v_add_f32_e32 v75, v78, v113
	v_mul_f32_e32 v113, 0x3fb8aa3b, v82
	v_cmp_ngt_f32_e32 vcc_lo, 0xc2ce8ed0, v90
	v_exp_f32_e32 v75, v75
	s_delay_alu instid0(VALU_DEP_2) | instskip(SKIP_1) | instid1(VALU_DEP_2)
	v_fma_f32 v119, 0x3fb8aa3b, v82, -v113
	v_rndne_f32_e32 v120, v113
	v_fmac_f32_e32 v119, 0x32a5705f, v82
	v_exp_f32_e32 v76, v80
	s_delay_alu instid0(VALU_DEP_2) | instskip(SKIP_1) | instid1(TRANS32_DEP_2)
	v_sub_f32_e32 v113, v113, v120
	v_cvt_f16_f32_e32 v93, v86
	v_ldexp_f32 v75, v75, v117
	s_delay_alu instid0(TRANS32_DEP_1) | instskip(SKIP_1) | instid1(VALU_DEP_1)
	v_ldexp_f32 v76, v76, v91
	s_wait_alu 0xfffd
	v_cndmask_b32_e32 v76, 0, v76, vcc_lo
	v_cmp_nlt_f32_e32 vcc_lo, 0x42b17218, v90
	s_wait_alu 0xfffd
	s_delay_alu instid0(VALU_DEP_2)
	v_cndmask_b32_e32 v90, 0x7f800000, v76, vcc_lo
	v_cmp_ngt_f32_e32 vcc_lo, 0xc2ce8ed0, v88
	v_add_f32_e32 v76, v113, v119
	v_cvt_i32_f32_e32 v119, v120
	s_wait_alu 0xfffd
	v_cndmask_b32_e32 v75, 0, v75, vcc_lo
	v_cmp_nlt_f32_e32 vcc_lo, 0x42b17218, v88
	v_exp_f32_e32 v76, v76
	s_wait_alu 0xfffd
	s_delay_alu instid0(VALU_DEP_2) | instskip(SKIP_2) | instid1(VALU_DEP_2)
	v_cndmask_b32_e32 v88, 0x7f800000, v75, vcc_lo
	v_mul_f32_e32 v80, 0x3fb8aa3b, v81
	v_cmp_ngt_f32_e32 vcc_lo, 0xc2ce8ed0, v81
	v_fma_f32 v78, 0x3fb8aa3b, v81, -v80
	v_rndne_f32_e32 v91, v80
	s_delay_alu instid0(TRANS32_DEP_1)
	v_ldexp_f32 v75, v76, v119
	v_add_nc_u32_e32 v119, v44, v36
	v_cvt_f16_f32_e32 v23, v118
	v_fmac_f32_e32 v78, 0x32a5705f, v81
	v_sub_f32_e32 v80, v80, v91
	v_cvt_i32_f32_e32 v91, v91
	s_delay_alu instid0(VALU_DEP_2) | instskip(SKIP_1) | instid1(VALU_DEP_2)
	v_add_f32_e32 v78, v80, v78
	v_mul_f32_e32 v80, 0x3fb8aa3b, v115
	v_exp_f32_e32 v78, v78
	s_delay_alu instid0(VALU_DEP_1) | instskip(SKIP_1) | instid1(VALU_DEP_1)
	v_fma_f32 v113, 0x3fb8aa3b, v115, -v80
	v_rndne_f32_e32 v117, v80
	v_dual_fmac_f32 v113, 0x32a5705f, v115 :: v_dual_sub_f32 v80, v80, v117
	s_delay_alu instid0(TRANS32_DEP_1) | instskip(NEXT) | instid1(VALU_DEP_2)
	v_ldexp_f32 v78, v78, v91
	v_add_f32_e32 v76, v80, v113
	v_cvt_f16_f32_e32 v80, v88
	s_wait_alu 0xfffd
	s_delay_alu instid0(VALU_DEP_3)
	v_cndmask_b32_e32 v78, 0, v78, vcc_lo
	v_cmp_ngt_f32_e32 vcc_lo, 0xc2ce8ed0, v82
	v_exp_f32_e32 v76, v76
	s_wait_alu 0xfffd
	v_cndmask_b32_e32 v75, 0, v75, vcc_lo
	v_cmp_nlt_f32_e32 vcc_lo, 0x42b17218, v81
	s_wait_alu 0xfffd
	v_cndmask_b32_e32 v91, 0x7f800000, v78, vcc_lo
	v_cmp_nlt_f32_e32 vcc_lo, 0x42b17218, v82
	v_cvt_f16_f32_e32 v78, v90
	s_delay_alu instid0(VALU_DEP_3) | instskip(SKIP_4) | instid1(VALU_DEP_3)
	v_cvt_f16_f32_e32 v81, v91
	s_wait_alu 0xfffd
	v_cndmask_b32_e32 v113, 0x7f800000, v75, vcc_lo
	v_cvt_i32_f32_e32 v75, v117
	v_cmp_ngt_f32_e32 vcc_lo, 0xc2ce8ed0, v115
	v_cvt_f16_f32_e32 v82, v113
	s_delay_alu instid0(VALU_DEP_3)
	v_ldexp_f32 v117, v76, v75
	v_pack_b32_f16 v76, v116, v78
	v_pack_b32_f16 v75, v84, v114
	;; [unrolled: 1-line block ×7, first 2 shown]
	ds_store_2addr_b64 v119, v[75:76], v[77:78] offset1:32
	ds_store_2addr_b64 v119, v[79:80], v[81:82] offset0:64 offset1:96
	s_wait_loadcnt 0x3
	ds_store_b128 v64, v[94:97]
	s_wait_loadcnt 0x2
	ds_store_b128 v67, v[98:101]
	;; [unrolled: 2-line block ×4, first 2 shown]
	v_add_f32_e32 v80, v86, v112
	s_wait_alu 0xfffd
	v_cndmask_b32_e32 v84, 0, v117, vcc_lo
	s_wait_dscnt 0x0
	s_barrier_signal -1
	s_barrier_wait -1
	global_inv scope:SCOPE_SE
	ds_load_b128 v[75:78], v44
	v_cmp_nlt_f32_e32 vcc_lo, 0x42b17218, v115
	v_mul_u32_u24_e32 v92, 0x10001, v21
	v_and_b32_e32 v21, 0xffff, v23
	v_add_f32_e32 v23, v83, v80
	s_wait_alu 0xfffd
	v_cndmask_b32_e32 v84, 0x7f800000, v84, vcc_lo
	v_pk_mul_f16 v46, v46, v92
	s_wait_alu 0xfffe
	v_add_co_u32 v157, vcc_lo, s40, v12
	v_fmac_f32_e32 v23, v73, v118
	v_add_f32_e32 v79, v90, v88
	v_cvt_f16_f32_e32 v86, v84
	s_wait_alu 0xfffd
	v_add_co_ci_u32_e64 v158, null, s41, v13, vcc_lo
	v_add_co_u32 v159, vcc_lo, s40, v14
	v_add_f32_e32 v85, v91, v79
	ds_load_2addr_b64 v[79:82], v36 offset1:32
	v_mul_u32_u24_e32 v91, 0x10001, v21
	v_and_b32_e32 v83, 0xffff, v86
	s_wait_alu 0xfffd
	v_add_co_ci_u32_e64 v160, null, s41, v15, vcc_lo
	v_add_f32_e32 v21, v113, v85
	v_pk_mul_f16 v43, v43, v91
	v_mul_u32_u24_e32 v73, 0x10001, v83
	v_add_co_u32 v157, vcc_lo, v157, v71
	s_delay_alu instid0(VALU_DEP_4)
	v_fmac_f32_e32 v21, v74, v84
	ds_load_b128 v[83:86], v44 offset:16
	s_wait_dscnt 0x2
	v_and_b32_e32 v74, 0xffff, v75
	v_lshrrev_b32_e32 v75, 16, v75
	v_and_b32_e32 v87, 0xffff, v76
	v_lshrrev_b32_e32 v76, 16, v76
	v_pk_mul_f16 v41, v41, v73
	v_mul_u32_u24_e32 v93, 0x10001, v74
	v_mul_u32_u24_e32 v94, 0x10001, v75
	;; [unrolled: 1-line block ×3, first 2 shown]
	v_pk_mul_f16 v96, v40, v73
	v_mul_u32_u24_e32 v97, 0x10001, v76
	s_wait_dscnt 0x1
	v_pk_mul_f16 v40, v79, v93
	v_pk_mul_f16 v98, v79, v94
	;; [unrolled: 1-line block ×3, first 2 shown]
	ds_load_b128 v[73:76], v44 offset:32
	ds_load_b128 v[87:90], v44 offset:48
	v_pk_fma_f16 v79, v79, v97, v41
	v_pk_fma_f16 v47, v47, v110, v40
	v_and_b32_e32 v40, 0xffff, v77
	v_lshrrev_b32_e32 v41, 16, v77
	v_pk_fma_f16 v45, v45, v92, v98
	v_pk_fma_f16 v91, v42, v91, v99
	;; [unrolled: 1-line block ×5, first 2 shown]
	v_and_b32_e32 v92, 0xffff, v78
	v_lshrrev_b32_e32 v78, 16, v78
	v_mul_u32_u24_e32 v93, 0x10001, v40
	v_mul_u32_u24_e32 v94, 0x10001, v41
	ds_load_2addr_b64 v[40:43], v36 offset0:64 offset1:96
	v_mul_u32_u24_e32 v92, 0x10001, v92
	v_mul_u32_u24_e32 v78, 0x10001, v78
	v_pk_fma_f16 v47, v81, v93, v47
	v_pk_fma_f16 v45, v81, v94, v45
	;; [unrolled: 1-line block ×5, first 2 shown]
	s_wait_dscnt 0x3
	v_and_b32_e32 v81, 0xffff, v83
	v_lshrrev_b32_e32 v83, 16, v83
	v_and_b32_e32 v93, 0xffff, v84
	v_lshrrev_b32_e32 v84, 16, v84
	v_pk_fma_f16 v80, v80, v97, v96
	v_pk_fma_f16 v77, v82, v92, v77
	v_mul_u32_u24_e32 v81, 0x10001, v81
	v_mul_u32_u24_e32 v83, 0x10001, v83
	;; [unrolled: 1-line block ×4, first 2 shown]
	v_pk_fma_f16 v46, v82, v94, v46
	v_pk_fma_f16 v82, v82, v78, v80
	s_wait_dscnt 0x0
	v_pk_fma_f16 v47, v40, v81, v47
	v_pk_fma_f16 v45, v40, v83, v45
	;; [unrolled: 1-line block ×4, first 2 shown]
	v_and_b32_e32 v78, 0xffff, v85
	v_lshrrev_b32_e32 v79, 16, v85
	v_pk_fma_f16 v49, v41, v81, v49
	v_pk_fma_f16 v46, v41, v83, v46
	;; [unrolled: 1-line block ×3, first 2 shown]
	v_and_b32_e32 v83, 0xffff, v86
	v_lshrrev_b32_e32 v85, 16, v86
	v_mul_u32_u24_e32 v86, 0x10001, v78
	v_mul_u32_u24_e32 v92, 0x10001, v79
	ds_load_2addr_b64 v[77:80], v36 offset0:128 offset1:160
	v_mul_u32_u24_e32 v83, 0x10001, v83
	v_mul_u32_u24_e32 v85, 0x10001, v85
	v_pk_fma_f16 v41, v41, v84, v82
	v_pk_fma_f16 v47, v42, v86, v47
	;; [unrolled: 1-line block ×6, first 2 shown]
	v_and_b32_e32 v49, 0xffff, v73
	v_lshrrev_b32_e32 v73, 16, v73
	v_pk_fma_f16 v46, v43, v92, v46
	v_and_b32_e32 v84, 0xffff, v74
	v_lshrrev_b32_e32 v74, 16, v74
	v_pk_fma_f16 v81, v43, v83, v81
	v_mul_u32_u24_e32 v73, 0x10001, v73
	v_mul_u32_u24_e32 v49, 0x10001, v49
	v_mul_u32_u24_e32 v83, 0x10001, v84
	v_mul_u32_u24_e32 v84, 0x10001, v74
	v_pk_fma_f16 v41, v43, v85, v41
	s_wait_dscnt 0x0
	v_pk_fma_f16 v45, v77, v73, v45
	v_pk_fma_f16 v46, v78, v73, v46
	v_lshrrev_b32_e32 v73, 16, v75
	v_pk_fma_f16 v43, v77, v49, v47
	v_pk_fma_f16 v47, v77, v83, v82
	;; [unrolled: 1-line block ×4, first 2 shown]
	v_and_b32_e32 v49, 0xffff, v75
	v_pk_fma_f16 v77, v78, v83, v81
	v_and_b32_e32 v81, 0xffff, v76
	v_lshrrev_b32_e32 v82, 16, v76
	v_mul_u32_u24_e32 v83, 0x10001, v73
	ds_load_2addr_b64 v[73:76], v36 offset0:192 offset1:224
	v_mul_u32_u24_e32 v49, 0x10001, v49
	v_mul_u32_u24_e32 v81, 0x10001, v81
	;; [unrolled: 1-line block ×3, first 2 shown]
	v_pk_fma_f16 v41, v78, v84, v41
	v_lshrrev_b32_e32 v78, 16, v87
	v_pk_fma_f16 v43, v79, v49, v43
	v_pk_fma_f16 v45, v79, v83, v45
	;; [unrolled: 1-line block ×6, first 2 shown]
	v_and_b32_e32 v49, 0xffff, v87
	v_and_b32_e32 v79, 0xffff, v88
	v_lshrrev_b32_e32 v83, 16, v88
	v_pk_fma_f16 v81, v80, v81, v77
	v_mul_u32_u24_e32 v77, 0x10001, v78
	v_mul_u32_u24_e32 v49, 0x10001, v49
	;; [unrolled: 1-line block ×4, first 2 shown]
	v_pk_fma_f16 v41, v80, v82, v41
	s_wait_dscnt 0x0
	v_pk_fma_f16 v45, v73, v77, v45
	v_pk_fma_f16 v46, v74, v77, v46
	ds_load_b128 v[77:80], v44 offset:64
	v_pk_fma_f16 v43, v73, v49, v43
	v_pk_fma_f16 v47, v73, v84, v47
	;; [unrolled: 1-line block ×5, first 2 shown]
	v_and_b32_e32 v81, 0xffff, v89
	v_lshrrev_b32_e32 v82, 16, v89
	v_and_b32_e32 v83, 0xffff, v90
	v_add_nc_u32_e32 v42, 0x800, v36
	v_lshrrev_b32_e32 v86, 16, v90
	v_mul_u32_u24_e32 v87, 0x10001, v81
	v_mul_u32_u24_e32 v88, 0x10001, v82
	;; [unrolled: 1-line block ×3, first 2 shown]
	ds_load_2addr_b64 v[81:84], v42 offset1:32
	v_mul_u32_u24_e32 v90, 0x10001, v86
	v_pk_fma_f16 v41, v74, v85, v41
	v_pk_fma_f16 v43, v75, v87, v43
	;; [unrolled: 1-line block ×7, first 2 shown]
	ds_load_b128 v[85:88], v44 offset:80
	s_wait_dscnt 0x2
	v_and_b32_e32 v74, 0xffff, v77
	v_lshrrev_b32_e32 v75, 16, v77
	v_and_b32_e32 v77, 0xffff, v78
	v_lshrrev_b32_e32 v78, 16, v78
	v_pk_fma_f16 v73, v76, v89, v73
	v_mul_u32_u24_e32 v74, 0x10001, v74
	v_mul_u32_u24_e32 v75, 0x10001, v75
	;; [unrolled: 1-line block ×4, first 2 shown]
	v_pk_fma_f16 v41, v76, v90, v41
	s_wait_dscnt 0x1
	v_pk_fma_f16 v43, v81, v74, v43
	v_pk_fma_f16 v45, v81, v75, v45
	;; [unrolled: 1-line block ×4, first 2 shown]
	v_and_b32_e32 v74, 0xffff, v79
	v_lshrrev_b32_e32 v75, 16, v79
	v_pk_fma_f16 v47, v81, v77, v47
	v_pk_fma_f16 v40, v81, v78, v40
	v_pk_fma_f16 v77, v82, v77, v73
	v_mul_u32_u24_e32 v81, 0x10001, v74
	v_mul_u32_u24_e32 v89, 0x10001, v75
	ds_load_2addr_b64 v[73:76], v42 offset0:64 offset1:96
	v_and_b32_e32 v79, 0xffff, v80
	v_lshrrev_b32_e32 v80, 16, v80
	v_pk_fma_f16 v41, v82, v78, v41
	s_wait_dscnt 0x1
	v_and_b32_e32 v78, 0xffff, v85
	v_pk_fma_f16 v43, v83, v81, v43
	v_mul_u32_u24_e32 v79, 0x10001, v79
	v_mul_u32_u24_e32 v80, 0x10001, v80
	v_pk_fma_f16 v49, v84, v81, v49
	v_lshrrev_b32_e32 v81, 16, v85
	v_pk_fma_f16 v45, v83, v89, v45
	v_pk_fma_f16 v85, v84, v79, v77
	v_mul_u32_u24_e32 v77, 0x10001, v78
	v_pk_fma_f16 v47, v83, v79, v47
	v_pk_fma_f16 v40, v83, v80, v40
	;; [unrolled: 1-line block ×3, first 2 shown]
	v_and_b32_e32 v82, 0xffff, v86
	v_lshrrev_b32_e32 v83, 16, v86
	v_mul_u32_u24_e32 v81, 0x10001, v81
	v_pk_fma_f16 v41, v84, v80, v41
	s_wait_dscnt 0x0
	v_pk_fma_f16 v43, v73, v77, v43
	v_pk_fma_f16 v49, v74, v77, v49
	ds_load_b128 v[77:80], v44 offset:96
	v_mul_u32_u24_e32 v82, 0x10001, v82
	v_mul_u32_u24_e32 v86, 0x10001, v83
	v_pk_fma_f16 v45, v73, v81, v45
	v_pk_fma_f16 v46, v74, v81, v46
	v_lshrrev_b32_e32 v81, 16, v87
	v_and_b32_e32 v83, 0xffff, v88
	v_pk_fma_f16 v47, v73, v82, v47
	v_pk_fma_f16 v40, v73, v86, v40
	v_and_b32_e32 v73, 0xffff, v87
	v_pk_fma_f16 v89, v74, v82, v85
	v_mul_u32_u24_e32 v87, 0x10001, v81
	v_mul_u32_u24_e32 v90, 0x10001, v83
	ds_load_2addr_b64 v[81:84], v42 offset0:128 offset1:160
	v_lshrrev_b32_e32 v85, 16, v88
	v_mul_u32_u24_e32 v73, 0x10001, v73
	v_pk_fma_f16 v41, v74, v86, v41
	v_pk_fma_f16 v45, v75, v87, v45
	v_pk_fma_f16 v46, v76, v87, v46
	v_mul_u32_u24_e32 v91, 0x10001, v85
	v_pk_fma_f16 v43, v75, v73, v43
	v_pk_fma_f16 v49, v76, v73, v49
	ds_load_b128 v[85:88], v44 offset:112
	s_wait_dscnt 0x2
	v_and_b32_e32 v73, 0xffff, v77
	v_lshrrev_b32_e32 v74, 16, v77
	v_pk_fma_f16 v47, v75, v90, v47
	v_pk_fma_f16 v40, v75, v91, v40
	v_and_b32_e32 v75, 0xffff, v78
	v_lshrrev_b32_e32 v77, 16, v78
	v_mul_u32_u24_e32 v73, 0x10001, v73
	v_mul_u32_u24_e32 v74, 0x10001, v74
	v_pk_fma_f16 v78, v76, v90, v89
	v_mul_u32_u24_e32 v75, 0x10001, v75
	v_mul_u32_u24_e32 v77, 0x10001, v77
	s_wait_dscnt 0x1
	v_pk_fma_f16 v43, v81, v73, v43
	v_pk_fma_f16 v45, v81, v74, v45
	v_pk_fma_f16 v49, v82, v73, v49
	v_pk_fma_f16 v46, v82, v74, v46
	v_and_b32_e32 v73, 0xffff, v79
	v_lshrrev_b32_e32 v74, 16, v79
	v_pk_fma_f16 v41, v76, v91, v41
	v_pk_fma_f16 v47, v81, v75, v47
	;; [unrolled: 1-line block ×4, first 2 shown]
	v_mul_u32_u24_e32 v81, 0x10001, v73
	v_mul_u32_u24_e32 v89, 0x10001, v74
	ds_load_2addr_b64 v[73:76], v42 offset0:192 offset1:224
	v_and_b32_e32 v79, 0xffff, v80
	v_lshrrev_b32_e32 v80, 16, v80
	v_pk_fma_f16 v41, v82, v77, v41
	v_pk_fma_f16 v43, v83, v81, v43
	;; [unrolled: 1-line block ×3, first 2 shown]
	v_mul_u32_u24_e32 v79, 0x10001, v79
	v_mul_u32_u24_e32 v80, 0x10001, v80
	s_wait_dscnt 0x1
	v_and_b32_e32 v77, 0xffff, v85
	v_lshrrev_b32_e32 v81, 16, v85
	v_pk_fma_f16 v45, v83, v89, v45
	v_pk_fma_f16 v47, v83, v79, v47
	;; [unrolled: 1-line block ×4, first 2 shown]
	v_and_b32_e32 v82, 0xffff, v86
	v_lshrrev_b32_e32 v83, 16, v86
	v_pk_fma_f16 v85, v84, v79, v78
	v_mul_u32_u24_e32 v77, 0x10001, v77
	v_mul_u32_u24_e32 v78, 0x10001, v81
	;; [unrolled: 1-line block ×4, first 2 shown]
	v_pk_fma_f16 v41, v84, v80, v41
	s_wait_dscnt 0x0
	v_pk_fma_f16 v89, v73, v77, v43
	v_pk_fma_f16 v45, v73, v78, v45
	;; [unrolled: 1-line block ×4, first 2 shown]
	ds_load_b128 v[77:80], v44 offset:128
	v_pk_fma_f16 v47, v73, v81, v47
	v_pk_fma_f16 v40, v73, v86, v40
	;; [unrolled: 1-line block ×3, first 2 shown]
	v_and_b32_e32 v81, 0xffff, v87
	v_lshrrev_b32_e32 v82, 16, v87
	v_and_b32_e32 v83, 0xffff, v88
	v_add_nc_u32_e32 v43, 0x1000, v36
	v_lshrrev_b32_e32 v85, 16, v88
	v_mul_u32_u24_e32 v87, 0x10001, v81
	v_mul_u32_u24_e32 v88, 0x10001, v82
	;; [unrolled: 1-line block ×3, first 2 shown]
	ds_load_2addr_b64 v[81:84], v43 offset1:32
	v_mul_u32_u24_e32 v91, 0x10001, v85
	v_pk_fma_f16 v41, v74, v86, v41
	v_pk_fma_f16 v74, v75, v87, v89
	;; [unrolled: 1-line block ×7, first 2 shown]
	ds_load_b128 v[85:88], v44 offset:144
	s_wait_dscnt 0x2
	v_and_b32_e32 v75, 0xffff, v77
	v_lshrrev_b32_e32 v77, 16, v77
	v_and_b32_e32 v89, 0xffff, v78
	v_lshrrev_b32_e32 v78, 16, v78
	v_pk_fma_f16 v73, v76, v90, v73
	v_mul_u32_u24_e32 v75, 0x10001, v75
	v_mul_u32_u24_e32 v77, 0x10001, v77
	;; [unrolled: 1-line block ×4, first 2 shown]
	v_pk_fma_f16 v41, v76, v91, v41
	s_wait_dscnt 0x1
	v_pk_fma_f16 v90, v81, v75, v74
	v_pk_fma_f16 v49, v82, v75, v49
	v_and_b32_e32 v74, 0xffff, v79
	v_lshrrev_b32_e32 v75, 16, v79
	v_pk_fma_f16 v45, v81, v77, v45
	v_pk_fma_f16 v47, v81, v89, v47
	;; [unrolled: 1-line block ×5, first 2 shown]
	v_mul_u32_u24_e32 v81, 0x10001, v74
	v_mul_u32_u24_e32 v89, 0x10001, v75
	ds_load_2addr_b64 v[73:76], v43 offset0:64 offset1:96
	v_and_b32_e32 v79, 0xffff, v80
	v_lshrrev_b32_e32 v80, 16, v80
	v_pk_fma_f16 v41, v82, v78, v41
	v_pk_fma_f16 v78, v83, v81, v90
	;; [unrolled: 1-line block ×3, first 2 shown]
	v_mul_u32_u24_e32 v79, 0x10001, v79
	v_mul_u32_u24_e32 v80, 0x10001, v80
	s_wait_dscnt 0x1
	v_and_b32_e32 v81, 0xffff, v85
	v_pk_fma_f16 v45, v83, v89, v45
	v_lshrrev_b32_e32 v82, 16, v85
	v_pk_fma_f16 v47, v83, v79, v47
	v_pk_fma_f16 v40, v83, v80, v40
	v_and_b32_e32 v83, 0xffff, v86
	v_lshrrev_b32_e32 v85, 16, v86
	v_pk_fma_f16 v86, v84, v79, v77
	v_mul_u32_u24_e32 v77, 0x10001, v81
	v_pk_fma_f16 v46, v84, v89, v46
	v_mul_u32_u24_e32 v81, 0x10001, v82
	v_pk_fma_f16 v41, v84, v80, v41
	v_mul_u32_u24_e32 v82, 0x10001, v83
	s_wait_dscnt 0x0
	v_pk_fma_f16 v89, v73, v77, v78
	v_pk_fma_f16 v49, v74, v77, v49
	ds_load_b128 v[77:80], v44 offset:160
	v_mul_u32_u24_e32 v85, 0x10001, v85
	v_pk_fma_f16 v45, v73, v81, v45
	v_pk_fma_f16 v46, v74, v81, v46
	v_lshrrev_b32_e32 v81, 16, v87
	v_and_b32_e32 v83, 0xffff, v88
	v_pk_fma_f16 v47, v73, v82, v47
	v_pk_fma_f16 v40, v73, v85, v40
	v_and_b32_e32 v73, 0xffff, v87
	v_pk_fma_f16 v90, v74, v82, v86
	v_mul_u32_u24_e32 v87, 0x10001, v81
	v_mul_u32_u24_e32 v91, 0x10001, v83
	ds_load_2addr_b64 v[81:84], v43 offset0:128 offset1:160
	v_lshrrev_b32_e32 v86, 16, v88
	v_mul_u32_u24_e32 v73, 0x10001, v73
	v_pk_fma_f16 v41, v74, v85, v41
	v_pk_fma_f16 v45, v75, v87, v45
	;; [unrolled: 1-line block ×3, first 2 shown]
	v_mul_u32_u24_e32 v92, 0x10001, v86
	v_pk_fma_f16 v74, v75, v73, v89
	v_pk_fma_f16 v49, v76, v73, v49
	ds_load_b128 v[85:88], v44 offset:176
	s_wait_dscnt 0x2
	v_and_b32_e32 v73, 0xffff, v77
	v_pk_fma_f16 v47, v75, v91, v47
	v_pk_fma_f16 v40, v75, v92, v40
	v_lshrrev_b32_e32 v75, 16, v77
	v_and_b32_e32 v77, 0xffff, v78
	v_lshrrev_b32_e32 v78, 16, v78
	v_mul_u32_u24_e32 v73, 0x10001, v73
	v_pk_fma_f16 v89, v76, v91, v90
	v_mul_u32_u24_e32 v75, 0x10001, v75
	v_mul_u32_u24_e32 v77, 0x10001, v77
	;; [unrolled: 1-line block ×3, first 2 shown]
	s_wait_dscnt 0x1
	v_pk_fma_f16 v90, v81, v73, v74
	v_pk_fma_f16 v49, v82, v73, v49
	v_and_b32_e32 v73, 0xffff, v79
	v_lshrrev_b32_e32 v74, 16, v79
	v_pk_fma_f16 v41, v76, v92, v41
	v_pk_fma_f16 v45, v81, v75, v45
	;; [unrolled: 1-line block ×6, first 2 shown]
	v_mul_u32_u24_e32 v81, 0x10001, v73
	v_mul_u32_u24_e32 v89, 0x10001, v74
	ds_load_2addr_b64 v[73:76], v43 offset0:192 offset1:224
	v_and_b32_e32 v79, 0xffff, v80
	v_lshrrev_b32_e32 v80, 16, v80
	v_pk_fma_f16 v41, v82, v78, v41
	v_pk_fma_f16 v78, v83, v81, v90
	;; [unrolled: 1-line block ×3, first 2 shown]
	v_mul_u32_u24_e32 v79, 0x10001, v79
	v_mul_u32_u24_e32 v80, 0x10001, v80
	s_wait_dscnt 0x1
	v_and_b32_e32 v81, 0xffff, v85
	v_lshrrev_b32_e32 v82, 16, v85
	v_pk_fma_f16 v45, v83, v89, v45
	v_pk_fma_f16 v47, v83, v79, v47
	;; [unrolled: 1-line block ×4, first 2 shown]
	v_and_b32_e32 v83, 0xffff, v86
	v_lshrrev_b32_e32 v85, 16, v86
	v_pk_fma_f16 v86, v84, v79, v77
	v_mul_u32_u24_e32 v77, 0x10001, v81
	v_mul_u32_u24_e32 v79, 0x10001, v82
	;; [unrolled: 1-line block ×4, first 2 shown]
	v_pk_fma_f16 v41, v84, v80, v41
	s_wait_dscnt 0x0
	v_pk_fma_f16 v89, v73, v77, v78
	v_pk_fma_f16 v90, v73, v79, v45
	;; [unrolled: 1-line block ×4, first 2 shown]
	ds_load_b128 v[77:80], v44 offset:192
	v_pk_fma_f16 v47, v73, v81, v47
	v_pk_fma_f16 v40, v73, v85, v40
	;; [unrolled: 1-line block ×3, first 2 shown]
	v_and_b32_e32 v81, 0xffff, v87
	v_lshrrev_b32_e32 v82, 16, v87
	v_and_b32_e32 v83, 0xffff, v88
	v_add_nc_u32_e32 v45, 0x1800, v36
	v_lshrrev_b32_e32 v86, 16, v88
	v_mul_u32_u24_e32 v87, 0x10001, v81
	v_mul_u32_u24_e32 v88, 0x10001, v82
	v_mul_u32_u24_e32 v91, 0x10001, v83
	ds_load_2addr_b64 v[81:84], v45 offset1:32
	v_mul_u32_u24_e32 v92, 0x10001, v86
	v_pk_fma_f16 v41, v74, v85, v41
	v_pk_fma_f16 v74, v75, v87, v89
	;; [unrolled: 1-line block ×7, first 2 shown]
	ds_load_b128 v[85:88], v44 offset:208
	s_wait_dscnt 0x2
	v_and_b32_e32 v75, 0xffff, v77
	v_lshrrev_b32_e32 v77, 16, v77
	v_and_b32_e32 v90, 0xffff, v78
	v_lshrrev_b32_e32 v78, 16, v78
	v_pk_fma_f16 v73, v76, v91, v73
	v_mul_u32_u24_e32 v75, 0x10001, v75
	v_mul_u32_u24_e32 v77, 0x10001, v77
	;; [unrolled: 1-line block ×4, first 2 shown]
	v_pk_fma_f16 v41, v76, v92, v41
	s_wait_dscnt 0x1
	v_pk_fma_f16 v91, v81, v75, v74
	v_pk_fma_f16 v49, v82, v75, v49
	v_and_b32_e32 v74, 0xffff, v79
	v_lshrrev_b32_e32 v75, 16, v79
	v_pk_fma_f16 v89, v81, v77, v89
	v_pk_fma_f16 v47, v81, v90, v47
	;; [unrolled: 1-line block ×5, first 2 shown]
	v_mul_u32_u24_e32 v81, 0x10001, v74
	v_mul_u32_u24_e32 v90, 0x10001, v75
	ds_load_2addr_b64 v[73:76], v45 offset0:64 offset1:96
	v_and_b32_e32 v79, 0xffff, v80
	v_lshrrev_b32_e32 v80, 16, v80
	v_pk_fma_f16 v41, v82, v78, v41
	v_pk_fma_f16 v78, v83, v81, v91
	;; [unrolled: 1-line block ×3, first 2 shown]
	v_mul_u32_u24_e32 v79, 0x10001, v79
	v_mul_u32_u24_e32 v80, 0x10001, v80
	s_wait_dscnt 0x1
	v_and_b32_e32 v81, 0xffff, v85
	v_pk_fma_f16 v82, v83, v90, v89
	v_pk_fma_f16 v46, v84, v90, v46
	;; [unrolled: 1-line block ×4, first 2 shown]
	v_lshrrev_b32_e32 v83, 16, v85
	v_and_b32_e32 v85, 0xffff, v86
	v_lshrrev_b32_e32 v86, 16, v86
	v_pk_fma_f16 v89, v84, v79, v77
	v_mul_u32_u24_e32 v77, 0x10001, v81
	v_mul_u32_u24_e32 v81, 0x10001, v83
	;; [unrolled: 1-line block ×4, first 2 shown]
	v_pk_fma_f16 v41, v84, v80, v41
	s_wait_dscnt 0x0
	v_pk_fma_f16 v86, v73, v77, v78
	v_pk_fma_f16 v49, v74, v77, v49
	ds_load_b128 v[77:80], v44 offset:224
	v_pk_fma_f16 v90, v73, v81, v82
	v_pk_fma_f16 v46, v74, v81, v46
	v_lshrrev_b32_e32 v81, 16, v87
	v_and_b32_e32 v82, 0xffff, v88
	v_pk_fma_f16 v47, v73, v83, v47
	v_pk_fma_f16 v40, v73, v85, v40
	v_and_b32_e32 v73, 0xffff, v87
	v_pk_fma_f16 v89, v74, v83, v89
	v_lshrrev_b32_e32 v87, 16, v88
	v_mul_u32_u24_e32 v88, 0x10001, v81
	v_mul_u32_u24_e32 v91, 0x10001, v82
	ds_load_2addr_b64 v[81:84], v45 offset0:128 offset1:160
	v_mul_u32_u24_e32 v73, 0x10001, v73
	v_mul_u32_u24_e32 v92, 0x10001, v87
	v_pk_fma_f16 v41, v74, v85, v41
	v_pk_fma_f16 v90, v75, v88, v90
	;; [unrolled: 1-line block ×5, first 2 shown]
	ds_load_b128 v[85:88], v44 offset:240
	s_wait_dscnt 0x2
	v_and_b32_e32 v73, 0xffff, v77
	v_pk_fma_f16 v47, v75, v91, v47
	v_pk_fma_f16 v40, v75, v92, v40
	v_lshrrev_b32_e32 v75, 16, v77
	v_and_b32_e32 v77, 0xffff, v78
	v_lshrrev_b32_e32 v78, 16, v78
	v_mul_u32_u24_e32 v73, 0x10001, v73
	v_pk_fma_f16 v89, v76, v91, v89
	v_mul_u32_u24_e32 v75, 0x10001, v75
	v_mul_u32_u24_e32 v77, 0x10001, v77
	;; [unrolled: 1-line block ×3, first 2 shown]
	s_wait_dscnt 0x1
	v_pk_fma_f16 v91, v81, v73, v74
	v_pk_fma_f16 v49, v82, v73, v49
	v_and_b32_e32 v73, 0xffff, v79
	v_lshrrev_b32_e32 v74, 16, v79
	v_pk_fma_f16 v41, v76, v92, v41
	v_pk_fma_f16 v90, v81, v75, v90
	;; [unrolled: 1-line block ×6, first 2 shown]
	v_and_b32_e32 v79, 0xffff, v80
	v_lshrrev_b32_e32 v80, 16, v80
	v_mul_u32_u24_e32 v81, 0x10001, v73
	v_mul_u32_u24_e32 v89, 0x10001, v74
	ds_load_2addr_b64 v[73:76], v45 offset0:192 offset1:224
	v_mul_u32_u24_e32 v79, 0x10001, v79
	v_mul_u32_u24_e32 v80, 0x10001, v80
	v_pk_fma_f16 v41, v82, v78, v41
	v_pk_fma_f16 v78, v83, v81, v91
	;; [unrolled: 1-line block ×6, first 2 shown]
	s_wait_dscnt 0x1
	v_and_b32_e32 v81, 0xffff, v85
	v_lshrrev_b32_e32 v83, 16, v85
	v_and_b32_e32 v85, 0xffff, v86
	v_lshrrev_b32_e32 v86, 16, v86
	v_pk_fma_f16 v46, v84, v89, v46
	v_pk_fma_f16 v89, v84, v79, v77
	v_mul_u32_u24_e32 v77, 0x10001, v81
	v_mul_u32_u24_e32 v79, 0x10001, v83
	v_mul_u32_u24_e32 v81, 0x10001, v85
	v_mul_u32_u24_e32 v85, 0x10001, v86
	v_pk_fma_f16 v41, v84, v80, v41
	s_wait_dscnt 0x0
	v_pk_fma_f16 v86, v73, v77, v78
	v_pk_fma_f16 v90, v73, v79, v82
	;; [unrolled: 1-line block ×6, first 2 shown]
	ds_load_b128 v[77:80], v44 offset:256
	v_pk_fma_f16 v89, v74, v81, v89
	v_and_b32_e32 v81, 0xffff, v87
	v_lshrrev_b32_e32 v82, 16, v87
	v_and_b32_e32 v83, 0xffff, v88
	v_add_nc_u32_e32 v46, 0x2000, v36
	v_lshrrev_b32_e32 v87, 16, v88
	v_mul_u32_u24_e32 v88, 0x10001, v81
	v_mul_u32_u24_e32 v91, 0x10001, v82
	;; [unrolled: 1-line block ×3, first 2 shown]
	ds_load_2addr_b64 v[81:84], v46 offset1:32
	v_mul_u32_u24_e32 v93, 0x10001, v87
	v_pk_fma_f16 v41, v74, v85, v41
	v_pk_fma_f16 v74, v75, v88, v86
	;; [unrolled: 1-line block ×6, first 2 shown]
	ds_load_b128 v[85:88], v44 offset:272
	v_pk_fma_f16 v73, v76, v91, v73
	s_wait_dscnt 0x2
	v_and_b32_e32 v75, 0xffff, v77
	v_lshrrev_b32_e32 v77, 16, v77
	v_and_b32_e32 v91, 0xffff, v78
	v_lshrrev_b32_e32 v78, 16, v78
	v_pk_fma_f16 v89, v76, v92, v89
	v_mul_u32_u24_e32 v75, 0x10001, v75
	v_mul_u32_u24_e32 v77, 0x10001, v77
	v_mul_u32_u24_e32 v91, 0x10001, v91
	v_mul_u32_u24_e32 v78, 0x10001, v78
	v_pk_fma_f16 v41, v76, v93, v41
	s_wait_dscnt 0x1
	v_pk_fma_f16 v92, v81, v75, v74
	v_pk_fma_f16 v90, v81, v77, v90
	;; [unrolled: 1-line block ×3, first 2 shown]
	v_and_b32_e32 v73, 0xffff, v79
	v_lshrrev_b32_e32 v74, 16, v79
	v_pk_fma_f16 v47, v81, v91, v47
	v_pk_fma_f16 v40, v81, v78, v40
	;; [unrolled: 1-line block ×4, first 2 shown]
	v_and_b32_e32 v81, 0xffff, v80
	v_lshrrev_b32_e32 v80, 16, v80
	v_mul_u32_u24_e32 v89, 0x10001, v73
	v_mul_u32_u24_e32 v91, 0x10001, v74
	ds_load_2addr_b64 v[73:76], v46 offset0:64 offset1:96
	v_mul_u32_u24_e32 v81, 0x10001, v81
	v_mul_u32_u24_e32 v80, 0x10001, v80
	v_pk_fma_f16 v41, v82, v78, v41
	v_pk_fma_f16 v78, v83, v89, v92
	;; [unrolled: 1-line block ×6, first 2 shown]
	s_wait_dscnt 0x1
	v_and_b32_e32 v77, 0xffff, v85
	v_pk_fma_f16 v49, v84, v89, v49
	v_lshrrev_b32_e32 v85, 16, v85
	v_and_b32_e32 v89, 0xffff, v86
	v_lshrrev_b32_e32 v86, 16, v86
	v_mul_u32_u24_e32 v77, 0x10001, v77
	v_pk_fma_f16 v81, v84, v81, v79
	v_mul_u32_u24_e32 v85, 0x10001, v85
	v_mul_u32_u24_e32 v89, 0x10001, v89
	v_mul_u32_u24_e32 v86, 0x10001, v86
	v_pk_fma_f16 v41, v84, v80, v41
	s_wait_dscnt 0x0
	v_pk_fma_f16 v90, v73, v77, v78
	v_pk_fma_f16 v49, v74, v77, v49
	ds_load_b128 v[77:80], v44 offset:288
	v_pk_fma_f16 v91, v73, v85, v82
	v_pk_fma_f16 v47, v73, v89, v47
	;; [unrolled: 1-line block ×4, first 2 shown]
	v_and_b32_e32 v82, 0xffff, v87
	v_lshrrev_b32_e32 v83, 16, v87
	v_and_b32_e32 v84, 0xffff, v88
	v_pk_fma_f16 v89, v74, v89, v81
	v_lshrrev_b32_e32 v85, 16, v88
	v_mul_u32_u24_e32 v87, 0x10001, v82
	v_mul_u32_u24_e32 v88, 0x10001, v83
	;; [unrolled: 1-line block ×3, first 2 shown]
	ds_load_2addr_b64 v[81:84], v46 offset0:128 offset1:160
	v_mul_u32_u24_e32 v93, 0x10001, v85
	v_pk_fma_f16 v41, v74, v86, v41
	v_pk_fma_f16 v74, v75, v87, v90
	;; [unrolled: 1-line block ×7, first 2 shown]
	ds_load_b128 v[85:88], v44 offset:304
	s_wait_dscnt 0x2
	v_and_b32_e32 v75, 0xffff, v77
	v_lshrrev_b32_e32 v77, 16, v77
	v_and_b32_e32 v91, 0xffff, v78
	v_lshrrev_b32_e32 v78, 16, v78
	v_pk_fma_f16 v89, v76, v92, v89
	v_mul_u32_u24_e32 v75, 0x10001, v75
	v_mul_u32_u24_e32 v77, 0x10001, v77
	;; [unrolled: 1-line block ×4, first 2 shown]
	v_pk_fma_f16 v41, v76, v93, v41
	s_wait_dscnt 0x1
	v_pk_fma_f16 v92, v81, v75, v74
	v_pk_fma_f16 v90, v81, v77, v90
	;; [unrolled: 1-line block ×3, first 2 shown]
	v_and_b32_e32 v73, 0xffff, v79
	v_lshrrev_b32_e32 v74, 16, v79
	v_pk_fma_f16 v47, v81, v91, v47
	v_pk_fma_f16 v40, v81, v78, v40
	;; [unrolled: 1-line block ×4, first 2 shown]
	v_and_b32_e32 v81, 0xffff, v80
	v_lshrrev_b32_e32 v80, 16, v80
	v_mul_u32_u24_e32 v89, 0x10001, v73
	v_mul_u32_u24_e32 v91, 0x10001, v74
	ds_load_2addr_b64 v[73:76], v46 offset0:192 offset1:224
	v_mul_u32_u24_e32 v81, 0x10001, v81
	v_mul_u32_u24_e32 v80, 0x10001, v80
	v_pk_fma_f16 v41, v82, v78, v41
	v_pk_fma_f16 v78, v83, v89, v92
	;; [unrolled: 1-line block ×6, first 2 shown]
	s_wait_dscnt 0x1
	v_and_b32_e32 v83, 0xffff, v85
	v_lshrrev_b32_e32 v85, 16, v85
	v_and_b32_e32 v89, 0xffff, v86
	v_lshrrev_b32_e32 v86, 16, v86
	v_pk_fma_f16 v77, v84, v91, v77
	v_pk_fma_f16 v81, v84, v81, v79
	v_mul_u32_u24_e32 v79, 0x10001, v83
	v_mul_u32_u24_e32 v83, 0x10001, v85
	;; [unrolled: 1-line block ×4, first 2 shown]
	v_pk_fma_f16 v41, v84, v80, v41
	s_wait_dscnt 0x0
	v_pk_fma_f16 v89, v73, v79, v78
	v_pk_fma_f16 v90, v73, v83, v82
	;; [unrolled: 1-line block ×6, first 2 shown]
	ds_load_b128 v[77:80], v44 offset:320
	v_pk_fma_f16 v92, v74, v85, v81
	v_and_b32_e32 v81, 0xffff, v87
	v_lshrrev_b32_e32 v82, 16, v87
	v_and_b32_e32 v83, 0xffff, v88
	v_add_nc_u32_e32 v47, 0x2800, v36
	v_lshrrev_b32_e32 v85, 16, v88
	v_mul_u32_u24_e32 v87, 0x10001, v81
	v_mul_u32_u24_e32 v88, 0x10001, v82
	;; [unrolled: 1-line block ×3, first 2 shown]
	ds_load_2addr_b64 v[81:84], v47 offset1:32
	v_mul_u32_u24_e32 v94, 0x10001, v85
	v_pk_fma_f16 v41, v74, v86, v41
	v_pk_fma_f16 v74, v75, v87, v89
	;; [unrolled: 1-line block ×7, first 2 shown]
	ds_load_b128 v[85:88], v44 offset:336
	s_wait_dscnt 0x2
	v_and_b32_e32 v75, 0xffff, v77
	v_lshrrev_b32_e32 v77, 16, v77
	v_and_b32_e32 v91, 0xffff, v78
	v_lshrrev_b32_e32 v78, 16, v78
	v_pk_fma_f16 v92, v76, v93, v92
	v_mul_u32_u24_e32 v75, 0x10001, v75
	v_mul_u32_u24_e32 v77, 0x10001, v77
	v_mul_u32_u24_e32 v91, 0x10001, v91
	v_mul_u32_u24_e32 v78, 0x10001, v78
	v_pk_fma_f16 v41, v76, v94, v41
	s_wait_dscnt 0x1
	v_pk_fma_f16 v93, v81, v75, v74
	v_pk_fma_f16 v89, v81, v77, v89
	v_pk_fma_f16 v77, v82, v77, v73
	v_and_b32_e32 v73, 0xffff, v79
	v_lshrrev_b32_e32 v74, 16, v79
	v_pk_fma_f16 v90, v81, v91, v90
	v_pk_fma_f16 v40, v81, v78, v40
	;; [unrolled: 1-line block ×4, first 2 shown]
	v_and_b32_e32 v81, 0xffff, v80
	v_lshrrev_b32_e32 v80, 16, v80
	v_mul_u32_u24_e32 v91, 0x10001, v73
	v_mul_u32_u24_e32 v92, 0x10001, v74
	ds_load_2addr_b64 v[73:76], v47 offset0:64 offset1:96
	v_mul_u32_u24_e32 v81, 0x10001, v81
	v_mul_u32_u24_e32 v80, 0x10001, v80
	v_pk_fma_f16 v41, v82, v78, v41
	v_pk_fma_f16 v78, v83, v91, v93
	;; [unrolled: 1-line block ×5, first 2 shown]
	s_wait_dscnt 0x1
	v_and_b32_e32 v83, 0xffff, v85
	v_lshrrev_b32_e32 v85, 16, v85
	v_and_b32_e32 v90, 0xffff, v86
	v_lshrrev_b32_e32 v86, 16, v86
	s_wait_alu 0xfffd
	v_add_co_ci_u32_e64 v158, null, 0, v158, vcc_lo
	v_add_co_u32 v161, vcc_lo, v159, v71
	s_wait_alu 0xfffd
	v_add_co_ci_u32_e64 v162, null, 0, v160, vcc_lo
	v_add_co_u32 v159, vcc_lo, s40, v16
	v_pk_fma_f16 v173, v84, v81, v79
	v_mul_u32_u24_e32 v79, 0x10001, v83
	v_mul_u32_u24_e32 v81, 0x10001, v85
	;; [unrolled: 1-line block ×4, first 2 shown]
	s_wait_alu 0xfffd
	v_add_co_ci_u32_e64 v160, null, s41, v17, vcc_lo
	v_add_co_u32 v163, vcc_lo, s40, v18
	s_wait_alu 0xfffd
	v_add_co_ci_u32_e64 v164, null, s41, v19, vcc_lo
	v_add_co_u32 v165, vcc_lo, v159, v71
	v_pk_fma_f16 v49, v84, v91, v49
	v_pk_fma_f16 v77, v84, v92, v77
	;; [unrolled: 1-line block ×3, first 2 shown]
	s_wait_dscnt 0x0
	v_pk_fma_f16 v177, v73, v79, v78
	v_pk_fma_f16 v178, v73, v81, v82
	v_pk_fma_f16 v179, v73, v174, v89
	v_pk_fma_f16 v73, v73, v175, v40
	v_add_nc_u32_e32 v41, 0x3000, v36
	v_add_nc_u32_e32 v40, 0x3800, v36
	s_wait_alu 0xfffd
	v_add_co_ci_u32_e64 v166, null, 0, v160, vcc_lo
	v_add_co_u32 v169, vcc_lo, v163, v71
	s_wait_alu 0xfffd
	v_add_co_ci_u32_e64 v170, null, 0, v164, vcc_lo
	v_pk_fma_f16 v49, v74, v79, v49
	v_pk_fma_f16 v180, v74, v81, v77
	v_lshrrev_b32_e32 v181, 16, v87
	v_lshrrev_b32_e32 v182, 16, v88
	v_and_b32_e32 v183, 0xffff, v87
	v_and_b32_e32 v184, 0xffff, v88
	ds_load_2addr_b64 v[77:80], v47 offset0:128 offset1:160
	ds_load_2addr_b64 v[81:84], v47 offset0:192 offset1:224
	ds_load_b128 v[85:88], v44 offset:352
	ds_load_b128 v[89:92], v44 offset:368
	ds_load_2addr_b64 v[93:96], v41 offset1:32
	ds_load_2addr_b64 v[97:100], v41 offset0:64 offset1:96
	ds_load_b128 v[101:104], v44 offset:384
	ds_load_b128 v[105:108], v44 offset:400
	ds_load_2addr_b64 v[109:112], v41 offset0:128 offset1:160
	ds_load_2addr_b64 v[113:116], v41 offset0:192 offset1:224
	ds_load_b128 v[117:120], v44 offset:416
	ds_load_b128 v[121:124], v44 offset:432
	ds_load_2addr_b64 v[125:128], v40 offset1:32
	ds_load_2addr_b64 v[129:132], v40 offset0:64 offset1:96
	ds_load_b128 v[133:136], v44 offset:448
	ds_load_b128 v[137:140], v44 offset:464
	ds_load_2addr_b64 v[141:144], v40 offset0:128 offset1:160
	ds_load_2addr_b64 v[145:148], v40 offset0:192 offset1:224
	ds_load_b128 v[149:152], v44 offset:480
	ds_load_b128 v[153:156], v44 offset:496
	s_wait_loadcnt_dscnt 0x0
	s_barrier_signal -1
	s_barrier_wait -1
	global_inv scope:SCOPE_SE
	s_clause 0x3
	global_load_b128 v[157:160], v[157:158], off
	global_load_b128 v[161:164], v[161:162], off
	;; [unrolled: 1-line block ×4, first 2 shown]
	v_pk_fma_f16 v173, v74, v174, v173
	v_mul_u32_u24_e32 v174, 0x10001, v183
	v_mul_u32_u24_e32 v181, 0x10001, v181
	;; [unrolled: 1-line block ×4, first 2 shown]
	v_pk_fma_f16 v74, v74, v175, v176
	v_pk_fma_f16 v175, v75, v174, v177
	;; [unrolled: 1-line block ×4, first 2 shown]
	v_and_b32_e32 v174, 0xffff, v85
	v_lshrrev_b32_e32 v85, 16, v85
	v_and_b32_e32 v178, 0xffff, v86
	v_lshrrev_b32_e32 v86, 16, v86
	v_pk_fma_f16 v177, v75, v183, v179
	v_pk_fma_f16 v73, v75, v182, v73
	;; [unrolled: 1-line block ×3, first 2 shown]
	v_mul_u32_u24_e32 v174, 0x10001, v174
	v_mul_u32_u24_e32 v85, 0x10001, v85
	;; [unrolled: 1-line block ×4, first 2 shown]
	v_pk_fma_f16 v173, v76, v183, v173
	v_pk_fma_f16 v74, v76, v182, v74
	;; [unrolled: 1-line block ×7, first 2 shown]
	v_and_b32_e32 v77, 0xffff, v87
	v_lshrrev_b32_e32 v85, 16, v87
	v_and_b32_e32 v87, 0xffff, v88
	v_lshrrev_b32_e32 v88, 16, v88
	v_pk_fma_f16 v49, v78, v174, v49
	v_mul_u32_u24_e32 v77, 0x10001, v77
	v_mul_u32_u24_e32 v85, 0x10001, v85
	;; [unrolled: 1-line block ×4, first 2 shown]
	v_pk_fma_f16 v173, v78, v178, v173
	v_pk_fma_f16 v74, v78, v86, v74
	;; [unrolled: 1-line block ×7, first 2 shown]
	v_and_b32_e32 v77, 0xffff, v89
	v_lshrrev_b32_e32 v79, 16, v89
	v_pk_fma_f16 v75, v80, v85, v75
	v_and_b32_e32 v85, 0xffff, v90
	v_lshrrev_b32_e32 v89, 16, v90
	v_mul_u32_u24_e32 v77, 0x10001, v77
	v_mul_u32_u24_e32 v79, 0x10001, v79
	v_pk_fma_f16 v87, v80, v87, v173
	v_mul_u32_u24_e32 v85, 0x10001, v85
	v_mul_u32_u24_e32 v89, 0x10001, v89
	v_pk_fma_f16 v76, v81, v77, v76
	v_pk_fma_f16 v78, v81, v79, v78
	;; [unrolled: 1-line block ×4, first 2 shown]
	v_and_b32_e32 v77, 0xffff, v91
	v_lshrrev_b32_e32 v79, 16, v91
	v_pk_fma_f16 v74, v80, v88, v74
	v_pk_fma_f16 v80, v81, v85, v86
	;; [unrolled: 1-line block ×3, first 2 shown]
	v_mul_u32_u24_e32 v77, 0x10001, v77
	v_mul_u32_u24_e32 v79, 0x10001, v79
	v_and_b32_e32 v81, 0xffff, v92
	v_lshrrev_b32_e32 v86, 16, v92
	v_pk_fma_f16 v85, v82, v85, v87
	v_pk_fma_f16 v76, v83, v77, v76
	;; [unrolled: 1-line block ×5, first 2 shown]
	v_and_b32_e32 v77, 0xffff, v101
	v_lshrrev_b32_e32 v79, 16, v101
	v_mul_u32_u24_e32 v81, 0x10001, v81
	v_mul_u32_u24_e32 v86, 0x10001, v86
	v_pk_fma_f16 v74, v82, v89, v74
	v_mul_u32_u24_e32 v77, 0x10001, v77
	v_mul_u32_u24_e32 v79, 0x10001, v79
	v_pk_fma_f16 v80, v83, v81, v80
	v_pk_fma_f16 v73, v83, v86, v73
	v_and_b32_e32 v82, 0xffff, v102
	v_pk_fma_f16 v76, v93, v77, v76
	v_pk_fma_f16 v78, v93, v79, v78
	;; [unrolled: 1-line block ×4, first 2 shown]
	v_and_b32_e32 v77, 0xffff, v103
	v_lshrrev_b32_e32 v79, 16, v103
	v_lshrrev_b32_e32 v83, 16, v102
	v_pk_fma_f16 v81, v84, v81, v85
	v_mul_u32_u24_e32 v82, 0x10001, v82
	v_mul_u32_u24_e32 v77, 0x10001, v77
	;; [unrolled: 1-line block ×4, first 2 shown]
	v_pk_fma_f16 v74, v84, v86, v74
	v_and_b32_e32 v84, 0xffff, v104
	v_pk_fma_f16 v76, v95, v77, v76
	v_pk_fma_f16 v78, v95, v79, v78
	;; [unrolled: 1-line block ×4, first 2 shown]
	v_and_b32_e32 v77, 0xffff, v105
	v_lshrrev_b32_e32 v79, 16, v105
	v_lshrrev_b32_e32 v85, 16, v104
	v_pk_fma_f16 v80, v93, v82, v80
	v_pk_fma_f16 v73, v93, v83, v73
	v_mul_u32_u24_e32 v77, 0x10001, v77
	v_mul_u32_u24_e32 v79, 0x10001, v79
	v_pk_fma_f16 v81, v94, v82, v81
	v_mul_u32_u24_e32 v82, 0x10001, v84
	v_mul_u32_u24_e32 v84, 0x10001, v85
	v_pk_fma_f16 v76, v97, v77, v76
	v_pk_fma_f16 v78, v97, v79, v78
	;; [unrolled: 1-line block ×4, first 2 shown]
	v_and_b32_e32 v77, 0xffff, v107
	v_lshrrev_b32_e32 v79, 16, v107
	v_pk_fma_f16 v74, v94, v83, v74
	v_and_b32_e32 v83, 0xffff, v106
	v_lshrrev_b32_e32 v85, 16, v106
	v_mul_u32_u24_e32 v77, 0x10001, v77
	v_mul_u32_u24_e32 v79, 0x10001, v79
	v_pk_fma_f16 v80, v95, v82, v80
	v_pk_fma_f16 v73, v95, v84, v73
	;; [unrolled: 1-line block ×7, first 2 shown]
	v_and_b32_e32 v77, 0xffff, v117
	v_lshrrev_b32_e32 v79, 16, v117
	v_mul_u32_u24_e32 v82, 0x10001, v83
	v_mul_u32_u24_e32 v83, 0x10001, v85
	v_pk_fma_f16 v74, v96, v84, v74
	v_mul_u32_u24_e32 v77, 0x10001, v77
	v_mul_u32_u24_e32 v79, 0x10001, v79
	v_and_b32_e32 v84, 0xffff, v108
	v_lshrrev_b32_e32 v85, 16, v108
	v_pk_fma_f16 v80, v97, v82, v80
	v_pk_fma_f16 v76, v109, v77, v76
	;; [unrolled: 1-line block ×5, first 2 shown]
	v_and_b32_e32 v77, 0xffff, v119
	v_lshrrev_b32_e32 v79, 16, v119
	v_pk_fma_f16 v73, v97, v83, v73
	v_pk_fma_f16 v81, v98, v82, v81
	v_mul_u32_u24_e32 v82, 0x10001, v84
	v_mul_u32_u24_e32 v77, 0x10001, v77
	v_mul_u32_u24_e32 v79, 0x10001, v79
	v_mul_u32_u24_e32 v84, 0x10001, v85
	v_pk_fma_f16 v74, v98, v83, v74
	v_and_b32_e32 v83, 0xffff, v118
	v_pk_fma_f16 v76, v111, v77, v76
	v_pk_fma_f16 v78, v111, v79, v78
	;; [unrolled: 1-line block ×4, first 2 shown]
	v_and_b32_e32 v77, 0xffff, v121
	v_lshrrev_b32_e32 v79, 16, v121
	v_lshrrev_b32_e32 v85, 16, v118
	v_pk_fma_f16 v80, v99, v82, v80
	v_pk_fma_f16 v73, v99, v84, v73
	v_mul_u32_u24_e32 v77, 0x10001, v77
	v_mul_u32_u24_e32 v79, 0x10001, v79
	v_pk_fma_f16 v81, v100, v82, v81
	v_mul_u32_u24_e32 v82, 0x10001, v83
	v_mul_u32_u24_e32 v83, 0x10001, v85
	v_pk_fma_f16 v76, v113, v77, v76
	v_pk_fma_f16 v78, v113, v79, v78
	;; [unrolled: 1-line block ×4, first 2 shown]
	v_and_b32_e32 v77, 0xffff, v123
	v_lshrrev_b32_e32 v79, 16, v123
	v_pk_fma_f16 v74, v100, v84, v74
	v_and_b32_e32 v84, 0xffff, v120
	v_lshrrev_b32_e32 v85, 16, v120
	v_mul_u32_u24_e32 v77, 0x10001, v77
	v_mul_u32_u24_e32 v79, 0x10001, v79
	v_pk_fma_f16 v80, v109, v82, v80
	v_pk_fma_f16 v73, v109, v83, v73
	;; [unrolled: 1-line block ×7, first 2 shown]
	v_and_b32_e32 v77, 0xffff, v133
	v_lshrrev_b32_e32 v79, 16, v133
	v_mul_u32_u24_e32 v82, 0x10001, v84
	v_mul_u32_u24_e32 v84, 0x10001, v85
	v_pk_fma_f16 v74, v110, v83, v74
	v_mul_u32_u24_e32 v77, 0x10001, v77
	v_mul_u32_u24_e32 v79, 0x10001, v79
	v_and_b32_e32 v83, 0xffff, v122
	v_lshrrev_b32_e32 v85, 16, v122
	v_pk_fma_f16 v80, v111, v82, v80
	v_pk_fma_f16 v76, v125, v77, v76
	;; [unrolled: 1-line block ×5, first 2 shown]
	v_and_b32_e32 v77, 0xffff, v135
	v_lshrrev_b32_e32 v79, 16, v135
	v_pk_fma_f16 v73, v111, v84, v73
	v_pk_fma_f16 v81, v112, v82, v81
	v_mul_u32_u24_e32 v82, 0x10001, v83
	v_mul_u32_u24_e32 v77, 0x10001, v77
	;; [unrolled: 1-line block ×4, first 2 shown]
	v_pk_fma_f16 v74, v112, v84, v74
	v_and_b32_e32 v84, 0xffff, v124
	v_pk_fma_f16 v76, v127, v77, v76
	v_pk_fma_f16 v78, v127, v79, v78
	;; [unrolled: 1-line block ×4, first 2 shown]
	v_and_b32_e32 v77, 0xffff, v137
	v_lshrrev_b32_e32 v79, 16, v137
	v_lshrrev_b32_e32 v85, 16, v124
	v_pk_fma_f16 v80, v113, v82, v80
	v_pk_fma_f16 v73, v113, v83, v73
	v_mul_u32_u24_e32 v77, 0x10001, v77
	v_mul_u32_u24_e32 v79, 0x10001, v79
	v_pk_fma_f16 v81, v114, v82, v81
	v_mul_u32_u24_e32 v82, 0x10001, v84
	v_mul_u32_u24_e32 v84, 0x10001, v85
	v_pk_fma_f16 v74, v114, v83, v74
	v_and_b32_e32 v83, 0xffff, v134
	v_lshrrev_b32_e32 v85, 16, v134
	v_pk_fma_f16 v76, v129, v77, v76
	v_pk_fma_f16 v78, v129, v79, v78
	v_pk_fma_f16 v49, v130, v77, v49
	v_pk_fma_f16 v75, v130, v79, v75
	v_and_b32_e32 v77, 0xffff, v139
	v_lshrrev_b32_e32 v79, 16, v139
	v_pk_fma_f16 v80, v115, v82, v80
	v_pk_fma_f16 v73, v115, v84, v73
	v_pk_fma_f16 v81, v116, v82, v81
	v_mul_u32_u24_e32 v82, 0x10001, v83
	v_mul_u32_u24_e32 v83, 0x10001, v85
	v_pk_fma_f16 v74, v116, v84, v74
	v_and_b32_e32 v84, 0xffff, v136
	v_lshrrev_b32_e32 v85, 16, v136
	v_mul_u32_u24_e32 v77, 0x10001, v77
	v_mul_u32_u24_e32 v79, 0x10001, v79
	v_pk_fma_f16 v80, v125, v82, v80
	v_pk_fma_f16 v73, v125, v83, v73
	v_pk_fma_f16 v81, v126, v82, v81
	v_mul_u32_u24_e32 v82, 0x10001, v84
	v_mul_u32_u24_e32 v84, 0x10001, v85
	v_pk_fma_f16 v74, v126, v83, v74
	v_and_b32_e32 v83, 0xffff, v138
	v_lshrrev_b32_e32 v85, 16, v138
	v_pk_fma_f16 v76, v131, v77, v76
	v_pk_fma_f16 v78, v131, v79, v78
	v_pk_fma_f16 v49, v132, v77, v49
	v_pk_fma_f16 v75, v132, v79, v75
	v_and_b32_e32 v77, 0xffff, v149
	v_lshrrev_b32_e32 v79, 16, v149
	v_pk_fma_f16 v80, v127, v82, v80
	v_pk_fma_f16 v73, v127, v84, v73
	v_pk_fma_f16 v81, v128, v82, v81
	v_mul_u32_u24_e32 v82, 0x10001, v83
	v_mul_u32_u24_e32 v83, 0x10001, v85
	v_pk_fma_f16 v74, v128, v84, v74
	v_and_b32_e32 v84, 0xffff, v140
	v_lshrrev_b32_e32 v85, 16, v140
	v_mul_u32_u24_e32 v77, 0x10001, v77
	v_mul_u32_u24_e32 v79, 0x10001, v79
	v_pk_fma_f16 v80, v129, v82, v80
	v_pk_fma_f16 v73, v129, v83, v73
	;; [unrolled: 24-line block ×3, first 2 shown]
	v_pk_fma_f16 v81, v142, v82, v81
	v_mul_u32_u24_e32 v82, 0x10001, v84
	v_mul_u32_u24_e32 v84, 0x10001, v85
	v_pk_fma_f16 v74, v142, v83, v74
	v_pk_fma_f16 v76, v143, v77, v76
	;; [unrolled: 1-line block ×5, first 2 shown]
	v_and_b32_e32 v77, 0xffff, v153
	v_lshrrev_b32_e32 v79, 16, v153
	v_and_b32_e32 v83, 0xffff, v154
	v_lshrrev_b32_e32 v85, 16, v154
	v_pk_fma_f16 v80, v143, v82, v80
	v_pk_fma_f16 v73, v143, v84, v73
	v_pk_fma_f16 v81, v144, v82, v81
	v_mul_u32_u24_e32 v77, 0x10001, v77
	v_mul_u32_u24_e32 v79, 0x10001, v79
	;; [unrolled: 1-line block ×4, first 2 shown]
	v_pk_fma_f16 v84, v144, v84, v74
	v_pk_fma_f16 v85, v145, v77, v76
	;; [unrolled: 1-line block ×3, first 2 shown]
	s_wait_loadcnt 0x3
	ds_store_b128 v64, v[157:160]
	s_wait_loadcnt 0x2
	ds_store_b128 v67, v[161:164]
	;; [unrolled: 2-line block ×4, first 2 shown]
	v_pk_fma_f16 v88, v145, v83, v73
	s_wait_dscnt 0x0
	s_barrier_signal -1
	s_barrier_wait -1
	global_inv scope:SCOPE_SE
	ds_load_b128 v[73:76], v44 offset:512
	v_pk_fma_f16 v86, v145, v79, v78
	v_pk_fma_f16 v87, v145, v82, v80
	;; [unrolled: 1-line block ×3, first 2 shown]
	v_and_b32_e32 v77, 0xffff, v155
	v_lshrrev_b32_e32 v78, 16, v155
	v_and_b32_e32 v79, 0xffff, v156
	v_lshrrev_b32_e32 v80, 16, v156
	v_pk_fma_f16 v81, v146, v82, v81
	v_pk_fma_f16 v90, v146, v83, v84
	v_mul_u32_u24_e32 v82, 0x10001, v77
	v_mul_u32_u24_e32 v83, 0x10001, v78
	;; [unrolled: 1-line block ×4, first 2 shown]
	ds_load_2addr_b64 v[77:80], v36 offset1:32
	v_pk_fma_f16 v93, v147, v82, v85
	v_pk_fma_f16 v94, v147, v83, v86
	;; [unrolled: 1-line block ×6, first 2 shown]
	ds_load_b128 v[81:84], v44 offset:528
	s_wait_dscnt 0x2
	v_and_b32_e32 v85, 0xffff, v73
	v_lshrrev_b32_e32 v73, 16, v73
	v_and_b32_e32 v86, 0xffff, v74
	v_lshrrev_b32_e32 v74, 16, v74
	v_pk_fma_f16 v96, v147, v91, v88
	v_mul_u32_u24_e32 v100, 0x10001, v85
	v_mul_u32_u24_e32 v73, 0x10001, v73
	;; [unrolled: 1-line block ×4, first 2 shown]
	v_lshrrev_b32_e32 v74, 16, v75
	v_pk_fma_f16 v99, v148, v91, v90
	ds_load_b128 v[85:88], v44 offset:544
	ds_load_b128 v[89:92], v44 offset:560
	s_wait_dscnt 0x3
	v_pk_fma_f16 v93, v77, v100, v93
	v_pk_fma_f16 v94, v77, v73, v94
	;; [unrolled: 1-line block ×5, first 2 shown]
	v_and_b32_e32 v73, 0xffff, v75
	v_pk_fma_f16 v49, v78, v100, v49
	v_pk_fma_f16 v97, v78, v101, v98
	v_and_b32_e32 v98, 0xffff, v76
	v_lshrrev_b32_e32 v100, 16, v76
	v_mul_u32_u24_e32 v101, 0x10001, v73
	v_mul_u32_u24_e32 v103, 0x10001, v74
	ds_load_2addr_b64 v[73:76], v36 offset0:64 offset1:96
	v_mul_u32_u24_e32 v98, 0x10001, v98
	v_mul_u32_u24_e32 v100, 0x10001, v100
	v_pk_fma_f16 v78, v78, v102, v99
	v_pk_fma_f16 v93, v79, v101, v93
	;; [unrolled: 1-line block ×6, first 2 shown]
	s_wait_dscnt 0x3
	v_and_b32_e32 v96, 0xffff, v81
	v_lshrrev_b32_e32 v81, 16, v81
	v_and_b32_e32 v99, 0xffff, v82
	v_lshrrev_b32_e32 v82, 16, v82
	v_pk_fma_f16 v97, v80, v98, v97
	v_mul_u32_u24_e32 v96, 0x10001, v96
	v_mul_u32_u24_e32 v81, 0x10001, v81
	;; [unrolled: 1-line block ×4, first 2 shown]
	v_pk_fma_f16 v49, v80, v101, v49
	v_pk_fma_f16 v99, v80, v100, v78
	s_wait_dscnt 0x0
	v_pk_fma_f16 v93, v73, v96, v93
	v_pk_fma_f16 v94, v73, v81, v94
	;; [unrolled: 1-line block ×4, first 2 shown]
	v_and_b32_e32 v77, 0xffff, v83
	v_lshrrev_b32_e32 v78, 16, v83
	v_pk_fma_f16 v49, v74, v96, v49
	v_pk_fma_f16 v81, v74, v81, v79
	;; [unrolled: 1-line block ×3, first 2 shown]
	v_and_b32_e32 v96, 0xffff, v84
	v_lshrrev_b32_e32 v84, 16, v84
	v_mul_u32_u24_e32 v97, 0x10001, v77
	v_mul_u32_u24_e32 v98, 0x10001, v78
	ds_load_2addr_b64 v[77:80], v36 offset0:128 offset1:160
	v_mul_u32_u24_e32 v96, 0x10001, v96
	v_mul_u32_u24_e32 v84, 0x10001, v84
	v_pk_fma_f16 v74, v74, v82, v99
	v_pk_fma_f16 v82, v75, v97, v93
	;; [unrolled: 1-line block ×6, first 2 shown]
	v_and_b32_e32 v81, 0xffff, v85
	v_lshrrev_b32_e32 v85, 16, v85
	v_and_b32_e32 v95, 0xffff, v86
	v_lshrrev_b32_e32 v86, 16, v86
	v_pk_fma_f16 v49, v76, v97, v49
	v_mul_u32_u24_e32 v81, 0x10001, v81
	v_mul_u32_u24_e32 v85, 0x10001, v85
	;; [unrolled: 1-line block ×4, first 2 shown]
	v_pk_fma_f16 v83, v76, v96, v83
	v_pk_fma_f16 v84, v76, v84, v74
	s_wait_dscnt 0x0
	v_pk_fma_f16 v82, v77, v81, v82
	v_pk_fma_f16 v93, v77, v85, v93
	;; [unrolled: 1-line block ×4, first 2 shown]
	v_and_b32_e32 v73, 0xffff, v87
	v_lshrrev_b32_e32 v74, 16, v87
	v_pk_fma_f16 v49, v78, v81, v49
	v_pk_fma_f16 v81, v78, v85, v75
	;; [unrolled: 1-line block ×3, first 2 shown]
	v_and_b32_e32 v85, 0xffff, v88
	v_lshrrev_b32_e32 v87, 16, v88
	v_mul_u32_u24_e32 v88, 0x10001, v73
	v_mul_u32_u24_e32 v95, 0x10001, v74
	ds_load_2addr_b64 v[73:76], v36 offset0:192 offset1:224
	v_mul_u32_u24_e32 v85, 0x10001, v85
	v_mul_u32_u24_e32 v87, 0x10001, v87
	v_pk_fma_f16 v78, v78, v86, v84
	v_pk_fma_f16 v82, v79, v88, v82
	;; [unrolled: 1-line block ×6, first 2 shown]
	v_and_b32_e32 v79, 0xffff, v89
	v_lshrrev_b32_e32 v88, 16, v89
	v_and_b32_e32 v89, 0xffff, v90
	v_lshrrev_b32_e32 v90, 16, v90
	v_pk_fma_f16 v83, v80, v85, v83
	v_mul_u32_u24_e32 v79, 0x10001, v79
	v_mul_u32_u24_e32 v85, 0x10001, v88
	v_mul_u32_u24_e32 v88, 0x10001, v89
	v_mul_u32_u24_e32 v89, 0x10001, v90
	v_pk_fma_f16 v81, v80, v95, v81
	v_pk_fma_f16 v87, v80, v87, v78
	s_wait_dscnt 0x0
	v_pk_fma_f16 v90, v73, v79, v82
	v_pk_fma_f16 v93, v73, v85, v84
	;; [unrolled: 1-line block ×5, first 2 shown]
	ds_load_b128 v[77:80], v44 offset:576
	v_pk_fma_f16 v85, v74, v85, v81
	v_and_b32_e32 v81, 0xffff, v91
	v_lshrrev_b32_e32 v82, 16, v91
	v_and_b32_e32 v84, 0xffff, v92
	v_pk_fma_f16 v91, v74, v88, v83
	v_lshrrev_b32_e32 v88, 16, v92
	v_mul_u32_u24_e32 v92, 0x10001, v81
	v_mul_u32_u24_e32 v94, 0x10001, v82
	;; [unrolled: 1-line block ×3, first 2 shown]
	ds_load_2addr_b64 v[81:84], v42 offset1:32
	v_mul_u32_u24_e32 v96, 0x10001, v88
	v_pk_fma_f16 v74, v74, v89, v87
	v_pk_fma_f16 v89, v75, v92, v90
	;; [unrolled: 1-line block ×7, first 2 shown]
	ds_load_b128 v[85:88], v44 offset:592
	s_wait_dscnt 0x2
	v_and_b32_e32 v92, 0xffff, v77
	v_lshrrev_b32_e32 v77, 16, v77
	v_and_b32_e32 v94, 0xffff, v78
	v_lshrrev_b32_e32 v78, 16, v78
	v_pk_fma_f16 v91, v76, v95, v91
	v_mul_u32_u24_e32 v92, 0x10001, v92
	v_mul_u32_u24_e32 v77, 0x10001, v77
	;; [unrolled: 1-line block ×4, first 2 shown]
	v_pk_fma_f16 v95, v76, v96, v74
	s_wait_dscnt 0x1
	v_pk_fma_f16 v89, v81, v92, v89
	v_pk_fma_f16 v90, v81, v77, v90
	;; [unrolled: 1-line block ×4, first 2 shown]
	v_and_b32_e32 v73, 0xffff, v79
	v_lshrrev_b32_e32 v74, 16, v79
	v_pk_fma_f16 v49, v82, v92, v49
	v_pk_fma_f16 v77, v82, v77, v75
	v_pk_fma_f16 v79, v82, v94, v91
	v_and_b32_e32 v91, 0xffff, v80
	v_lshrrev_b32_e32 v80, 16, v80
	v_mul_u32_u24_e32 v92, 0x10001, v73
	v_mul_u32_u24_e32 v94, 0x10001, v74
	ds_load_2addr_b64 v[73:76], v42 offset0:64 offset1:96
	v_mul_u32_u24_e32 v91, 0x10001, v91
	v_mul_u32_u24_e32 v80, 0x10001, v80
	v_pk_fma_f16 v78, v82, v78, v95
	v_pk_fma_f16 v82, v83, v92, v89
	;; [unrolled: 1-line block ×6, first 2 shown]
	s_wait_dscnt 0x1
	v_and_b32_e32 v77, 0xffff, v85
	v_pk_fma_f16 v49, v84, v92, v49
	v_lshrrev_b32_e32 v85, 16, v85
	v_and_b32_e32 v92, 0xffff, v86
	v_lshrrev_b32_e32 v86, 16, v86
	v_mul_u32_u24_e32 v77, 0x10001, v77
	v_pk_fma_f16 v91, v84, v91, v79
	v_mul_u32_u24_e32 v85, 0x10001, v85
	v_mul_u32_u24_e32 v92, 0x10001, v92
	;; [unrolled: 1-line block ×3, first 2 shown]
	v_pk_fma_f16 v93, v84, v80, v78
	s_wait_dscnt 0x0
	v_pk_fma_f16 v94, v73, v77, v82
	v_pk_fma_f16 v49, v74, v77, v49
	ds_load_b128 v[77:80], v44 offset:608
	v_pk_fma_f16 v89, v73, v85, v89
	v_pk_fma_f16 v90, v73, v92, v90
	;; [unrolled: 1-line block ×4, first 2 shown]
	v_and_b32_e32 v81, 0xffff, v87
	v_lshrrev_b32_e32 v82, 16, v87
	v_and_b32_e32 v83, 0xffff, v88
	v_pk_fma_f16 v91, v74, v92, v91
	v_lshrrev_b32_e32 v87, 16, v88
	v_mul_u32_u24_e32 v88, 0x10001, v81
	v_mul_u32_u24_e32 v92, 0x10001, v82
	;; [unrolled: 1-line block ×3, first 2 shown]
	ds_load_2addr_b64 v[81:84], v42 offset0:128 offset1:160
	v_mul_u32_u24_e32 v96, 0x10001, v87
	v_pk_fma_f16 v74, v74, v86, v93
	v_pk_fma_f16 v93, v75, v88, v94
	;; [unrolled: 1-line block ×7, first 2 shown]
	ds_load_b128 v[85:88], v44 offset:624
	s_wait_dscnt 0x2
	v_and_b32_e32 v92, 0xffff, v77
	v_lshrrev_b32_e32 v77, 16, v77
	v_and_b32_e32 v94, 0xffff, v78
	v_lshrrev_b32_e32 v78, 16, v78
	v_pk_fma_f16 v91, v76, v95, v91
	v_mul_u32_u24_e32 v92, 0x10001, v92
	v_mul_u32_u24_e32 v77, 0x10001, v77
	;; [unrolled: 1-line block ×4, first 2 shown]
	v_pk_fma_f16 v95, v76, v96, v74
	s_wait_dscnt 0x1
	v_pk_fma_f16 v93, v81, v92, v93
	v_pk_fma_f16 v89, v81, v77, v89
	;; [unrolled: 1-line block ×4, first 2 shown]
	v_and_b32_e32 v73, 0xffff, v79
	v_lshrrev_b32_e32 v74, 16, v79
	v_pk_fma_f16 v49, v82, v92, v49
	v_pk_fma_f16 v77, v82, v77, v75
	;; [unrolled: 1-line block ×3, first 2 shown]
	v_and_b32_e32 v91, 0xffff, v80
	v_lshrrev_b32_e32 v80, 16, v80
	v_mul_u32_u24_e32 v92, 0x10001, v73
	v_mul_u32_u24_e32 v94, 0x10001, v74
	ds_load_2addr_b64 v[73:76], v42 offset0:192 offset1:224
	v_mul_u32_u24_e32 v42, 0x10001, v91
	v_mul_u32_u24_e32 v80, 0x10001, v80
	v_pk_fma_f16 v78, v82, v78, v95
	v_pk_fma_f16 v82, v83, v92, v93
	;; [unrolled: 1-line block ×6, first 2 shown]
	s_wait_dscnt 0x1
	v_and_b32_e32 v77, 0xffff, v85
	v_pk_fma_f16 v49, v84, v92, v49
	v_lshrrev_b32_e32 v85, 16, v85
	v_and_b32_e32 v91, 0xffff, v86
	v_lshrrev_b32_e32 v86, 16, v86
	v_mul_u32_u24_e32 v77, 0x10001, v77
	v_pk_fma_f16 v42, v84, v42, v79
	v_mul_u32_u24_e32 v85, 0x10001, v85
	v_mul_u32_u24_e32 v91, 0x10001, v91
	;; [unrolled: 1-line block ×3, first 2 shown]
	v_pk_fma_f16 v92, v84, v80, v78
	s_wait_dscnt 0x0
	v_pk_fma_f16 v93, v73, v77, v82
	v_pk_fma_f16 v49, v74, v77, v49
	ds_load_b128 v[77:80], v44 offset:640
	v_pk_fma_f16 v89, v73, v85, v89
	v_pk_fma_f16 v90, v73, v91, v90
	;; [unrolled: 1-line block ×4, first 2 shown]
	v_and_b32_e32 v81, 0xffff, v87
	v_lshrrev_b32_e32 v82, 16, v87
	v_and_b32_e32 v83, 0xffff, v88
	v_pk_fma_f16 v42, v74, v91, v42
	v_lshrrev_b32_e32 v87, 16, v88
	v_mul_u32_u24_e32 v88, 0x10001, v81
	v_mul_u32_u24_e32 v91, 0x10001, v82
	;; [unrolled: 1-line block ×3, first 2 shown]
	ds_load_2addr_b64 v[81:84], v43 offset1:32
	v_mul_u32_u24_e32 v95, 0x10001, v87
	v_pk_fma_f16 v74, v74, v86, v92
	v_pk_fma_f16 v92, v75, v88, v93
	;; [unrolled: 1-line block ×7, first 2 shown]
	ds_load_b128 v[85:88], v44 offset:656
	s_wait_dscnt 0x2
	v_and_b32_e32 v91, 0xffff, v77
	v_lshrrev_b32_e32 v77, 16, v77
	v_and_b32_e32 v93, 0xffff, v78
	v_lshrrev_b32_e32 v78, 16, v78
	v_pk_fma_f16 v42, v76, v94, v42
	v_mul_u32_u24_e32 v91, 0x10001, v91
	v_mul_u32_u24_e32 v77, 0x10001, v77
	;; [unrolled: 1-line block ×4, first 2 shown]
	v_pk_fma_f16 v94, v76, v95, v74
	s_wait_dscnt 0x1
	v_pk_fma_f16 v92, v81, v91, v92
	v_pk_fma_f16 v89, v81, v77, v89
	v_pk_fma_f16 v90, v81, v93, v90
	v_pk_fma_f16 v81, v81, v78, v73
	v_and_b32_e32 v73, 0xffff, v79
	v_lshrrev_b32_e32 v74, 16, v79
	v_pk_fma_f16 v49, v82, v91, v49
	v_pk_fma_f16 v77, v82, v77, v75
	;; [unrolled: 1-line block ×3, first 2 shown]
	v_and_b32_e32 v79, 0xffff, v80
	v_lshrrev_b32_e32 v80, 16, v80
	v_mul_u32_u24_e32 v91, 0x10001, v73
	v_mul_u32_u24_e32 v93, 0x10001, v74
	ds_load_2addr_b64 v[73:76], v43 offset0:64 offset1:96
	v_mul_u32_u24_e32 v79, 0x10001, v79
	v_mul_u32_u24_e32 v80, 0x10001, v80
	v_pk_fma_f16 v78, v82, v78, v94
	v_pk_fma_f16 v82, v83, v91, v92
	;; [unrolled: 1-line block ×6, first 2 shown]
	s_wait_dscnt 0x1
	v_and_b32_e32 v77, 0xffff, v85
	v_pk_fma_f16 v49, v84, v91, v49
	v_lshrrev_b32_e32 v85, 16, v85
	v_and_b32_e32 v91, 0xffff, v86
	v_lshrrev_b32_e32 v86, 16, v86
	v_mul_u32_u24_e32 v77, 0x10001, v77
	v_pk_fma_f16 v42, v84, v79, v42
	v_mul_u32_u24_e32 v85, 0x10001, v85
	v_mul_u32_u24_e32 v91, 0x10001, v91
	;; [unrolled: 1-line block ×3, first 2 shown]
	v_pk_fma_f16 v92, v84, v80, v78
	s_wait_dscnt 0x0
	v_pk_fma_f16 v93, v73, v77, v82
	v_pk_fma_f16 v49, v74, v77, v49
	ds_load_b128 v[77:80], v44 offset:672
	v_pk_fma_f16 v89, v73, v85, v89
	v_pk_fma_f16 v90, v73, v91, v90
	;; [unrolled: 1-line block ×4, first 2 shown]
	v_and_b32_e32 v81, 0xffff, v87
	v_lshrrev_b32_e32 v82, 16, v87
	v_and_b32_e32 v83, 0xffff, v88
	v_pk_fma_f16 v42, v74, v91, v42
	v_lshrrev_b32_e32 v87, 16, v88
	v_mul_u32_u24_e32 v88, 0x10001, v81
	v_mul_u32_u24_e32 v91, 0x10001, v82
	;; [unrolled: 1-line block ×3, first 2 shown]
	ds_load_2addr_b64 v[81:84], v43 offset0:128 offset1:160
	v_mul_u32_u24_e32 v95, 0x10001, v87
	v_pk_fma_f16 v74, v74, v86, v92
	v_pk_fma_f16 v92, v75, v88, v93
	;; [unrolled: 1-line block ×7, first 2 shown]
	ds_load_b128 v[85:88], v44 offset:688
	s_wait_dscnt 0x2
	v_and_b32_e32 v91, 0xffff, v77
	v_lshrrev_b32_e32 v77, 16, v77
	v_and_b32_e32 v93, 0xffff, v78
	v_lshrrev_b32_e32 v78, 16, v78
	v_pk_fma_f16 v42, v76, v94, v42
	v_mul_u32_u24_e32 v91, 0x10001, v91
	v_mul_u32_u24_e32 v77, 0x10001, v77
	;; [unrolled: 1-line block ×4, first 2 shown]
	v_pk_fma_f16 v94, v76, v95, v74
	s_wait_dscnt 0x1
	v_pk_fma_f16 v92, v81, v91, v92
	v_pk_fma_f16 v89, v81, v77, v89
	;; [unrolled: 1-line block ×4, first 2 shown]
	v_and_b32_e32 v73, 0xffff, v79
	v_lshrrev_b32_e32 v74, 16, v79
	v_pk_fma_f16 v49, v82, v91, v49
	v_pk_fma_f16 v77, v82, v77, v75
	;; [unrolled: 1-line block ×3, first 2 shown]
	v_and_b32_e32 v79, 0xffff, v80
	v_lshrrev_b32_e32 v80, 16, v80
	v_mul_u32_u24_e32 v91, 0x10001, v73
	v_mul_u32_u24_e32 v93, 0x10001, v74
	ds_load_2addr_b64 v[73:76], v43 offset0:192 offset1:224
	v_mul_u32_u24_e32 v43, 0x10001, v79
	v_mul_u32_u24_e32 v79, 0x10001, v80
	v_pk_fma_f16 v78, v82, v78, v94
	v_pk_fma_f16 v80, v83, v91, v92
	;; [unrolled: 1-line block ×6, first 2 shown]
	s_wait_dscnt 0x1
	v_and_b32_e32 v77, 0xffff, v85
	v_lshrrev_b32_e32 v85, 16, v85
	v_and_b32_e32 v90, 0xffff, v86
	v_lshrrev_b32_e32 v86, 16, v86
	v_pk_fma_f16 v42, v84, v43, v42
	v_mul_u32_u24_e32 v43, 0x10001, v77
	v_pk_fma_f16 v49, v84, v91, v49
	v_mul_u32_u24_e32 v85, 0x10001, v85
	v_mul_u32_u24_e32 v90, 0x10001, v90
	;; [unrolled: 1-line block ×3, first 2 shown]
	v_pk_fma_f16 v91, v84, v79, v78
	s_wait_dscnt 0x0
	v_pk_fma_f16 v92, v73, v43, v80
	ds_load_b128 v[77:80], v44 offset:704
	v_pk_fma_f16 v93, v73, v85, v82
	v_pk_fma_f16 v89, v73, v90, v89
	;; [unrolled: 1-line block ×5, first 2 shown]
	v_and_b32_e32 v81, 0xffff, v87
	v_lshrrev_b32_e32 v82, 16, v87
	v_and_b32_e32 v83, 0xffff, v88
	v_pk_fma_f16 v42, v74, v90, v42
	v_lshrrev_b32_e32 v85, 16, v88
	v_mul_u32_u24_e32 v87, 0x10001, v81
	v_mul_u32_u24_e32 v88, 0x10001, v82
	;; [unrolled: 1-line block ×3, first 2 shown]
	ds_load_2addr_b64 v[81:84], v45 offset1:32
	v_mul_u32_u24_e32 v94, 0x10001, v85
	v_pk_fma_f16 v74, v74, v86, v91
	v_pk_fma_f16 v91, v75, v87, v92
	;; [unrolled: 1-line block ×7, first 2 shown]
	ds_load_b128 v[85:88], v44 offset:720
	s_wait_dscnt 0x2
	v_and_b32_e32 v75, 0xffff, v77
	v_lshrrev_b32_e32 v77, 16, v77
	v_and_b32_e32 v93, 0xffff, v78
	v_lshrrev_b32_e32 v78, 16, v78
	v_pk_fma_f16 v42, v76, v90, v42
	v_mul_u32_u24_e32 v75, 0x10001, v75
	v_mul_u32_u24_e32 v77, 0x10001, v77
	;; [unrolled: 1-line block ×4, first 2 shown]
	v_pk_fma_f16 v93, v76, v94, v74
	s_wait_dscnt 0x1
	v_pk_fma_f16 v91, v81, v75, v91
	v_pk_fma_f16 v92, v81, v77, v92
	;; [unrolled: 1-line block ×4, first 2 shown]
	v_and_b32_e32 v73, 0xffff, v79
	v_lshrrev_b32_e32 v74, 16, v79
	v_pk_fma_f16 v43, v82, v75, v43
	v_pk_fma_f16 v49, v82, v77, v49
	;; [unrolled: 1-line block ×3, first 2 shown]
	v_and_b32_e32 v77, 0xffff, v80
	v_lshrrev_b32_e32 v79, 16, v80
	v_mul_u32_u24_e32 v80, 0x10001, v73
	v_mul_u32_u24_e32 v90, 0x10001, v74
	ds_load_2addr_b64 v[73:76], v45 offset0:64 offset1:96
	v_mul_u32_u24_e32 v77, 0x10001, v77
	v_mul_u32_u24_e32 v79, 0x10001, v79
	v_pk_fma_f16 v78, v82, v78, v93
	v_pk_fma_f16 v82, v83, v80, v91
	;; [unrolled: 1-line block ×3, first 2 shown]
	s_wait_dscnt 0x1
	v_and_b32_e32 v80, 0xffff, v85
	v_pk_fma_f16 v91, v83, v90, v92
	v_pk_fma_f16 v89, v83, v77, v89
	;; [unrolled: 1-line block ×3, first 2 shown]
	v_lshrrev_b32_e32 v83, 16, v85
	v_and_b32_e32 v85, 0xffff, v86
	v_lshrrev_b32_e32 v86, 16, v86
	v_pk_fma_f16 v42, v84, v77, v42
	v_mul_u32_u24_e32 v77, 0x10001, v80
	v_pk_fma_f16 v49, v84, v90, v49
	v_mul_u32_u24_e32 v83, 0x10001, v83
	v_mul_u32_u24_e32 v85, 0x10001, v85
	;; [unrolled: 1-line block ×3, first 2 shown]
	v_pk_fma_f16 v90, v84, v79, v78
	s_wait_dscnt 0x0
	v_pk_fma_f16 v92, v73, v77, v82
	v_pk_fma_f16 v43, v74, v77, v43
	ds_load_b128 v[77:80], v44 offset:736
	v_pk_fma_f16 v91, v73, v83, v91
	v_pk_fma_f16 v89, v73, v85, v89
	;; [unrolled: 1-line block ×4, first 2 shown]
	v_and_b32_e32 v81, 0xffff, v87
	v_lshrrev_b32_e32 v82, 16, v87
	v_and_b32_e32 v83, 0xffff, v88
	v_pk_fma_f16 v42, v74, v85, v42
	v_lshrrev_b32_e32 v85, 16, v88
	v_mul_u32_u24_e32 v87, 0x10001, v81
	v_mul_u32_u24_e32 v88, 0x10001, v82
	;; [unrolled: 1-line block ×3, first 2 shown]
	ds_load_2addr_b64 v[81:84], v45 offset0:128 offset1:160
	v_mul_u32_u24_e32 v94, 0x10001, v85
	v_pk_fma_f16 v74, v74, v86, v90
	v_pk_fma_f16 v90, v75, v87, v92
	;; [unrolled: 1-line block ×7, first 2 shown]
	ds_load_b128 v[85:88], v44 offset:752
	s_wait_dscnt 0x2
	v_and_b32_e32 v75, 0xffff, v77
	v_lshrrev_b32_e32 v77, 16, v77
	v_and_b32_e32 v92, 0xffff, v78
	v_lshrrev_b32_e32 v78, 16, v78
	v_pk_fma_f16 v42, v76, v93, v42
	v_mul_u32_u24_e32 v75, 0x10001, v75
	v_mul_u32_u24_e32 v77, 0x10001, v77
	v_mul_u32_u24_e32 v92, 0x10001, v92
	v_mul_u32_u24_e32 v78, 0x10001, v78
	v_pk_fma_f16 v93, v76, v94, v74
	s_wait_dscnt 0x1
	v_pk_fma_f16 v90, v81, v75, v90
	v_pk_fma_f16 v91, v81, v77, v91
	;; [unrolled: 1-line block ×4, first 2 shown]
	v_and_b32_e32 v73, 0xffff, v79
	v_lshrrev_b32_e32 v74, 16, v79
	v_pk_fma_f16 v43, v82, v75, v43
	v_pk_fma_f16 v49, v82, v77, v49
	v_pk_fma_f16 v42, v82, v92, v42
	v_and_b32_e32 v77, 0xffff, v80
	v_lshrrev_b32_e32 v79, 16, v80
	v_mul_u32_u24_e32 v80, 0x10001, v73
	v_mul_u32_u24_e32 v92, 0x10001, v74
	ds_load_2addr_b64 v[73:76], v45 offset0:192 offset1:224
	v_mul_u32_u24_e32 v45, 0x10001, v77
	v_mul_u32_u24_e32 v77, 0x10001, v79
	v_pk_fma_f16 v79, v83, v80, v90
	v_pk_fma_f16 v43, v84, v80, v43
	s_wait_dscnt 0x1
	v_and_b32_e32 v80, 0xffff, v85
	v_pk_fma_f16 v78, v82, v78, v93
	v_pk_fma_f16 v82, v83, v92, v91
	;; [unrolled: 1-line block ×4, first 2 shown]
	v_lshrrev_b32_e32 v83, 16, v85
	v_and_b32_e32 v85, 0xffff, v86
	v_lshrrev_b32_e32 v86, 16, v86
	v_pk_fma_f16 v42, v84, v45, v42
	v_mul_u32_u24_e32 v45, 0x10001, v80
	v_mul_u32_u24_e32 v83, 0x10001, v83
	;; [unrolled: 1-line block ×4, first 2 shown]
	v_pk_fma_f16 v90, v84, v77, v78
	v_pk_fma_f16 v49, v84, v92, v49
	s_wait_dscnt 0x0
	v_pk_fma_f16 v91, v73, v45, v79
	ds_load_b128 v[77:80], v44 offset:768
	v_pk_fma_f16 v92, v73, v83, v82
	v_pk_fma_f16 v89, v73, v85, v89
	;; [unrolled: 1-line block ×3, first 2 shown]
	v_lshrrev_b32_e32 v81, 16, v87
	v_and_b32_e32 v82, 0xffff, v88
	v_pk_fma_f16 v43, v74, v45, v43
	v_pk_fma_f16 v45, v74, v83, v49
	v_and_b32_e32 v49, 0xffff, v87
	v_pk_fma_f16 v42, v74, v85, v42
	v_lshrrev_b32_e32 v85, 16, v88
	v_mul_u32_u24_e32 v87, 0x10001, v81
	v_mul_u32_u24_e32 v93, 0x10001, v82
	ds_load_2addr_b64 v[81:84], v46 offset1:32
	v_mul_u32_u24_e32 v49, 0x10001, v49
	v_mul_u32_u24_e32 v94, 0x10001, v85
	v_pk_fma_f16 v74, v74, v86, v90
	v_pk_fma_f16 v89, v75, v93, v89
	;; [unrolled: 1-line block ×7, first 2 shown]
	ds_load_b128 v[85:88], v44 offset:784
	s_wait_dscnt 0x2
	v_and_b32_e32 v49, 0xffff, v77
	v_lshrrev_b32_e32 v75, 16, v77
	v_and_b32_e32 v77, 0xffff, v78
	v_lshrrev_b32_e32 v78, 16, v78
	v_pk_fma_f16 v42, v76, v93, v42
	v_mul_u32_u24_e32 v49, 0x10001, v49
	v_mul_u32_u24_e32 v75, 0x10001, v75
	;; [unrolled: 1-line block ×4, first 2 shown]
	v_pk_fma_f16 v92, v76, v94, v74
	s_wait_dscnt 0x1
	v_pk_fma_f16 v90, v81, v49, v90
	v_pk_fma_f16 v91, v81, v75, v91
	;; [unrolled: 1-line block ×4, first 2 shown]
	v_lshrrev_b32_e32 v73, 16, v79
	v_pk_fma_f16 v43, v82, v49, v43
	v_pk_fma_f16 v45, v82, v75, v45
	v_and_b32_e32 v49, 0xffff, v79
	v_pk_fma_f16 v42, v82, v77, v42
	v_and_b32_e32 v77, 0xffff, v80
	v_lshrrev_b32_e32 v79, 16, v80
	v_mul_u32_u24_e32 v80, 0x10001, v73
	ds_load_2addr_b64 v[73:76], v46 offset0:64 offset1:96
	v_mul_u32_u24_e32 v49, 0x10001, v49
	v_mul_u32_u24_e32 v77, 0x10001, v77
	;; [unrolled: 1-line block ×3, first 2 shown]
	v_pk_fma_f16 v78, v82, v78, v92
	v_pk_fma_f16 v45, v84, v80, v45
	;; [unrolled: 1-line block ×7, first 2 shown]
	s_wait_dscnt 0x1
	v_and_b32_e32 v49, 0xffff, v85
	v_lshrrev_b32_e32 v80, 16, v85
	v_and_b32_e32 v83, 0xffff, v86
	v_lshrrev_b32_e32 v85, 16, v86
	v_pk_fma_f16 v42, v84, v77, v42
	v_mul_u32_u24_e32 v49, 0x10001, v49
	v_mul_u32_u24_e32 v86, 0x10001, v80
	;; [unrolled: 1-line block ×4, first 2 shown]
	v_pk_fma_f16 v91, v84, v79, v78
	ds_load_b128 v[77:80], v44 offset:800
	s_wait_dscnt 0x1
	v_pk_fma_f16 v92, v73, v49, v82
	v_pk_fma_f16 v90, v73, v86, v90
	;; [unrolled: 1-line block ×4, first 2 shown]
	v_lshrrev_b32_e32 v81, 16, v87
	v_and_b32_e32 v82, 0xffff, v88
	v_pk_fma_f16 v43, v74, v49, v43
	v_pk_fma_f16 v45, v74, v86, v45
	v_and_b32_e32 v49, 0xffff, v87
	v_pk_fma_f16 v42, v74, v83, v42
	v_lshrrev_b32_e32 v86, 16, v88
	v_mul_u32_u24_e32 v87, 0x10001, v81
	v_mul_u32_u24_e32 v93, 0x10001, v82
	ds_load_2addr_b64 v[81:84], v46 offset0:128 offset1:160
	v_mul_u32_u24_e32 v49, 0x10001, v49
	v_mul_u32_u24_e32 v94, 0x10001, v86
	v_pk_fma_f16 v74, v74, v85, v91
	v_pk_fma_f16 v90, v75, v87, v90
	;; [unrolled: 1-line block ×7, first 2 shown]
	ds_load_b128 v[85:88], v44 offset:816
	s_wait_dscnt 0x2
	v_and_b32_e32 v49, 0xffff, v77
	v_lshrrev_b32_e32 v75, 16, v77
	v_and_b32_e32 v77, 0xffff, v78
	v_lshrrev_b32_e32 v78, 16, v78
	v_pk_fma_f16 v42, v76, v93, v42
	v_mul_u32_u24_e32 v49, 0x10001, v49
	v_mul_u32_u24_e32 v75, 0x10001, v75
	;; [unrolled: 1-line block ×4, first 2 shown]
	v_pk_fma_f16 v92, v76, v94, v74
	s_wait_dscnt 0x1
	v_pk_fma_f16 v91, v81, v49, v91
	v_pk_fma_f16 v90, v81, v75, v90
	;; [unrolled: 1-line block ×4, first 2 shown]
	v_lshrrev_b32_e32 v73, 16, v79
	v_pk_fma_f16 v43, v82, v49, v43
	v_pk_fma_f16 v45, v82, v75, v45
	v_and_b32_e32 v49, 0xffff, v79
	v_pk_fma_f16 v42, v82, v77, v42
	v_and_b32_e32 v77, 0xffff, v80
	v_lshrrev_b32_e32 v79, 16, v80
	v_mul_u32_u24_e32 v80, 0x10001, v73
	ds_load_2addr_b64 v[73:76], v46 offset0:192 offset1:224
	v_mul_u32_u24_e32 v49, 0x10001, v49
	v_mul_u32_u24_e32 v46, 0x10001, v77
	;; [unrolled: 1-line block ×3, first 2 shown]
	v_pk_fma_f16 v78, v82, v78, v92
	v_pk_fma_f16 v82, v83, v80, v90
	;; [unrolled: 1-line block ×4, first 2 shown]
	s_wait_dscnt 0x1
	v_and_b32_e32 v49, 0xffff, v85
	v_pk_fma_f16 v89, v83, v46, v89
	v_pk_fma_f16 v81, v83, v77, v81
	;; [unrolled: 1-line block ×3, first 2 shown]
	v_lshrrev_b32_e32 v80, 16, v85
	v_and_b32_e32 v83, 0xffff, v86
	v_lshrrev_b32_e32 v85, 16, v86
	v_pk_fma_f16 v42, v84, v46, v42
	v_mul_u32_u24_e32 v46, 0x10001, v49
	v_mul_u32_u24_e32 v49, 0x10001, v80
	;; [unrolled: 1-line block ×4, first 2 shown]
	v_pk_fma_f16 v86, v84, v77, v78
	s_wait_dscnt 0x0
	v_pk_fma_f16 v90, v73, v46, v79
	ds_load_b128 v[77:80], v44 offset:832
	v_pk_fma_f16 v91, v73, v49, v82
	v_pk_fma_f16 v89, v73, v83, v89
	;; [unrolled: 1-line block ×3, first 2 shown]
	v_and_b32_e32 v81, 0xffff, v88
	v_pk_fma_f16 v43, v74, v46, v43
	v_pk_fma_f16 v45, v74, v49, v45
	v_and_b32_e32 v46, 0xffff, v87
	v_lshrrev_b32_e32 v49, 16, v87
	v_pk_fma_f16 v42, v74, v83, v42
	v_lshrrev_b32_e32 v87, 16, v88
	v_mul_u32_u24_e32 v92, 0x10001, v81
	ds_load_2addr_b64 v[81:84], v47 offset1:32
	v_mul_u32_u24_e32 v46, 0x10001, v46
	v_mul_u32_u24_e32 v49, 0x10001, v49
	;; [unrolled: 1-line block ×3, first 2 shown]
	v_pk_fma_f16 v74, v74, v85, v86
	v_pk_fma_f16 v89, v75, v92, v89
	;; [unrolled: 1-line block ×7, first 2 shown]
	ds_load_b128 v[85:88], v44 offset:848
	s_wait_dscnt 0x2
	v_and_b32_e32 v46, 0xffff, v77
	v_lshrrev_b32_e32 v49, 16, v77
	v_and_b32_e32 v75, 0xffff, v78
	v_lshrrev_b32_e32 v77, 16, v78
	v_pk_fma_f16 v42, v76, v92, v42
	v_mul_u32_u24_e32 v46, 0x10001, v46
	v_mul_u32_u24_e32 v49, 0x10001, v49
	;; [unrolled: 1-line block ×4, first 2 shown]
	v_pk_fma_f16 v78, v76, v93, v74
	s_wait_dscnt 0x1
	v_pk_fma_f16 v90, v81, v46, v90
	v_pk_fma_f16 v91, v81, v49, v91
	v_pk_fma_f16 v89, v81, v75, v89
	v_pk_fma_f16 v81, v81, v77, v73
	v_pk_fma_f16 v43, v82, v46, v43
	v_and_b32_e32 v46, 0xffff, v79
	v_pk_fma_f16 v42, v82, v75, v42
	ds_load_2addr_b64 v[73:76], v47 offset0:64 offset1:96
	v_pk_fma_f16 v45, v82, v49, v45
	v_lshrrev_b32_e32 v49, 16, v79
	v_and_b32_e32 v79, 0xffff, v80
	v_lshrrev_b32_e32 v80, 16, v80
	v_mul_u32_u24_e32 v46, 0x10001, v46
	v_pk_fma_f16 v77, v82, v77, v78
	v_mul_u32_u24_e32 v49, 0x10001, v49
	v_mul_u32_u24_e32 v79, 0x10001, v79
	;; [unrolled: 1-line block ×3, first 2 shown]
	v_pk_fma_f16 v78, v83, v46, v90
	v_pk_fma_f16 v43, v84, v46, v43
	s_wait_dscnt 0x1
	v_and_b32_e32 v46, 0xffff, v85
	v_pk_fma_f16 v82, v83, v49, v91
	v_pk_fma_f16 v89, v83, v79, v89
	;; [unrolled: 1-line block ×4, first 2 shown]
	v_lshrrev_b32_e32 v49, 16, v85
	v_and_b32_e32 v83, 0xffff, v86
	v_lshrrev_b32_e32 v85, 16, v86
	v_mul_u32_u24_e32 v46, 0x10001, v46
	v_pk_fma_f16 v42, v84, v79, v42
	v_mul_u32_u24_e32 v49, 0x10001, v49
	v_mul_u32_u24_e32 v83, 0x10001, v83
	;; [unrolled: 1-line block ×3, first 2 shown]
	v_pk_fma_f16 v86, v84, v80, v77
	s_wait_dscnt 0x0
	v_pk_fma_f16 v90, v73, v46, v78
	ds_load_b128 v[77:80], v44 offset:864
	v_pk_fma_f16 v91, v73, v49, v82
	v_pk_fma_f16 v89, v73, v83, v89
	;; [unrolled: 1-line block ×3, first 2 shown]
	v_and_b32_e32 v81, 0xffff, v88
	v_pk_fma_f16 v43, v74, v46, v43
	v_pk_fma_f16 v45, v74, v49, v45
	v_and_b32_e32 v46, 0xffff, v87
	v_lshrrev_b32_e32 v49, 16, v87
	v_pk_fma_f16 v42, v74, v83, v42
	v_lshrrev_b32_e32 v87, 16, v88
	v_mul_u32_u24_e32 v92, 0x10001, v81
	ds_load_2addr_b64 v[81:84], v47 offset0:128 offset1:160
	v_mul_u32_u24_e32 v46, 0x10001, v46
	v_mul_u32_u24_e32 v49, 0x10001, v49
	;; [unrolled: 1-line block ×3, first 2 shown]
	v_pk_fma_f16 v74, v74, v85, v86
	v_pk_fma_f16 v89, v75, v92, v89
	;; [unrolled: 1-line block ×7, first 2 shown]
	ds_load_b128 v[85:88], v44 offset:880
	s_wait_dscnt 0x2
	v_and_b32_e32 v46, 0xffff, v77
	v_lshrrev_b32_e32 v49, 16, v77
	v_and_b32_e32 v75, 0xffff, v78
	v_lshrrev_b32_e32 v77, 16, v78
	v_pk_fma_f16 v42, v76, v92, v42
	v_mul_u32_u24_e32 v46, 0x10001, v46
	v_mul_u32_u24_e32 v49, 0x10001, v49
	;; [unrolled: 1-line block ×4, first 2 shown]
	v_pk_fma_f16 v78, v76, v93, v74
	s_wait_dscnt 0x1
	v_pk_fma_f16 v90, v81, v46, v90
	v_pk_fma_f16 v91, v81, v49, v91
	;; [unrolled: 1-line block ×6, first 2 shown]
	v_and_b32_e32 v46, 0xffff, v79
	v_lshrrev_b32_e32 v49, 16, v79
	v_pk_fma_f16 v42, v82, v75, v42
	ds_load_2addr_b64 v[73:76], v47 offset0:192 offset1:224
	v_and_b32_e32 v79, 0xffff, v80
	v_lshrrev_b32_e32 v80, 16, v80
	v_mul_u32_u24_e32 v46, 0x10001, v46
	v_mul_u32_u24_e32 v49, 0x10001, v49
	v_pk_fma_f16 v77, v82, v77, v78
	v_mul_u32_u24_e32 v47, 0x10001, v79
	v_mul_u32_u24_e32 v79, 0x10001, v80
	v_pk_fma_f16 v78, v83, v46, v90
	v_pk_fma_f16 v80, v83, v49, v91
	;; [unrolled: 1-line block ×4, first 2 shown]
	s_wait_dscnt 0x1
	v_and_b32_e32 v46, 0xffff, v85
	v_lshrrev_b32_e32 v49, 16, v85
	v_pk_fma_f16 v82, v83, v47, v89
	v_pk_fma_f16 v81, v83, v79, v81
	v_and_b32_e32 v83, 0xffff, v86
	v_lshrrev_b32_e32 v85, 16, v86
	v_pk_fma_f16 v42, v84, v47, v42
	v_mul_u32_u24_e32 v46, 0x10001, v46
	v_mul_u32_u24_e32 v47, 0x10001, v49
	;; [unrolled: 1-line block ×4, first 2 shown]
	v_pk_fma_f16 v86, v84, v79, v77
	s_wait_dscnt 0x0
	v_pk_fma_f16 v89, v73, v46, v78
	v_pk_fma_f16 v90, v73, v47, v80
	ds_load_b128 v[77:80], v44 offset:896
	v_pk_fma_f16 v91, v73, v49, v82
	v_pk_fma_f16 v73, v73, v85, v81
	v_and_b32_e32 v81, 0xffff, v88
	v_pk_fma_f16 v43, v74, v46, v43
	v_pk_fma_f16 v45, v74, v47, v45
	v_and_b32_e32 v46, 0xffff, v87
	v_lshrrev_b32_e32 v47, 16, v87
	v_pk_fma_f16 v42, v74, v49, v42
	v_lshrrev_b32_e32 v49, 16, v88
	v_mul_u32_u24_e32 v92, 0x10001, v81
	ds_load_2addr_b64 v[81:84], v41 offset1:32
	v_mul_u32_u24_e32 v46, 0x10001, v46
	v_mul_u32_u24_e32 v47, 0x10001, v47
	;; [unrolled: 1-line block ×3, first 2 shown]
	v_pk_fma_f16 v74, v74, v85, v86
	v_pk_fma_f16 v91, v75, v92, v91
	;; [unrolled: 1-line block ×7, first 2 shown]
	ds_load_b128 v[85:88], v44 offset:912
	s_wait_dscnt 0x2
	v_and_b32_e32 v46, 0xffff, v77
	v_lshrrev_b32_e32 v47, 16, v77
	v_and_b32_e32 v75, 0xffff, v78
	v_lshrrev_b32_e32 v77, 16, v78
	v_pk_fma_f16 v42, v76, v92, v42
	v_mul_u32_u24_e32 v46, 0x10001, v46
	v_mul_u32_u24_e32 v47, 0x10001, v47
	v_mul_u32_u24_e32 v75, 0x10001, v75
	v_mul_u32_u24_e32 v77, 0x10001, v77
	v_pk_fma_f16 v49, v76, v49, v74
	s_wait_dscnt 0x1
	v_pk_fma_f16 v78, v81, v46, v89
	v_pk_fma_f16 v89, v81, v47, v90
	;; [unrolled: 1-line block ×6, first 2 shown]
	v_and_b32_e32 v46, 0xffff, v79
	v_lshrrev_b32_e32 v47, 16, v79
	v_pk_fma_f16 v42, v82, v75, v42
	ds_load_2addr_b64 v[73:76], v41 offset0:64 offset1:96
	v_and_b32_e32 v79, 0xffff, v80
	v_lshrrev_b32_e32 v80, 16, v80
	v_mul_u32_u24_e32 v46, 0x10001, v46
	v_mul_u32_u24_e32 v47, 0x10001, v47
	v_pk_fma_f16 v49, v82, v77, v49
	v_mul_u32_u24_e32 v79, 0x10001, v79
	v_mul_u32_u24_e32 v80, 0x10001, v80
	v_pk_fma_f16 v77, v83, v46, v78
	v_pk_fma_f16 v78, v83, v47, v89
	;; [unrolled: 1-line block ×4, first 2 shown]
	s_wait_dscnt 0x1
	v_and_b32_e32 v46, 0xffff, v85
	v_lshrrev_b32_e32 v47, 16, v85
	v_pk_fma_f16 v82, v83, v79, v90
	v_pk_fma_f16 v81, v83, v80, v81
	v_and_b32_e32 v83, 0xffff, v86
	v_lshrrev_b32_e32 v85, 16, v86
	v_mul_u32_u24_e32 v46, 0x10001, v46
	v_mul_u32_u24_e32 v47, 0x10001, v47
	v_pk_fma_f16 v42, v84, v79, v42
	v_mul_u32_u24_e32 v83, 0x10001, v83
	v_mul_u32_u24_e32 v85, 0x10001, v85
	v_pk_fma_f16 v49, v84, v80, v49
	s_wait_dscnt 0x0
	v_pk_fma_f16 v86, v73, v46, v77
	v_pk_fma_f16 v89, v73, v47, v78
	ds_load_b128 v[77:80], v44 offset:928
	v_pk_fma_f16 v90, v73, v83, v82
	v_pk_fma_f16 v73, v73, v85, v81
	v_and_b32_e32 v81, 0xffff, v88
	v_pk_fma_f16 v43, v74, v46, v43
	v_pk_fma_f16 v45, v74, v47, v45
	v_and_b32_e32 v46, 0xffff, v87
	v_lshrrev_b32_e32 v47, 16, v87
	v_pk_fma_f16 v42, v74, v83, v42
	v_lshrrev_b32_e32 v87, 16, v88
	v_mul_u32_u24_e32 v91, 0x10001, v81
	ds_load_2addr_b64 v[81:84], v41 offset0:128 offset1:160
	v_mul_u32_u24_e32 v46, 0x10001, v46
	v_mul_u32_u24_e32 v47, 0x10001, v47
	;; [unrolled: 1-line block ×3, first 2 shown]
	v_pk_fma_f16 v49, v74, v85, v49
	v_pk_fma_f16 v90, v75, v91, v90
	;; [unrolled: 1-line block ×7, first 2 shown]
	ds_load_b128 v[85:88], v44 offset:944
	s_wait_dscnt 0x2
	v_and_b32_e32 v46, 0xffff, v77
	v_lshrrev_b32_e32 v47, 16, v77
	v_and_b32_e32 v75, 0xffff, v78
	v_lshrrev_b32_e32 v77, 16, v78
	v_pk_fma_f16 v42, v76, v91, v42
	v_mul_u32_u24_e32 v46, 0x10001, v46
	v_mul_u32_u24_e32 v47, 0x10001, v47
	v_mul_u32_u24_e32 v75, 0x10001, v75
	v_mul_u32_u24_e32 v77, 0x10001, v77
	v_pk_fma_f16 v49, v76, v92, v49
	s_wait_dscnt 0x1
	v_pk_fma_f16 v78, v81, v46, v74
	v_pk_fma_f16 v89, v81, v47, v89
	;; [unrolled: 1-line block ×6, first 2 shown]
	v_and_b32_e32 v46, 0xffff, v79
	v_lshrrev_b32_e32 v47, 16, v79
	v_pk_fma_f16 v42, v82, v75, v42
	ds_load_2addr_b64 v[73:76], v41 offset0:192 offset1:224
	v_and_b32_e32 v79, 0xffff, v80
	v_lshrrev_b32_e32 v80, 16, v80
	v_mul_u32_u24_e32 v46, 0x10001, v46
	v_mul_u32_u24_e32 v47, 0x10001, v47
	v_pk_fma_f16 v49, v82, v77, v49
	v_mul_u32_u24_e32 v41, 0x10001, v79
	v_mul_u32_u24_e32 v79, 0x10001, v80
	v_pk_fma_f16 v77, v83, v46, v78
	v_pk_fma_f16 v78, v83, v47, v89
	;; [unrolled: 1-line block ×4, first 2 shown]
	s_wait_dscnt 0x1
	v_and_b32_e32 v46, 0xffff, v85
	v_lshrrev_b32_e32 v47, 16, v85
	v_and_b32_e32 v82, 0xffff, v86
	v_pk_fma_f16 v80, v83, v41, v90
	v_pk_fma_f16 v81, v83, v79, v81
	v_lshrrev_b32_e32 v83, 16, v86
	v_pk_fma_f16 v41, v84, v41, v42
	v_mul_u32_u24_e32 v42, 0x10001, v46
	v_mul_u32_u24_e32 v46, 0x10001, v47
	;; [unrolled: 1-line block ×4, first 2 shown]
	v_pk_fma_f16 v49, v84, v79, v49
	s_wait_dscnt 0x0
	v_pk_fma_f16 v86, v73, v42, v77
	v_pk_fma_f16 v89, v73, v46, v78
	;; [unrolled: 1-line block ×3, first 2 shown]
	ds_load_b128 v[77:80], v44 offset:960
	v_pk_fma_f16 v73, v73, v85, v81
	v_and_b32_e32 v81, 0xffff, v88
	v_pk_fma_f16 v42, v74, v42, v43
	v_pk_fma_f16 v43, v74, v46, v45
	v_and_b32_e32 v45, 0xffff, v87
	v_lshrrev_b32_e32 v46, 16, v87
	v_pk_fma_f16 v41, v74, v47, v41
	v_lshrrev_b32_e32 v47, 16, v88
	v_mul_u32_u24_e32 v91, 0x10001, v81
	ds_load_2addr_b64 v[81:84], v40 offset1:32
	v_mul_u32_u24_e32 v45, 0x10001, v45
	v_mul_u32_u24_e32 v46, 0x10001, v46
	;; [unrolled: 1-line block ×3, first 2 shown]
	v_pk_fma_f16 v49, v74, v85, v49
	v_pk_fma_f16 v90, v75, v91, v90
	;; [unrolled: 1-line block ×7, first 2 shown]
	ds_load_b128 v[85:88], v44 offset:976
	s_wait_dscnt 0x2
	v_and_b32_e32 v45, 0xffff, v77
	v_lshrrev_b32_e32 v46, 16, v77
	v_and_b32_e32 v75, 0xffff, v78
	v_lshrrev_b32_e32 v77, 16, v78
	v_pk_fma_f16 v41, v76, v91, v41
	v_mul_u32_u24_e32 v45, 0x10001, v45
	v_mul_u32_u24_e32 v46, 0x10001, v46
	v_mul_u32_u24_e32 v75, 0x10001, v75
	v_mul_u32_u24_e32 v77, 0x10001, v77
	v_pk_fma_f16 v47, v76, v47, v49
	s_wait_dscnt 0x1
	v_pk_fma_f16 v49, v81, v45, v74
	v_pk_fma_f16 v78, v81, v46, v89
	;; [unrolled: 1-line block ×5, first 2 shown]
	v_lshrrev_b32_e32 v46, 16, v79
	v_pk_fma_f16 v41, v82, v75, v41
	ds_load_2addr_b64 v[73:76], v40 offset0:64 offset1:96
	v_pk_fma_f16 v42, v82, v45, v42
	v_and_b32_e32 v45, 0xffff, v79
	v_and_b32_e32 v79, 0xffff, v80
	v_lshrrev_b32_e32 v80, 16, v80
	v_mul_u32_u24_e32 v46, 0x10001, v46
	v_pk_fma_f16 v47, v82, v77, v47
	v_mul_u32_u24_e32 v45, 0x10001, v45
	v_mul_u32_u24_e32 v79, 0x10001, v79
	;; [unrolled: 1-line block ×3, first 2 shown]
	v_pk_fma_f16 v77, v83, v46, v78
	v_pk_fma_f16 v43, v84, v46, v43
	s_wait_dscnt 0x1
	v_lshrrev_b32_e32 v46, 16, v85
	v_and_b32_e32 v82, 0xffff, v86
	v_pk_fma_f16 v49, v83, v45, v49
	v_pk_fma_f16 v78, v83, v79, v89
	;; [unrolled: 1-line block ×4, first 2 shown]
	v_and_b32_e32 v45, 0xffff, v85
	v_lshrrev_b32_e32 v83, 16, v86
	v_mul_u32_u24_e32 v46, 0x10001, v46
	v_mul_u32_u24_e32 v82, 0x10001, v82
	v_pk_fma_f16 v41, v84, v79, v41
	v_mul_u32_u24_e32 v45, 0x10001, v45
	v_mul_u32_u24_e32 v85, 0x10001, v83
	v_pk_fma_f16 v47, v84, v80, v47
	s_wait_dscnt 0x0
	v_pk_fma_f16 v86, v73, v46, v77
	v_pk_fma_f16 v89, v73, v82, v78
	ds_load_b128 v[77:80], v44 offset:992
	v_pk_fma_f16 v49, v73, v45, v49
	v_pk_fma_f16 v73, v73, v85, v81
	v_and_b32_e32 v81, 0xffff, v88
	v_pk_fma_f16 v42, v74, v45, v42
	v_pk_fma_f16 v43, v74, v46, v43
	v_and_b32_e32 v45, 0xffff, v87
	v_lshrrev_b32_e32 v46, 16, v87
	v_pk_fma_f16 v41, v74, v82, v41
	v_lshrrev_b32_e32 v87, 16, v88
	v_mul_u32_u24_e32 v90, 0x10001, v81
	ds_load_2addr_b64 v[81:84], v40 offset0:128 offset1:160
	v_mul_u32_u24_e32 v45, 0x10001, v45
	v_mul_u32_u24_e32 v46, 0x10001, v46
	;; [unrolled: 1-line block ×3, first 2 shown]
	v_pk_fma_f16 v47, v74, v85, v47
	v_pk_fma_f16 v89, v75, v90, v89
	;; [unrolled: 1-line block ×7, first 2 shown]
	ds_load_b128 v[85:88], v44 offset:1008
	s_wait_dscnt 0x2
	v_and_b32_e32 v45, 0xffff, v77
	v_lshrrev_b32_e32 v46, 16, v77
	v_and_b32_e32 v75, 0xffff, v78
	v_lshrrev_b32_e32 v77, 16, v78
	v_pk_fma_f16 v41, v76, v90, v41
	v_mul_u32_u24_e32 v45, 0x10001, v45
	v_mul_u32_u24_e32 v46, 0x10001, v46
	v_mul_u32_u24_e32 v75, 0x10001, v75
	v_mul_u32_u24_e32 v77, 0x10001, v77
	v_pk_fma_f16 v47, v76, v91, v47
	s_wait_dscnt 0x1
	v_pk_fma_f16 v49, v81, v45, v49
	v_pk_fma_f16 v78, v81, v46, v74
	;; [unrolled: 1-line block ×6, first 2 shown]
	v_and_b32_e32 v45, 0xffff, v79
	v_lshrrev_b32_e32 v46, 16, v79
	v_pk_fma_f16 v41, v82, v75, v41
	v_and_b32_e32 v79, 0xffff, v80
	v_lshrrev_b32_e32 v80, 16, v80
	ds_load_2addr_b64 v[73:76], v40 offset0:192 offset1:224
	v_mul_u32_u24_e32 v45, 0x10001, v45
	v_mul_u32_u24_e32 v46, 0x10001, v46
	;; [unrolled: 1-line block ×4, first 2 shown]
	s_wait_loadcnt_dscnt 0x0
	s_barrier_signal -1
	s_barrier_wait -1
	global_inv scope:SCOPE_SE
	s_load_b32 s9, s[6:7], 0x4
	v_pk_fma_f16 v47, v82, v77, v47
	v_pk_fma_f16 v49, v83, v45, v49
	;; [unrolled: 1-line block ×6, first 2 shown]
	v_and_b32_e32 v45, 0xffff, v85
	v_lshrrev_b32_e32 v46, 16, v85
	v_and_b32_e32 v81, 0xffff, v86
	v_lshrrev_b32_e32 v82, 16, v86
	v_pk_fma_f16 v78, v83, v40, v89
	v_pk_fma_f16 v40, v84, v40, v41
	v_mul_u32_u24_e32 v41, 0x10001, v45
	v_mul_u32_u24_e32 v45, 0x10001, v46
	;; [unrolled: 1-line block ×4, first 2 shown]
	v_pk_fma_f16 v47, v84, v79, v47
	v_pk_fma_f16 v49, v73, v41, v49
	;; [unrolled: 1-line block ×7, first 2 shown]
	v_and_b32_e32 v41, 0xffff, v87
	v_lshrrev_b32_e32 v42, 16, v87
	v_and_b32_e32 v45, 0xffff, v88
	v_lshrrev_b32_e32 v80, 16, v88
	v_pk_fma_f16 v40, v74, v46, v40
	v_mul_u32_u24_e32 v46, 0x10001, v41
	v_mul_u32_u24_e32 v82, 0x10001, v42
	;; [unrolled: 1-line block ×4, first 2 shown]
	v_pk_fma_f16 v74, v74, v81, v47
	s_wait_kmcnt 0x0
	s_lshl_b32 s9, s9, 7
	v_pk_fma_f16 v47, v75, v46, v49
	v_pk_fma_f16 v45, v75, v82, v77
	;; [unrolled: 1-line block ×8, first 2 shown]
	s_add_co_i32 s24, s9, s24
	s_wait_alu 0xfffe
	s_cmp_lt_i32 s24, s3
	s_cbranch_scc0 .LBB56_44
; %bb.42:                               ;   in Loop: Header=BB56_8 Depth=1
	v_dual_mov_b32 v80, v0 :: v_dual_mov_b32 v75, v3
	v_dual_mov_b32 v78, v1 :: v_dual_mov_b32 v79, v20
	;; [unrolled: 1-line block ×4, first 2 shown]
	s_branch .LBB56_8
.LBB56_43:
	v_dual_mov_b32 v0, 0xfeffffff :: v_dual_mov_b32 v47, 0
	v_mov_b32_e32 v23, 0
	v_dual_mov_b32 v49, 0 :: v_dual_mov_b32 v46, 0
	s_delay_alu instid0(VALU_DEP_3)
	v_dual_mov_b32 v1, v0 :: v_dual_mov_b32 v22, 0
	v_dual_mov_b32 v2, v0 :: v_dual_mov_b32 v3, v0
	;; [unrolled: 1-line block ×5, first 2 shown]
.LBB56_44:
	s_cmp_gt_i32 s2, s24
	s_cbranch_scc1 .LBB56_47
; %bb.45:
	v_mbcnt_lo_u32_b32 v4, -1, 0
	v_mov_b32_e32 v58, 32
	s_delay_alu instid0(VALU_DEP_2)
	v_xor_b32_e32 v59, 16, v4
	v_xor_b32_e32 v57, 8, v4
	;; [unrolled: 1-line block ×5, first 2 shown]
	s_cbranch_execz .LBB56_48
; %bb.46:
	v_mov_b32_e32 v34, v4
	s_branch .LBB56_128
.LBB56_47:
                                        ; implicit-def: $vgpr4
                                        ; implicit-def: $vgpr58
                                        ; implicit-def: $vgpr59
                                        ; implicit-def: $vgpr57
                                        ; implicit-def: $vgpr56
                                        ; implicit-def: $vgpr55
                                        ; implicit-def: $vgpr19
.LBB56_48:
	s_mov_b32 s40, 0
	s_ashr_i32 s25, s24, 31
	s_wait_alu 0xfffe
	s_mov_b32 s41, s40
	s_mov_b32 s42, s40
	v_add_nc_u32_e32 v17, v61, v30
	s_ashr_i32 s29, s28, 31
	v_dual_mov_b32 v19, 0 :: v_dual_lshlrev_b32 v18, 2, v60
	s_wait_alu 0xfffe
	s_mul_u64 s[8:9], s[24:25], s[28:29]
	v_mul_lo_u32 v7, s28, v17
	s_sub_co_i32 s29, s2, s24
	s_lshl_b64 s[2:3], s[8:9], 2
	s_mov_b64 s[6:7], src_private_base
	s_add_nc_u64 s[8:9], s[4:5], s[2:3]
	s_lshl_b32 s3, s28, 5
	v_mov_b32_e32 v60, 0
	v_mov_b32_e32 v62, 0
	v_ashrrev_i32_e32 v8, 31, v7
	v_add_nc_u32_e32 v14, s3, v7
	s_cmp_lg_u64 s[38:39], 0
	v_mov_b32_e32 v64, 0
	v_mov_b32_e32 v66, 0
	v_lshlrev_b64_e32 v[4:5], 2, v[7:8]
	v_ashrrev_i32_e32 v15, 31, v14
	v_mov_b32_e32 v65, 0
	v_mov_b32_e32 v63, 0
	;; [unrolled: 1-line block ×3, first 2 shown]
	v_add_co_u32 v4, vcc_lo, s8, v4
	s_wait_alu 0xfffd
	v_add_co_ci_u32_e64 v5, null, s9, v5, vcc_lo
	s_delay_alu instid0(VALU_DEP_2) | instskip(SKIP_1) | instid1(VALU_DEP_2)
	v_add_co_u32 v59, vcc_lo, v4, v18
	s_wait_alu 0xfffd
	v_add_co_ci_u32_e64 v67, null, 0, v5, vcc_lo
	v_mov_b32_e32 v4, s40
	s_wait_alu 0xfffe
	v_cmp_gt_i32_e64 s4, s29, v17
	v_dual_mov_b32 v5, s41 :: v_dual_mov_b32 v6, s42
	s_clause 0x1
	scratch_store_b32 off, v19, off
	scratch_store_b96 off, v[4:6], off offset:4
	s_wait_alu 0xf1ff
	v_cndmask_b32_e64 v9, s7, v67, s4
	v_cndmask_b32_e64 v8, 0, v59, s4
	v_add_nc_u32_e32 v57, 64, v17
	v_add_co_u32 v59, s5, 0x80, v59
	s_wait_alu 0xf1ff
	v_add_co_ci_u32_e64 v67, null, 0, v67, s5
	flat_load_b128 v[10:13], v[8:9]
	v_lshlrev_b64_e32 v[7:8], 2, v[14:15]
	v_add_nc_u32_e32 v15, 32, v17
	s_clause 0x1
	scratch_store_b32 off, v19, off
	scratch_store_b96 off, v[4:6], off offset:4
	v_cndmask_b32_e64 v101, s7, v67, s4
	v_cndmask_b32_e64 v100, 0, v59, s4
	v_add_co_u32 v7, vcc_lo, s8, v7
	s_wait_alu 0xfffd
	v_add_co_ci_u32_e64 v9, null, s9, v8, vcc_lo
	s_delay_alu instid0(VALU_DEP_2) | instskip(SKIP_1) | instid1(VALU_DEP_2)
	v_add_co_u32 v8, vcc_lo, v7, v18
	s_wait_alu 0xfffd
	v_add_co_ci_u32_e64 v9, null, 0, v9, vcc_lo
	v_cmp_gt_i32_e32 vcc_lo, s29, v15
	v_mad_u32_u24 v7, 0x90, v17, v18
	s_wait_alu 0xfffd
	s_delay_alu instid0(VALU_DEP_3) | instskip(SKIP_4) | instid1(VALU_DEP_2)
	v_cndmask_b32_e32 v16, s7, v9, vcc_lo
	v_dual_cndmask_b32 v15, 0, v8 :: v_dual_add_nc_u32 v14, s3, v14
	v_add_co_u32 v8, s4, 0x80, v8
	s_wait_alu 0xf1ff
	v_add_co_ci_u32_e64 v9, null, 0, v9, s4
	v_cndmask_b32_e32 v8, 0, v8, vcc_lo
	s_delay_alu instid0(VALU_DEP_2)
	v_cndmask_b32_e32 v9, s7, v9, vcc_lo
	s_wait_loadcnt_dscnt 0x0
	ds_store_b128 v7, v[10:13]
	flat_load_b128 v[10:13], v[15:16]
	v_ashrrev_i32_e32 v15, 31, v14
	s_clause 0x1
	scratch_store_b32 off, v19, off
	scratch_store_b96 off, v[4:6], off offset:4
	v_lshlrev_b64_e32 v[15:16], 2, v[14:15]
	v_add_nc_u32_e32 v14, s3, v14
	s_delay_alu instid0(VALU_DEP_2) | instskip(SKIP_1) | instid1(VALU_DEP_3)
	v_add_co_u32 v15, s2, s8, v15
	s_wait_alu 0xf1ff
	v_add_co_ci_u32_e64 v16, null, s9, v16, s2
	s_delay_alu instid0(VALU_DEP_2) | instskip(SKIP_1) | instid1(VALU_DEP_2)
	v_add_co_u32 v55, s2, v15, v18
	s_wait_alu 0xf1ff
	v_add_co_ci_u32_e64 v56, null, 0, v16, s2
	v_cmp_gt_i32_e64 s2, s29, v57
	s_wait_alu 0xf1ff
	s_delay_alu instid0(VALU_DEP_1)
	v_cndmask_b32_e64 v16, s7, v56, s2
	v_cndmask_b32_e64 v15, 0, v55, s2
	s_wait_loadcnt_dscnt 0x0
	ds_store_b128 v7, v[10:13] offset:4608
	flat_load_b128 v[10:13], v[15:16]
	v_ashrrev_i32_e32 v15, 31, v14
	v_add_nc_u32_e32 v16, 0x60, v17
	s_clause 0x1
	scratch_store_b32 off, v19, off
	scratch_store_b96 off, v[4:6], off offset:4
	v_mov_b32_e32 v17, 0
	v_lshlrev_b64_e32 v[14:15], 2, v[14:15]
	s_delay_alu instid0(VALU_DEP_1) | instskip(SKIP_1) | instid1(VALU_DEP_2)
	v_add_co_u32 v14, s3, s8, v14
	s_wait_alu 0xf1ff
	v_add_co_ci_u32_e64 v15, null, s9, v15, s3
	s_delay_alu instid0(VALU_DEP_2) | instskip(SKIP_1) | instid1(VALU_DEP_2)
	v_add_co_u32 v57, s3, v14, v18
	s_wait_alu 0xf1ff
	v_add_co_ci_u32_e64 v58, null, 0, v15, s3
	v_cmp_gt_i32_e64 s3, s29, v16
	v_mov_b32_e32 v18, 0
	v_mov_b32_e32 v16, 0
	s_wait_alu 0xf1ff
	s_delay_alu instid0(VALU_DEP_3)
	v_cndmask_b32_e64 v15, s7, v58, s3
	v_cndmask_b32_e64 v14, 0, v57, s3
	s_wait_loadcnt_dscnt 0x0
	ds_store_b128 v7, v[10:13] offset:9216
	flat_load_b128 v[10:13], v[14:15]
	v_dual_mov_b32 v15, 0 :: v_dual_mov_b32 v14, 0
	s_wait_loadcnt_dscnt 0x0
	ds_store_b128 v7, v[10:13] offset:13824
	s_wait_storecnt_dscnt 0x0
	s_barrier_signal -1
	s_barrier_wait -1
	global_inv scope:SCOPE_SE
	ds_load_b128 v[68:71], v54
	ds_load_b128 v[72:75], v35 offset:26624
	ds_load_b128 v[76:79], v35 offset:26880
	;; [unrolled: 1-line block ×7, first 2 shown]
	s_wait_dscnt 0x6
	;;#ASMSTART
	v_dot2_f32_f16 v66, v68, v72, v66
	;;#ASMEND
	;;#ASMSTART
	v_dot2_f32_f16 v66, v69, v73, v66
	;;#ASMEND
	;;#ASMSTART
	v_dot2_f32_f16 v66, v70, v74, v66
	;;#ASMEND
	;;#ASMSTART
	v_dot2_f32_f16 v66, v71, v75, v66
	;;#ASMEND
	s_wait_dscnt 0x5
	;;#ASMSTART
	v_dot2_f32_f16 v65, v68, v76, v65
	;;#ASMEND
	;;#ASMSTART
	v_dot2_f32_f16 v65, v69, v77, v65
	;;#ASMEND
	;;#ASMSTART
	v_dot2_f32_f16 v65, v70, v78, v65
	;;#ASMEND
	;;#ASMSTART
	v_dot2_f32_f16 v65, v71, v79, v65
	;;#ASMEND
	;; [unrolled: 13-line block ×5, first 2 shown]
	;;#ASMSTART
	v_dot2_f32_f16 v18, v88, v76, v18
	;;#ASMEND
	;;#ASMSTART
	v_dot2_f32_f16 v18, v89, v77, v18
	;;#ASMEND
	;; [unrolled: 3-line block ×7, first 2 shown]
	v_mov_b32_e32 v11, 0
	;;#ASMSTART
	v_dot2_f32_f16 v61, v91, v83, v61
	;;#ASMEND
	;;#ASMSTART
	v_dot2_f32_f16 v60, v88, v84, v60
	;;#ASMEND
	;; [unrolled: 3-line block ×4, first 2 shown]
	v_mov_b32_e32 v13, 0
	;;#ASMSTART
	v_dot2_f32_f16 v60, v91, v87, v60
	;;#ASMEND
	s_wait_dscnt 0x1
	;;#ASMSTART
	v_dot2_f32_f16 v14, v92, v72, v14
	;;#ASMEND
	;;#ASMSTART
	v_dot2_f32_f16 v14, v93, v73, v14
	;;#ASMEND
	;; [unrolled: 3-line block ×14, first 2 shown]
	v_mov_b32_e32 v10, 0
	;;#ASMSTART
	v_dot2_f32_f16 v17, v94, v86, v17
	;;#ASMEND
	;;#ASMSTART
	v_dot2_f32_f16 v17, v95, v87, v17
	;;#ASMEND
	s_wait_dscnt 0x0
	;;#ASMSTART
	v_dot2_f32_f16 v10, v96, v72, v10
	;;#ASMEND
	;;#ASMSTART
	v_dot2_f32_f16 v10, v97, v73, v10
	;;#ASMEND
	v_mov_b32_e32 v12, 0
	;;#ASMSTART
	v_dot2_f32_f16 v10, v98, v74, v10
	;;#ASMEND
	;;#ASMSTART
	v_dot2_f32_f16 v10, v99, v75, v10
	;;#ASMEND
	;; [unrolled: 3-line block ×14, first 2 shown]
	ds_load_b128 v[68:71], v54 offset:16
	ds_load_b128 v[72:75], v35 offset:26640
	;; [unrolled: 1-line block ×8, first 2 shown]
	s_wait_dscnt 0x6
	;;#ASMSTART
	v_dot2_f32_f16 v66, v68, v72, v66
	;;#ASMEND
	;;#ASMSTART
	v_dot2_f32_f16 v66, v69, v73, v66
	;;#ASMEND
	;;#ASMSTART
	v_dot2_f32_f16 v66, v70, v74, v66
	;;#ASMEND
	;;#ASMSTART
	v_dot2_f32_f16 v66, v71, v75, v66
	;;#ASMEND
	s_wait_dscnt 0x5
	;;#ASMSTART
	v_dot2_f32_f16 v65, v68, v76, v65
	;;#ASMEND
	;;#ASMSTART
	v_dot2_f32_f16 v65, v69, v77, v65
	;;#ASMEND
	;;#ASMSTART
	v_dot2_f32_f16 v65, v70, v78, v65
	;;#ASMEND
	;;#ASMSTART
	v_dot2_f32_f16 v65, v71, v79, v65
	;;#ASMEND
	;; [unrolled: 13-line block ×5, first 2 shown]
	;;#ASMSTART
	v_dot2_f32_f16 v18, v88, v76, v18
	;;#ASMEND
	;;#ASMSTART
	v_dot2_f32_f16 v18, v89, v77, v18
	;;#ASMEND
	;; [unrolled: 3-line block ×12, first 2 shown]
	s_wait_dscnt 0x1
	;;#ASMSTART
	v_dot2_f32_f16 v14, v92, v72, v14
	;;#ASMEND
	;;#ASMSTART
	v_dot2_f32_f16 v14, v93, v73, v14
	;;#ASMEND
	;; [unrolled: 3-line block ×16, first 2 shown]
	s_wait_dscnt 0x0
	;;#ASMSTART
	v_dot2_f32_f16 v10, v96, v72, v10
	;;#ASMEND
	;;#ASMSTART
	v_dot2_f32_f16 v10, v97, v73, v10
	;;#ASMEND
	;; [unrolled: 3-line block ×16, first 2 shown]
	ds_load_b128 v[68:71], v54 offset:32
	ds_load_b128 v[72:75], v35 offset:26656
	;; [unrolled: 1-line block ×8, first 2 shown]
	s_wait_dscnt 0x6
	;;#ASMSTART
	v_dot2_f32_f16 v66, v68, v72, v66
	;;#ASMEND
	;;#ASMSTART
	v_dot2_f32_f16 v66, v69, v73, v66
	;;#ASMEND
	;;#ASMSTART
	v_dot2_f32_f16 v66, v70, v74, v66
	;;#ASMEND
	;;#ASMSTART
	v_dot2_f32_f16 v66, v71, v75, v66
	;;#ASMEND
	s_wait_dscnt 0x5
	;;#ASMSTART
	v_dot2_f32_f16 v65, v68, v76, v65
	;;#ASMEND
	;;#ASMSTART
	v_dot2_f32_f16 v65, v69, v77, v65
	;;#ASMEND
	;;#ASMSTART
	v_dot2_f32_f16 v65, v70, v78, v65
	;;#ASMEND
	;;#ASMSTART
	v_dot2_f32_f16 v65, v71, v79, v65
	;;#ASMEND
	s_wait_dscnt 0x4
	;;#ASMSTART
	v_dot2_f32_f16 v64, v68, v80, v64
	;;#ASMEND
	;;#ASMSTART
	v_dot2_f32_f16 v64, v69, v81, v64
	;;#ASMEND
	;;#ASMSTART
	v_dot2_f32_f16 v64, v70, v82, v64
	;;#ASMEND
	;;#ASMSTART
	v_dot2_f32_f16 v64, v71, v83, v64
	;;#ASMEND
	s_wait_dscnt 0x3
	;;#ASMSTART
	v_dot2_f32_f16 v63, v68, v84, v63
	;;#ASMEND
	;;#ASMSTART
	v_dot2_f32_f16 v63, v69, v85, v63
	;;#ASMEND
	;;#ASMSTART
	v_dot2_f32_f16 v63, v70, v86, v63
	;;#ASMEND
	;;#ASMSTART
	v_dot2_f32_f16 v63, v71, v87, v63
	;;#ASMEND
	s_wait_dscnt 0x2
	;;#ASMSTART
	v_dot2_f32_f16 v15, v88, v72, v15
	;;#ASMEND
	;;#ASMSTART
	v_dot2_f32_f16 v15, v89, v73, v15
	;;#ASMEND
	;;#ASMSTART
	v_dot2_f32_f16 v15, v90, v74, v15
	;;#ASMEND
	;;#ASMSTART
	v_dot2_f32_f16 v15, v91, v75, v15
	;;#ASMEND
	;;#ASMSTART
	v_dot2_f32_f16 v18, v88, v76, v18
	;;#ASMEND
	;;#ASMSTART
	v_dot2_f32_f16 v18, v89, v77, v18
	;;#ASMEND
	;; [unrolled: 3-line block ×12, first 2 shown]
	s_wait_dscnt 0x1
	;;#ASMSTART
	v_dot2_f32_f16 v14, v92, v72, v14
	;;#ASMEND
	;;#ASMSTART
	v_dot2_f32_f16 v14, v93, v73, v14
	;;#ASMEND
	;; [unrolled: 3-line block ×16, first 2 shown]
	s_wait_dscnt 0x0
	;;#ASMSTART
	v_dot2_f32_f16 v10, v96, v72, v10
	;;#ASMEND
	;;#ASMSTART
	v_dot2_f32_f16 v10, v97, v73, v10
	;;#ASMEND
	;; [unrolled: 3-line block ×16, first 2 shown]
	ds_load_b128 v[68:71], v54 offset:48
	ds_load_b128 v[72:75], v35 offset:26672
	;; [unrolled: 1-line block ×8, first 2 shown]
	s_wait_dscnt 0x6
	;;#ASMSTART
	v_dot2_f32_f16 v66, v68, v72, v66
	;;#ASMEND
	;;#ASMSTART
	v_dot2_f32_f16 v66, v69, v73, v66
	;;#ASMEND
	;;#ASMSTART
	v_dot2_f32_f16 v66, v70, v74, v66
	;;#ASMEND
	;;#ASMSTART
	v_dot2_f32_f16 v66, v71, v75, v66
	;;#ASMEND
	s_wait_dscnt 0x5
	;;#ASMSTART
	v_dot2_f32_f16 v65, v68, v76, v65
	;;#ASMEND
	;;#ASMSTART
	v_dot2_f32_f16 v65, v69, v77, v65
	;;#ASMEND
	;;#ASMSTART
	v_dot2_f32_f16 v65, v70, v78, v65
	;;#ASMEND
	;;#ASMSTART
	v_dot2_f32_f16 v65, v71, v79, v65
	;;#ASMEND
	;; [unrolled: 13-line block ×5, first 2 shown]
	;;#ASMSTART
	v_dot2_f32_f16 v18, v88, v76, v18
	;;#ASMEND
	;;#ASMSTART
	v_dot2_f32_f16 v18, v89, v77, v18
	;;#ASMEND
	;; [unrolled: 3-line block ×12, first 2 shown]
	s_wait_dscnt 0x1
	;;#ASMSTART
	v_dot2_f32_f16 v14, v92, v72, v14
	;;#ASMEND
	;;#ASMSTART
	v_dot2_f32_f16 v14, v93, v73, v14
	;;#ASMEND
	;; [unrolled: 3-line block ×16, first 2 shown]
	s_wait_dscnt 0x0
	;;#ASMSTART
	v_dot2_f32_f16 v10, v96, v72, v10
	;;#ASMEND
	;;#ASMSTART
	v_dot2_f32_f16 v10, v97, v73, v10
	;;#ASMEND
	;; [unrolled: 3-line block ×16, first 2 shown]
	ds_load_b128 v[68:71], v54 offset:64
	ds_load_b128 v[72:75], v35 offset:26688
	;; [unrolled: 1-line block ×8, first 2 shown]
	s_wait_dscnt 0x6
	;;#ASMSTART
	v_dot2_f32_f16 v66, v68, v72, v66
	;;#ASMEND
	;;#ASMSTART
	v_dot2_f32_f16 v66, v69, v73, v66
	;;#ASMEND
	;;#ASMSTART
	v_dot2_f32_f16 v66, v70, v74, v66
	;;#ASMEND
	;;#ASMSTART
	v_dot2_f32_f16 v66, v71, v75, v66
	;;#ASMEND
	s_wait_dscnt 0x5
	;;#ASMSTART
	v_dot2_f32_f16 v65, v68, v76, v65
	;;#ASMEND
	;;#ASMSTART
	v_dot2_f32_f16 v65, v69, v77, v65
	;;#ASMEND
	;;#ASMSTART
	v_dot2_f32_f16 v65, v70, v78, v65
	;;#ASMEND
	;;#ASMSTART
	v_dot2_f32_f16 v65, v71, v79, v65
	;;#ASMEND
	;; [unrolled: 13-line block ×5, first 2 shown]
	;;#ASMSTART
	v_dot2_f32_f16 v18, v88, v76, v18
	;;#ASMEND
	;;#ASMSTART
	v_dot2_f32_f16 v18, v89, v77, v18
	;;#ASMEND
	;;#ASMSTART
	v_dot2_f32_f16 v18, v90, v78, v18
	;;#ASMEND
	;;#ASMSTART
	v_dot2_f32_f16 v18, v91, v79, v18
	;;#ASMEND
	;;#ASMSTART
	v_dot2_f32_f16 v61, v88, v80, v61
	;;#ASMEND
	;;#ASMSTART
	v_dot2_f32_f16 v61, v89, v81, v61
	;;#ASMEND
	;;#ASMSTART
	v_dot2_f32_f16 v61, v90, v82, v61
	;;#ASMEND
	;;#ASMSTART
	v_dot2_f32_f16 v61, v91, v83, v61
	;;#ASMEND
	;;#ASMSTART
	v_dot2_f32_f16 v60, v88, v84, v60
	;;#ASMEND
	;;#ASMSTART
	v_dot2_f32_f16 v60, v89, v85, v60
	;;#ASMEND
	;;#ASMSTART
	v_dot2_f32_f16 v60, v90, v86, v60
	;;#ASMEND
	;;#ASMSTART
	v_dot2_f32_f16 v60, v91, v87, v60
	;;#ASMEND
	s_wait_dscnt 0x1
	;;#ASMSTART
	v_dot2_f32_f16 v14, v92, v72, v14
	;;#ASMEND
	;;#ASMSTART
	v_dot2_f32_f16 v14, v93, v73, v14
	;;#ASMEND
	;; [unrolled: 3-line block ×16, first 2 shown]
	s_wait_dscnt 0x0
	;;#ASMSTART
	v_dot2_f32_f16 v10, v96, v72, v10
	;;#ASMEND
	;;#ASMSTART
	v_dot2_f32_f16 v10, v97, v73, v10
	;;#ASMEND
	;; [unrolled: 3-line block ×16, first 2 shown]
	ds_load_b128 v[68:71], v54 offset:80
	ds_load_b128 v[72:75], v35 offset:26704
	;; [unrolled: 1-line block ×8, first 2 shown]
	s_wait_dscnt 0x6
	;;#ASMSTART
	v_dot2_f32_f16 v66, v68, v72, v66
	;;#ASMEND
	;;#ASMSTART
	v_dot2_f32_f16 v66, v69, v73, v66
	;;#ASMEND
	;;#ASMSTART
	v_dot2_f32_f16 v66, v70, v74, v66
	;;#ASMEND
	;;#ASMSTART
	v_dot2_f32_f16 v66, v71, v75, v66
	;;#ASMEND
	s_wait_dscnt 0x5
	;;#ASMSTART
	v_dot2_f32_f16 v65, v68, v76, v65
	;;#ASMEND
	;;#ASMSTART
	v_dot2_f32_f16 v65, v69, v77, v65
	;;#ASMEND
	;;#ASMSTART
	v_dot2_f32_f16 v65, v70, v78, v65
	;;#ASMEND
	;;#ASMSTART
	v_dot2_f32_f16 v65, v71, v79, v65
	;;#ASMEND
	;; [unrolled: 13-line block ×5, first 2 shown]
	;;#ASMSTART
	v_dot2_f32_f16 v18, v88, v76, v18
	;;#ASMEND
	;;#ASMSTART
	v_dot2_f32_f16 v18, v89, v77, v18
	;;#ASMEND
	;; [unrolled: 3-line block ×12, first 2 shown]
	s_wait_dscnt 0x1
	;;#ASMSTART
	v_dot2_f32_f16 v14, v92, v72, v14
	;;#ASMEND
	;;#ASMSTART
	v_dot2_f32_f16 v14, v93, v73, v14
	;;#ASMEND
	;; [unrolled: 3-line block ×16, first 2 shown]
	s_wait_dscnt 0x0
	;;#ASMSTART
	v_dot2_f32_f16 v10, v96, v72, v10
	;;#ASMEND
	;;#ASMSTART
	v_dot2_f32_f16 v10, v97, v73, v10
	;;#ASMEND
	;; [unrolled: 3-line block ×16, first 2 shown]
	ds_load_b128 v[68:71], v54 offset:96
	ds_load_b128 v[72:75], v35 offset:26720
	ds_load_b128 v[76:79], v35 offset:26976
	ds_load_b128 v[80:83], v35 offset:27232
	ds_load_b128 v[84:87], v35 offset:27488
	ds_load_b128 v[88:91], v54 offset:4704
	ds_load_b128 v[92:95], v54 offset:9312
	ds_load_b128 v[96:99], v54 offset:13920
	s_wait_dscnt 0x6
	;;#ASMSTART
	v_dot2_f32_f16 v66, v68, v72, v66
	;;#ASMEND
	;;#ASMSTART
	v_dot2_f32_f16 v66, v69, v73, v66
	;;#ASMEND
	;;#ASMSTART
	v_dot2_f32_f16 v66, v70, v74, v66
	;;#ASMEND
	;;#ASMSTART
	v_dot2_f32_f16 v66, v71, v75, v66
	;;#ASMEND
	s_wait_dscnt 0x5
	;;#ASMSTART
	v_dot2_f32_f16 v65, v68, v76, v65
	;;#ASMEND
	;;#ASMSTART
	v_dot2_f32_f16 v65, v69, v77, v65
	;;#ASMEND
	;;#ASMSTART
	v_dot2_f32_f16 v65, v70, v78, v65
	;;#ASMEND
	;;#ASMSTART
	v_dot2_f32_f16 v65, v71, v79, v65
	;;#ASMEND
	;; [unrolled: 13-line block ×5, first 2 shown]
	;;#ASMSTART
	v_dot2_f32_f16 v18, v88, v76, v18
	;;#ASMEND
	;;#ASMSTART
	v_dot2_f32_f16 v18, v89, v77, v18
	;;#ASMEND
	;; [unrolled: 3-line block ×12, first 2 shown]
	s_wait_dscnt 0x1
	;;#ASMSTART
	v_dot2_f32_f16 v14, v92, v72, v14
	;;#ASMEND
	;;#ASMSTART
	v_dot2_f32_f16 v14, v93, v73, v14
	;;#ASMEND
	;; [unrolled: 3-line block ×16, first 2 shown]
	s_wait_dscnt 0x0
	;;#ASMSTART
	v_dot2_f32_f16 v10, v96, v72, v10
	;;#ASMEND
	;;#ASMSTART
	v_dot2_f32_f16 v10, v97, v73, v10
	;;#ASMEND
	;; [unrolled: 3-line block ×16, first 2 shown]
	ds_load_b128 v[68:71], v54 offset:112
	ds_load_b128 v[72:75], v35 offset:26736
	;; [unrolled: 1-line block ×8, first 2 shown]
	s_wait_dscnt 0x6
	;;#ASMSTART
	v_dot2_f32_f16 v66, v68, v72, v66
	;;#ASMEND
	;;#ASMSTART
	v_dot2_f32_f16 v66, v69, v73, v66
	;;#ASMEND
	;;#ASMSTART
	v_dot2_f32_f16 v66, v70, v74, v66
	;;#ASMEND
	;;#ASMSTART
	v_dot2_f32_f16 v66, v71, v75, v66
	;;#ASMEND
	s_wait_dscnt 0x5
	;;#ASMSTART
	v_dot2_f32_f16 v65, v68, v76, v65
	;;#ASMEND
	;;#ASMSTART
	v_dot2_f32_f16 v65, v69, v77, v65
	;;#ASMEND
	;;#ASMSTART
	v_dot2_f32_f16 v65, v70, v78, v65
	;;#ASMEND
	;;#ASMSTART
	v_dot2_f32_f16 v65, v71, v79, v65
	;;#ASMEND
	;; [unrolled: 13-line block ×5, first 2 shown]
	;;#ASMSTART
	v_dot2_f32_f16 v18, v88, v76, v18
	;;#ASMEND
	;;#ASMSTART
	v_dot2_f32_f16 v18, v89, v77, v18
	;;#ASMEND
	;; [unrolled: 3-line block ×12, first 2 shown]
	s_wait_dscnt 0x1
	;;#ASMSTART
	v_dot2_f32_f16 v14, v92, v72, v14
	;;#ASMEND
	;;#ASMSTART
	v_dot2_f32_f16 v14, v93, v73, v14
	;;#ASMEND
	;; [unrolled: 3-line block ×16, first 2 shown]
	s_wait_dscnt 0x0
	;;#ASMSTART
	v_dot2_f32_f16 v10, v96, v72, v10
	;;#ASMEND
	;;#ASMSTART
	v_dot2_f32_f16 v10, v97, v73, v10
	;;#ASMEND
	;; [unrolled: 3-line block ×16, first 2 shown]
	s_wait_loadcnt 0x0
	s_barrier_signal -1
	s_barrier_wait -1
	global_inv scope:SCOPE_SE
	s_clause 0x1
	scratch_store_b32 off, v19, off
	scratch_store_b96 off, v[4:6], off offset:4
	flat_load_b128 v[67:70], v[100:101]
	s_clause 0x1
	scratch_store_b32 off, v19, off
	scratch_store_b96 off, v[4:6], off offset:4
	s_wait_loadcnt_dscnt 0x0
	ds_store_b128 v7, v[67:70]
	flat_load_b128 v[67:70], v[8:9]
	v_add_co_u32 v8, vcc_lo, 0x80, v55
	s_wait_alu 0xfffd
	v_add_co_ci_u32_e64 v9, null, 0, v56, vcc_lo
	s_clause 0x1
	scratch_store_b32 off, v19, off
	scratch_store_b96 off, v[4:6], off offset:4
	v_cndmask_b32_e64 v8, 0, v8, s2
	v_cndmask_b32_e64 v9, s7, v9, s2
	v_cmp_gt_i32_e64 s2, s29, v33
	s_wait_loadcnt_dscnt 0x0
	ds_store_b128 v7, v[67:70] offset:4608
	flat_load_b128 v[67:70], v[8:9]
	v_add_co_u32 v8, vcc_lo, 0x80, v57
	s_wait_alu 0xfffd
	v_add_co_ci_u32_e64 v9, null, 0, v58, vcc_lo
	s_clause 0x1
	scratch_store_b32 off, v19, off
	scratch_store_b96 off, v[4:6], off offset:4
	v_cndmask_b32_e64 v8, 0, v8, s3
	v_cndmask_b32_e64 v9, s7, v9, s3
	s_cselect_b32 s3, -1, 0
	s_wait_loadcnt_dscnt 0x0
	ds_store_b128 v7, v[67:70] offset:9216
	flat_load_b128 v[55:58], v[8:9]
	v_mad_co_u64_u32 v[8:9], null, v53, s30, s[24:25]
	s_wait_alu 0xfffe
	v_cndmask_b32_e64 v53, 0, 1, s3
	s_wait_loadcnt_dscnt 0x0
	ds_store_b128 v7, v[55:58] offset:13824
	s_wait_storecnt_dscnt 0x0
	s_barrier_signal -1
	s_barrier_wait -1
	global_inv scope:SCOPE_SE
	ds_load_b128 v[4:7], v54
	ds_load_b128 v[55:58], v35 offset:26752
	ds_load_b128 v[67:70], v35 offset:27008
	ds_load_b128 v[71:74], v35 offset:27264
	ds_load_b128 v[75:78], v35 offset:27520
	ds_load_b128 v[79:82], v54 offset:4608
	ds_load_b128 v[83:86], v54 offset:9216
	ds_load_b128 v[87:90], v54 offset:13824
	s_wait_dscnt 0x6
	;;#ASMSTART
	v_dot2_f32_f16 v66, v4, v55, v66
	;;#ASMEND
	;;#ASMSTART
	v_dot2_f32_f16 v66, v5, v56, v66
	;;#ASMEND
	;;#ASMSTART
	v_dot2_f32_f16 v66, v6, v57, v66
	;;#ASMEND
	;;#ASMSTART
	v_dot2_f32_f16 v66, v7, v58, v66
	;;#ASMEND
	s_wait_dscnt 0x5
	;;#ASMSTART
	v_dot2_f32_f16 v65, v4, v67, v65
	;;#ASMEND
	;;#ASMSTART
	v_dot2_f32_f16 v65, v5, v68, v65
	;;#ASMEND
	;;#ASMSTART
	v_dot2_f32_f16 v65, v6, v69, v65
	;;#ASMEND
	;;#ASMSTART
	v_dot2_f32_f16 v65, v7, v70, v65
	;;#ASMEND
	;; [unrolled: 13-line block ×5, first 2 shown]
	;;#ASMSTART
	v_dot2_f32_f16 v18, v79, v67, v18
	;;#ASMEND
	;;#ASMSTART
	v_dot2_f32_f16 v18, v80, v68, v18
	;;#ASMEND
	;; [unrolled: 3-line block ×12, first 2 shown]
	s_wait_dscnt 0x1
	;;#ASMSTART
	v_dot2_f32_f16 v14, v83, v55, v14
	;;#ASMEND
	;;#ASMSTART
	v_dot2_f32_f16 v14, v84, v56, v14
	;;#ASMEND
	;; [unrolled: 3-line block ×16, first 2 shown]
	s_wait_dscnt 0x0
	;;#ASMSTART
	v_dot2_f32_f16 v10, v87, v55, v10
	;;#ASMEND
	;;#ASMSTART
	v_dot2_f32_f16 v10, v88, v56, v10
	;;#ASMEND
	;; [unrolled: 3-line block ×16, first 2 shown]
	ds_load_b128 v[4:7], v54 offset:16
	ds_load_b128 v[55:58], v35 offset:26768
	;; [unrolled: 1-line block ×8, first 2 shown]
	s_wait_dscnt 0x6
	;;#ASMSTART
	v_dot2_f32_f16 v66, v4, v55, v66
	;;#ASMEND
	;;#ASMSTART
	v_dot2_f32_f16 v66, v5, v56, v66
	;;#ASMEND
	;;#ASMSTART
	v_dot2_f32_f16 v66, v6, v57, v66
	;;#ASMEND
	;;#ASMSTART
	v_dot2_f32_f16 v66, v7, v58, v66
	;;#ASMEND
	s_wait_dscnt 0x5
	;;#ASMSTART
	v_dot2_f32_f16 v65, v4, v67, v65
	;;#ASMEND
	;;#ASMSTART
	v_dot2_f32_f16 v65, v5, v68, v65
	;;#ASMEND
	;;#ASMSTART
	v_dot2_f32_f16 v65, v6, v69, v65
	;;#ASMEND
	;;#ASMSTART
	v_dot2_f32_f16 v65, v7, v70, v65
	;;#ASMEND
	;; [unrolled: 13-line block ×5, first 2 shown]
	;;#ASMSTART
	v_dot2_f32_f16 v18, v79, v67, v18
	;;#ASMEND
	;;#ASMSTART
	v_dot2_f32_f16 v18, v80, v68, v18
	;;#ASMEND
	;; [unrolled: 3-line block ×12, first 2 shown]
	s_wait_dscnt 0x1
	;;#ASMSTART
	v_dot2_f32_f16 v14, v83, v55, v14
	;;#ASMEND
	;;#ASMSTART
	v_dot2_f32_f16 v14, v84, v56, v14
	;;#ASMEND
	;; [unrolled: 3-line block ×16, first 2 shown]
	s_wait_dscnt 0x0
	;;#ASMSTART
	v_dot2_f32_f16 v10, v87, v55, v10
	;;#ASMEND
	;;#ASMSTART
	v_dot2_f32_f16 v10, v88, v56, v10
	;;#ASMEND
	;;#ASMSTART
	v_dot2_f32_f16 v10, v89, v57, v10
	;;#ASMEND
	;;#ASMSTART
	v_dot2_f32_f16 v10, v90, v58, v10
	;;#ASMEND
	;;#ASMSTART
	v_dot2_f32_f16 v12, v87, v67, v12
	;;#ASMEND
	;;#ASMSTART
	v_dot2_f32_f16 v12, v88, v68, v12
	;;#ASMEND
	;;#ASMSTART
	v_dot2_f32_f16 v12, v89, v69, v12
	;;#ASMEND
	;;#ASMSTART
	v_dot2_f32_f16 v12, v90, v70, v12
	;;#ASMEND
	;;#ASMSTART
	v_dot2_f32_f16 v11, v87, v71, v11
	;;#ASMEND
	;;#ASMSTART
	v_dot2_f32_f16 v11, v88, v72, v11
	;;#ASMEND
	;;#ASMSTART
	v_dot2_f32_f16 v11, v89, v73, v11
	;;#ASMEND
	;;#ASMSTART
	v_dot2_f32_f16 v11, v90, v74, v11
	;;#ASMEND
	;;#ASMSTART
	v_dot2_f32_f16 v13, v87, v75, v13
	;;#ASMEND
	;;#ASMSTART
	v_dot2_f32_f16 v13, v88, v76, v13
	;;#ASMEND
	;;#ASMSTART
	v_dot2_f32_f16 v13, v89, v77, v13
	;;#ASMEND
	;;#ASMSTART
	v_dot2_f32_f16 v13, v90, v78, v13
	;;#ASMEND
	ds_load_b128 v[4:7], v54 offset:32
	ds_load_b128 v[55:58], v35 offset:26784
	;; [unrolled: 1-line block ×8, first 2 shown]
	s_wait_dscnt 0x6
	;;#ASMSTART
	v_dot2_f32_f16 v66, v4, v55, v66
	;;#ASMEND
	;;#ASMSTART
	v_dot2_f32_f16 v66, v5, v56, v66
	;;#ASMEND
	;;#ASMSTART
	v_dot2_f32_f16 v66, v6, v57, v66
	;;#ASMEND
	;;#ASMSTART
	v_dot2_f32_f16 v66, v7, v58, v66
	;;#ASMEND
	s_wait_dscnt 0x5
	;;#ASMSTART
	v_dot2_f32_f16 v65, v4, v67, v65
	;;#ASMEND
	;;#ASMSTART
	v_dot2_f32_f16 v65, v5, v68, v65
	;;#ASMEND
	;;#ASMSTART
	v_dot2_f32_f16 v65, v6, v69, v65
	;;#ASMEND
	;;#ASMSTART
	v_dot2_f32_f16 v65, v7, v70, v65
	;;#ASMEND
	;; [unrolled: 13-line block ×5, first 2 shown]
	;;#ASMSTART
	v_dot2_f32_f16 v18, v79, v67, v18
	;;#ASMEND
	;;#ASMSTART
	v_dot2_f32_f16 v18, v80, v68, v18
	;;#ASMEND
	;; [unrolled: 3-line block ×12, first 2 shown]
	s_wait_dscnt 0x1
	;;#ASMSTART
	v_dot2_f32_f16 v14, v83, v55, v14
	;;#ASMEND
	;;#ASMSTART
	v_dot2_f32_f16 v14, v84, v56, v14
	;;#ASMEND
	;; [unrolled: 3-line block ×16, first 2 shown]
	s_wait_dscnt 0x0
	;;#ASMSTART
	v_dot2_f32_f16 v10, v87, v55, v10
	;;#ASMEND
	;;#ASMSTART
	v_dot2_f32_f16 v10, v88, v56, v10
	;;#ASMEND
	;; [unrolled: 3-line block ×16, first 2 shown]
	ds_load_b128 v[4:7], v54 offset:48
	ds_load_b128 v[55:58], v35 offset:26800
	;; [unrolled: 1-line block ×8, first 2 shown]
	s_wait_dscnt 0x6
	;;#ASMSTART
	v_dot2_f32_f16 v66, v4, v55, v66
	;;#ASMEND
	;;#ASMSTART
	v_dot2_f32_f16 v66, v5, v56, v66
	;;#ASMEND
	;;#ASMSTART
	v_dot2_f32_f16 v66, v6, v57, v66
	;;#ASMEND
	;;#ASMSTART
	v_dot2_f32_f16 v66, v7, v58, v66
	;;#ASMEND
	s_wait_dscnt 0x5
	;;#ASMSTART
	v_dot2_f32_f16 v65, v4, v67, v65
	;;#ASMEND
	;;#ASMSTART
	v_dot2_f32_f16 v65, v5, v68, v65
	;;#ASMEND
	;;#ASMSTART
	v_dot2_f32_f16 v65, v6, v69, v65
	;;#ASMEND
	;;#ASMSTART
	v_dot2_f32_f16 v65, v7, v70, v65
	;;#ASMEND
	;; [unrolled: 13-line block ×5, first 2 shown]
	;;#ASMSTART
	v_dot2_f32_f16 v18, v79, v67, v18
	;;#ASMEND
	;;#ASMSTART
	v_dot2_f32_f16 v18, v80, v68, v18
	;;#ASMEND
	;; [unrolled: 3-line block ×12, first 2 shown]
	s_wait_dscnt 0x1
	;;#ASMSTART
	v_dot2_f32_f16 v14, v83, v55, v14
	;;#ASMEND
	;;#ASMSTART
	v_dot2_f32_f16 v14, v84, v56, v14
	;;#ASMEND
	;; [unrolled: 3-line block ×16, first 2 shown]
	s_wait_dscnt 0x0
	;;#ASMSTART
	v_dot2_f32_f16 v10, v87, v55, v10
	;;#ASMEND
	;;#ASMSTART
	v_dot2_f32_f16 v10, v88, v56, v10
	;;#ASMEND
	;; [unrolled: 3-line block ×16, first 2 shown]
	ds_load_b128 v[4:7], v54 offset:64
	ds_load_b128 v[55:58], v35 offset:26816
	ds_load_b128 v[67:70], v35 offset:27072
	ds_load_b128 v[71:74], v35 offset:27328
	ds_load_b128 v[75:78], v35 offset:27584
	ds_load_b128 v[79:82], v54 offset:4672
	ds_load_b128 v[83:86], v54 offset:9280
	ds_load_b128 v[87:90], v54 offset:13888
	s_wait_dscnt 0x6
	;;#ASMSTART
	v_dot2_f32_f16 v66, v4, v55, v66
	;;#ASMEND
	;;#ASMSTART
	v_dot2_f32_f16 v66, v5, v56, v66
	;;#ASMEND
	;;#ASMSTART
	v_dot2_f32_f16 v66, v6, v57, v66
	;;#ASMEND
	;;#ASMSTART
	v_dot2_f32_f16 v66, v7, v58, v66
	;;#ASMEND
	s_wait_dscnt 0x5
	;;#ASMSTART
	v_dot2_f32_f16 v65, v4, v67, v65
	;;#ASMEND
	;;#ASMSTART
	v_dot2_f32_f16 v65, v5, v68, v65
	;;#ASMEND
	;;#ASMSTART
	v_dot2_f32_f16 v65, v6, v69, v65
	;;#ASMEND
	;;#ASMSTART
	v_dot2_f32_f16 v65, v7, v70, v65
	;;#ASMEND
	;; [unrolled: 13-line block ×5, first 2 shown]
	;;#ASMSTART
	v_dot2_f32_f16 v18, v79, v67, v18
	;;#ASMEND
	;;#ASMSTART
	v_dot2_f32_f16 v18, v80, v68, v18
	;;#ASMEND
	;; [unrolled: 3-line block ×12, first 2 shown]
	s_wait_dscnt 0x1
	;;#ASMSTART
	v_dot2_f32_f16 v14, v83, v55, v14
	;;#ASMEND
	;;#ASMSTART
	v_dot2_f32_f16 v14, v84, v56, v14
	;;#ASMEND
	;; [unrolled: 3-line block ×16, first 2 shown]
	s_wait_dscnt 0x0
	;;#ASMSTART
	v_dot2_f32_f16 v10, v87, v55, v10
	;;#ASMEND
	;;#ASMSTART
	v_dot2_f32_f16 v10, v88, v56, v10
	;;#ASMEND
	;; [unrolled: 3-line block ×16, first 2 shown]
	ds_load_b128 v[4:7], v54 offset:80
	ds_load_b128 v[55:58], v35 offset:26832
	;; [unrolled: 1-line block ×8, first 2 shown]
	s_wait_dscnt 0x6
	;;#ASMSTART
	v_dot2_f32_f16 v66, v4, v55, v66
	;;#ASMEND
	;;#ASMSTART
	v_dot2_f32_f16 v66, v5, v56, v66
	;;#ASMEND
	;;#ASMSTART
	v_dot2_f32_f16 v66, v6, v57, v66
	;;#ASMEND
	;;#ASMSTART
	v_dot2_f32_f16 v66, v7, v58, v66
	;;#ASMEND
	s_wait_dscnt 0x5
	;;#ASMSTART
	v_dot2_f32_f16 v65, v4, v67, v65
	;;#ASMEND
	;;#ASMSTART
	v_dot2_f32_f16 v65, v5, v68, v65
	;;#ASMEND
	;;#ASMSTART
	v_dot2_f32_f16 v65, v6, v69, v65
	;;#ASMEND
	;;#ASMSTART
	v_dot2_f32_f16 v65, v7, v70, v65
	;;#ASMEND
	;; [unrolled: 13-line block ×5, first 2 shown]
	;;#ASMSTART
	v_dot2_f32_f16 v18, v79, v67, v18
	;;#ASMEND
	;;#ASMSTART
	v_dot2_f32_f16 v18, v80, v68, v18
	;;#ASMEND
	;; [unrolled: 3-line block ×12, first 2 shown]
	s_wait_dscnt 0x1
	;;#ASMSTART
	v_dot2_f32_f16 v14, v83, v55, v14
	;;#ASMEND
	;;#ASMSTART
	v_dot2_f32_f16 v14, v84, v56, v14
	;;#ASMEND
	;; [unrolled: 3-line block ×16, first 2 shown]
	s_wait_dscnt 0x0
	;;#ASMSTART
	v_dot2_f32_f16 v10, v87, v55, v10
	;;#ASMEND
	;;#ASMSTART
	v_dot2_f32_f16 v10, v88, v56, v10
	;;#ASMEND
	;; [unrolled: 3-line block ×16, first 2 shown]
	ds_load_b128 v[4:7], v54 offset:96
	ds_load_b128 v[55:58], v35 offset:26848
	;; [unrolled: 1-line block ×8, first 2 shown]
	s_wait_dscnt 0x6
	;;#ASMSTART
	v_dot2_f32_f16 v66, v4, v55, v66
	;;#ASMEND
	;;#ASMSTART
	v_dot2_f32_f16 v66, v5, v56, v66
	;;#ASMEND
	;;#ASMSTART
	v_dot2_f32_f16 v66, v6, v57, v66
	;;#ASMEND
	;;#ASMSTART
	v_dot2_f32_f16 v66, v7, v58, v66
	;;#ASMEND
	s_wait_dscnt 0x5
	;;#ASMSTART
	v_dot2_f32_f16 v65, v4, v67, v65
	;;#ASMEND
	;;#ASMSTART
	v_dot2_f32_f16 v65, v5, v68, v65
	;;#ASMEND
	;;#ASMSTART
	v_dot2_f32_f16 v65, v6, v69, v65
	;;#ASMEND
	;;#ASMSTART
	v_dot2_f32_f16 v65, v7, v70, v65
	;;#ASMEND
	;; [unrolled: 13-line block ×5, first 2 shown]
	;;#ASMSTART
	v_dot2_f32_f16 v18, v79, v67, v18
	;;#ASMEND
	;;#ASMSTART
	v_dot2_f32_f16 v18, v80, v68, v18
	;;#ASMEND
	;; [unrolled: 3-line block ×12, first 2 shown]
	s_wait_dscnt 0x1
	;;#ASMSTART
	v_dot2_f32_f16 v14, v83, v55, v14
	;;#ASMEND
	;;#ASMSTART
	v_dot2_f32_f16 v14, v84, v56, v14
	;;#ASMEND
	;; [unrolled: 3-line block ×16, first 2 shown]
	s_wait_dscnt 0x0
	;;#ASMSTART
	v_dot2_f32_f16 v10, v87, v55, v10
	;;#ASMEND
	;;#ASMSTART
	v_dot2_f32_f16 v10, v88, v56, v10
	;;#ASMEND
	;; [unrolled: 3-line block ×16, first 2 shown]
	ds_load_b128 v[55:58], v54 offset:112
	ds_load_b128 v[67:70], v35 offset:26864
	;; [unrolled: 1-line block ×8, first 2 shown]
	s_wait_dscnt 0x6
	;;#ASMSTART
	v_dot2_f32_f16 v66, v55, v67, v66
	;;#ASMEND
	;;#ASMSTART
	v_dot2_f32_f16 v66, v56, v68, v66
	;;#ASMEND
	;;#ASMSTART
	v_dot2_f32_f16 v66, v57, v69, v66
	;;#ASMEND
	;;#ASMSTART
	v_dot2_f32_f16 v66, v58, v70, v66
	;;#ASMEND
	s_wait_dscnt 0x5
	;;#ASMSTART
	v_dot2_f32_f16 v65, v55, v71, v65
	;;#ASMEND
	;;#ASMSTART
	v_dot2_f32_f16 v65, v56, v72, v65
	;;#ASMEND
	;;#ASMSTART
	v_dot2_f32_f16 v65, v57, v73, v65
	;;#ASMEND
	;;#ASMSTART
	v_dot2_f32_f16 v65, v58, v74, v65
	;;#ASMEND
	;; [unrolled: 13-line block ×5, first 2 shown]
	;;#ASMSTART
	v_dot2_f32_f16 v18, v83, v71, v18
	;;#ASMEND
	;;#ASMSTART
	v_dot2_f32_f16 v18, v84, v72, v18
	;;#ASMEND
	;; [unrolled: 3-line block ×12, first 2 shown]
	s_wait_dscnt 0x1
	;;#ASMSTART
	v_dot2_f32_f16 v14, v87, v67, v14
	;;#ASMEND
	;;#ASMSTART
	v_dot2_f32_f16 v14, v88, v68, v14
	;;#ASMEND
	;; [unrolled: 3-line block ×16, first 2 shown]
	s_wait_dscnt 0x0
	;;#ASMSTART
	v_dot2_f32_f16 v10, v91, v67, v10
	;;#ASMEND
	;;#ASMSTART
	v_dot2_f32_f16 v10, v92, v68, v10
	;;#ASMEND
	;; [unrolled: 3-line block ×7, first 2 shown]
	v_mov_b32_e32 v7, v3
	;;#ASMSTART
	v_dot2_f32_f16 v12, v94, v74, v12
	;;#ASMEND
	;;#ASMSTART
	v_dot2_f32_f16 v11, v91, v75, v11
	;;#ASMEND
	v_dual_mov_b32 v6, v2 :: v_dual_mov_b32 v5, v1
	v_mov_b32_e32 v4, v0
	;;#ASMSTART
	v_dot2_f32_f16 v11, v92, v76, v11
	;;#ASMEND
	;;#ASMSTART
	v_dot2_f32_f16 v11, v93, v77, v11
	;;#ASMEND
	;; [unrolled: 3-line block ×7, first 2 shown]
	s_and_saveexec_b32 s4, s2
	s_cbranch_execz .LBB56_52
; %bb.49:
	s_and_not1_b32 vcc_lo, exec_lo, s3
	s_wait_alu 0xfffe
	s_cbranch_vccnz .LBB56_51
; %bb.50:
	v_add_nc_u32_e32 v4, v8, v33
	s_delay_alu instid0(VALU_DEP_1) | instskip(NEXT) | instid1(VALU_DEP_1)
	v_ashrrev_i32_e32 v5, 31, v4
	v_lshlrev_b64_e32 v[4:5], 1, v[4:5]
	s_delay_alu instid0(VALU_DEP_1) | instskip(SKIP_1) | instid1(VALU_DEP_2)
	v_add_co_u32 v4, vcc_lo, s38, v4
	s_wait_alu 0xfffd
	v_add_co_ci_u32_e64 v5, null, s39, v5, vcc_lo
	global_load_u16 v4, v[4:5], off
	s_wait_loadcnt 0x0
	v_cvt_f32_f16_e32 v4, v4
	s_delay_alu instid0(VALU_DEP_1)
	v_mul_f32_e32 v19, v48, v4
.LBB56_51:
	s_delay_alu instid0(VALU_DEP_1) | instskip(NEXT) | instid1(VALU_DEP_1)
	v_dual_add_f32 v66, v66, v19 :: v_dual_max_num_f32 v5, v0, v0
	v_add_f32_e32 v4, 0x40051340, v66
	s_delay_alu instid0(VALU_DEP_1) | instskip(SKIP_2) | instid1(VALU_DEP_3)
	v_max_num_f32_e32 v9, v5, v4
	v_dual_mov_b32 v7, v3 :: v_dual_mov_b32 v4, v0
	v_dual_mov_b32 v6, v2 :: v_dual_mov_b32 v5, v1
	v_mov_b32_e32 v4, v9
.LBB56_52:
	s_wait_alu 0xfffe
	s_or_b32 exec_lo, exec_lo, s4
	v_add_nc_u32_e32 v68, 32, v33
	s_delay_alu instid0(VALU_DEP_1)
	v_cmp_gt_i32_e64 s3, s29, v68
	s_and_saveexec_b32 s4, s3
	s_cbranch_execz .LBB56_57
; %bb.53:
	v_cmp_ne_u32_e32 vcc_lo, 1, v53
	s_cbranch_vccnz .LBB56_55
; %bb.54:
	v_ashrrev_i32_e32 v9, 31, v8
	v_add_co_u32 v54, vcc_lo, v8, v33
	s_wait_alu 0xfffd
	s_delay_alu instid0(VALU_DEP_2) | instskip(NEXT) | instid1(VALU_DEP_1)
	v_add_co_ci_u32_e64 v55, null, 0, v9, vcc_lo
	v_lshlrev_b64_e32 v[54:55], 1, v[54:55]
	s_delay_alu instid0(VALU_DEP_1) | instskip(SKIP_1) | instid1(VALU_DEP_2)
	v_add_co_u32 v54, vcc_lo, s38, v54
	s_wait_alu 0xfffd
	v_add_co_ci_u32_e64 v55, null, s39, v55, vcc_lo
	global_load_u16 v9, v[54:55], off offset:64
	s_wait_loadcnt 0x0
	v_cvt_f32_f16_e32 v9, v9
	s_delay_alu instid0(VALU_DEP_1)
	v_mul_f32_e32 v9, v48, v9
	s_branch .LBB56_56
.LBB56_55:
	v_mov_b32_e32 v9, 0
.LBB56_56:
	s_delay_alu instid0(VALU_DEP_1) | instskip(NEXT) | instid1(VALU_DEP_1)
	v_dual_add_f32 v15, v15, v9 :: v_dual_max_num_f32 v4, v4, v4
	v_add_f32_e32 v9, 0x40051340, v15
	s_delay_alu instid0(VALU_DEP_1)
	v_max_num_f32_e32 v4, v4, v9
.LBB56_57:
	s_wait_alu 0xfffe
	s_or_b32 exec_lo, exec_lo, s4
	v_add_nc_u32_e32 v67, 64, v33
	s_delay_alu instid0(VALU_DEP_1)
	v_cmp_gt_i32_e64 s4, s29, v67
	s_and_saveexec_b32 s5, s4
	s_cbranch_execz .LBB56_62
; %bb.58:
	v_cmp_ne_u32_e32 vcc_lo, 1, v53
	s_cbranch_vccnz .LBB56_60
; %bb.59:
	v_ashrrev_i32_e32 v9, 31, v8
	v_add_co_u32 v54, vcc_lo, v8, v33
	s_wait_alu 0xfffd
	s_delay_alu instid0(VALU_DEP_2) | instskip(NEXT) | instid1(VALU_DEP_1)
	v_add_co_ci_u32_e64 v55, null, 0, v9, vcc_lo
	v_lshlrev_b64_e32 v[54:55], 1, v[54:55]
	s_delay_alu instid0(VALU_DEP_1) | instskip(SKIP_1) | instid1(VALU_DEP_2)
	v_add_co_u32 v54, vcc_lo, s38, v54
	s_wait_alu 0xfffd
	v_add_co_ci_u32_e64 v55, null, s39, v55, vcc_lo
	global_load_u16 v9, v[54:55], off offset:128
	s_wait_loadcnt 0x0
	v_cvt_f32_f16_e32 v9, v9
	s_delay_alu instid0(VALU_DEP_1)
	v_mul_f32_e32 v9, v48, v9
	s_branch .LBB56_61
.LBB56_60:
	v_mov_b32_e32 v9, 0
.LBB56_61:
	s_delay_alu instid0(VALU_DEP_1) | instskip(NEXT) | instid1(VALU_DEP_1)
	v_add_f32_e32 v14, v14, v9
	v_dual_max_num_f32 v4, v4, v4 :: v_dual_add_f32 v9, 0x40051340, v14
	s_delay_alu instid0(VALU_DEP_1)
	v_max_num_f32_e32 v4, v4, v9
.LBB56_62:
	s_wait_alu 0xfffe
	s_or_b32 exec_lo, exec_lo, s5
	v_add_nc_u32_e32 v70, 0x60, v33
	s_delay_alu instid0(VALU_DEP_1)
	v_cmp_gt_i32_e64 s5, s29, v70
	s_and_saveexec_b32 s6, s5
	s_cbranch_execz .LBB56_67
; %bb.63:
	v_cmp_ne_u32_e32 vcc_lo, 1, v53
	s_cbranch_vccnz .LBB56_65
; %bb.64:
	v_ashrrev_i32_e32 v9, 31, v8
	v_add_co_u32 v8, vcc_lo, v8, v33
	s_wait_alu 0xfffd
	s_delay_alu instid0(VALU_DEP_2) | instskip(NEXT) | instid1(VALU_DEP_1)
	v_add_co_ci_u32_e64 v9, null, 0, v9, vcc_lo
	v_lshlrev_b64_e32 v[8:9], 1, v[8:9]
	s_delay_alu instid0(VALU_DEP_1) | instskip(SKIP_1) | instid1(VALU_DEP_2)
	v_add_co_u32 v8, vcc_lo, s38, v8
	s_wait_alu 0xfffd
	v_add_co_ci_u32_e64 v9, null, s39, v9, vcc_lo
	global_load_u16 v8, v[8:9], off offset:192
	s_wait_loadcnt 0x0
	v_cvt_f32_f16_e32 v8, v8
	s_delay_alu instid0(VALU_DEP_1)
	v_mul_f32_e32 v8, v48, v8
	s_branch .LBB56_66
.LBB56_65:
	v_mov_b32_e32 v8, 0
.LBB56_66:
	s_delay_alu instid0(VALU_DEP_1) | instskip(SKIP_1) | instid1(VALU_DEP_2)
	v_add_f32_e32 v10, v10, v8
	v_max_num_f32_e32 v4, v4, v4
	v_add_f32_e32 v8, 0x40051340, v10
	s_delay_alu instid0(VALU_DEP_1)
	v_max_num_f32_e32 v4, v4, v8
.LBB56_67:
	s_wait_alu 0xfffe
	s_or_b32 exec_lo, exec_lo, s6
	v_xor_b32_e32 v59, 16, v34
	v_xor_b32_e32 v57, 8, v34
	;; [unrolled: 1-line block ×4, first 2 shown]
	v_mul_hi_u32 v58, s20, v52
	v_cmp_gt_i32_e32 vcc_lo, 32, v59
	v_xor_b32_e32 v19, 1, v34
	s_wait_alu 0xfffd
	v_cndmask_b32_e32 v8, v34, v59, vcc_lo
	v_cmp_gt_i32_e32 vcc_lo, 32, v57
	s_wait_alu 0xfffd
	v_cndmask_b32_e32 v9, v34, v57, vcc_lo
	v_cmp_gt_i32_e32 vcc_lo, 32, v56
	s_delay_alu instid0(VALU_DEP_2) | instskip(SKIP_4) | instid1(VALU_DEP_3)
	v_lshlrev_b32_e32 v69, 2, v9
	s_wait_alu 0xfffd
	v_cndmask_b32_e32 v9, v34, v56, vcc_lo
	v_cmp_gt_i32_e32 vcc_lo, 32, v55
	v_lshlrev_b32_e32 v54, 2, v8
	v_lshlrev_b32_e32 v71, 2, v9
	s_wait_alu 0xfffd
	v_cndmask_b32_e32 v9, v34, v55, vcc_lo
	ds_bpermute_b32 v8, v54, v4
	v_cmp_gt_i32_e32 vcc_lo, 32, v19
	v_max_num_f32_e32 v4, v4, v4
	s_wait_alu 0xfffd
	v_dual_cndmask_b32 v9, v34, v19 :: v_dual_lshlrev_b32 v72, 2, v9
	s_wait_dscnt 0x0
	s_delay_alu instid0(VALU_DEP_1) | instskip(NEXT) | instid1(VALU_DEP_1)
	v_dual_max_num_f32 v8, v8, v8 :: v_dual_lshlrev_b32 v73, 2, v9
	v_max_num_f32_e32 v4, v4, v8
	ds_bpermute_b32 v8, v69, v4
	s_wait_dscnt 0x0
	v_max_num_f32_e32 v8, v8, v8
	s_delay_alu instid0(VALU_DEP_1) | instskip(SKIP_3) | instid1(VALU_DEP_1)
	v_max_num_f32_e32 v4, v4, v8
	ds_bpermute_b32 v8, v71, v4
	s_wait_dscnt 0x0
	v_max_num_f32_e32 v8, v8, v8
	v_max_num_f32_e32 v4, v4, v8
	ds_bpermute_b32 v8, v72, v4
	s_wait_dscnt 0x0
	v_max_num_f32_e32 v8, v8, v8
	s_delay_alu instid0(VALU_DEP_1) | instskip(SKIP_4) | instid1(VALU_DEP_1)
	v_max_num_f32_e32 v4, v4, v8
	v_add_nc_u32_e32 v8, v52, v58
	v_mov_b32_e32 v58, 32
	ds_bpermute_b32 v9, v73, v4
	v_lshrrev_b32_e32 v8, s21, v8
	v_mul_lo_u32 v8, v8, s22
	s_delay_alu instid0(VALU_DEP_1) | instskip(SKIP_2) | instid1(VALU_DEP_2)
	v_sub_nc_u32_e32 v8, v52, v8
	s_wait_dscnt 0x0
	v_max_num_f32_e32 v52, v9, v9
	v_mad_co_u64_u32 v[8:9], null, v8, s30, s[24:25]
	s_delay_alu instid0(VALU_DEP_2)
	v_max_num_f32_e32 v4, v4, v52
	s_and_saveexec_b32 s6, s2
	s_cbranch_execnz .LBB56_71
; %bb.68:
	s_wait_alu 0xfffe
	s_or_b32 exec_lo, exec_lo, s6
	s_and_saveexec_b32 s6, s3
	s_cbranch_execnz .LBB56_75
.LBB56_69:
	s_wait_alu 0xfffe
	s_or_b32 exec_lo, exec_lo, s6
	s_and_saveexec_b32 s6, s4
	s_cbranch_execnz .LBB56_79
.LBB56_70:
	s_wait_alu 0xfffe
	s_or_b32 exec_lo, exec_lo, s6
	s_and_saveexec_b32 s6, s5
	s_cbranch_execnz .LBB56_83
	s_branch .LBB56_87
.LBB56_71:
	v_cmp_ne_u32_e32 vcc_lo, 1, v53
	s_cbranch_vccnz .LBB56_73
; %bb.72:
	s_delay_alu instid0(VALU_DEP_3) | instskip(NEXT) | instid1(VALU_DEP_1)
	v_add_nc_u32_e32 v74, v8, v33
	v_ashrrev_i32_e32 v75, 31, v74
	s_delay_alu instid0(VALU_DEP_1) | instskip(NEXT) | instid1(VALU_DEP_1)
	v_lshlrev_b64_e32 v[74:75], 1, v[74:75]
	v_add_co_u32 v74, vcc_lo, s38, v74
	s_wait_alu 0xfffd
	s_delay_alu instid0(VALU_DEP_2) | instskip(SKIP_3) | instid1(VALU_DEP_1)
	v_add_co_ci_u32_e64 v75, null, s39, v75, vcc_lo
	global_load_u16 v9, v[74:75], off
	s_wait_loadcnt 0x0
	v_cvt_f32_f16_e32 v9, v9
	v_mul_f32_e32 v9, v48, v9
	s_branch .LBB56_74
.LBB56_73:
	v_mov_b32_e32 v9, 0
.LBB56_74:
	s_delay_alu instid0(VALU_DEP_1) | instskip(SKIP_1) | instid1(VALU_DEP_2)
	v_add_f32_e32 v65, v65, v9
	v_max_num_f32_e32 v5, v5, v5
	v_add_f32_e32 v9, 0x40051340, v65
	s_delay_alu instid0(VALU_DEP_1)
	v_max_num_f32_e32 v5, v5, v9
	s_wait_alu 0xfffe
	s_or_b32 exec_lo, exec_lo, s6
	s_and_saveexec_b32 s6, s3
	s_cbranch_execz .LBB56_69
.LBB56_75:
	v_cmp_ne_u32_e32 vcc_lo, 1, v53
	s_cbranch_vccnz .LBB56_77
; %bb.76:
	v_ashrrev_i32_e32 v9, 31, v8
	v_add_co_u32 v74, vcc_lo, v8, v33
	s_wait_alu 0xfffd
	s_delay_alu instid0(VALU_DEP_2) | instskip(NEXT) | instid1(VALU_DEP_1)
	v_add_co_ci_u32_e64 v75, null, 0, v9, vcc_lo
	v_lshlrev_b64_e32 v[74:75], 1, v[74:75]
	s_delay_alu instid0(VALU_DEP_1) | instskip(SKIP_1) | instid1(VALU_DEP_2)
	v_add_co_u32 v74, vcc_lo, s38, v74
	s_wait_alu 0xfffd
	v_add_co_ci_u32_e64 v75, null, s39, v75, vcc_lo
	global_load_u16 v9, v[74:75], off offset:64
	s_wait_loadcnt 0x0
	v_cvt_f32_f16_e32 v9, v9
	s_delay_alu instid0(VALU_DEP_1)
	v_mul_f32_e32 v9, v48, v9
	s_branch .LBB56_78
.LBB56_77:
	v_mov_b32_e32 v9, 0
.LBB56_78:
	s_delay_alu instid0(VALU_DEP_1) | instskip(SKIP_1) | instid1(VALU_DEP_2)
	v_add_f32_e32 v18, v18, v9
	v_max_num_f32_e32 v5, v5, v5
	v_add_f32_e32 v9, 0x40051340, v18
	s_delay_alu instid0(VALU_DEP_1)
	v_max_num_f32_e32 v5, v5, v9
	s_wait_alu 0xfffe
	s_or_b32 exec_lo, exec_lo, s6
	s_and_saveexec_b32 s6, s4
	s_cbranch_execz .LBB56_70
.LBB56_79:
	v_cmp_ne_u32_e32 vcc_lo, 1, v53
	s_cbranch_vccnz .LBB56_81
; %bb.80:
	v_ashrrev_i32_e32 v9, 31, v8
	v_add_co_u32 v74, vcc_lo, v8, v33
	s_wait_alu 0xfffd
	s_delay_alu instid0(VALU_DEP_2) | instskip(NEXT) | instid1(VALU_DEP_1)
	v_add_co_ci_u32_e64 v75, null, 0, v9, vcc_lo
	v_lshlrev_b64_e32 v[74:75], 1, v[74:75]
	s_delay_alu instid0(VALU_DEP_1) | instskip(SKIP_1) | instid1(VALU_DEP_2)
	v_add_co_u32 v74, vcc_lo, s38, v74
	s_wait_alu 0xfffd
	v_add_co_ci_u32_e64 v75, null, s39, v75, vcc_lo
	global_load_u16 v9, v[74:75], off offset:128
	s_wait_loadcnt 0x0
	v_cvt_f32_f16_e32 v9, v9
	s_delay_alu instid0(VALU_DEP_1)
	v_mul_f32_e32 v9, v48, v9
	s_branch .LBB56_82
.LBB56_81:
	v_mov_b32_e32 v9, 0
.LBB56_82:
	s_delay_alu instid0(VALU_DEP_1) | instskip(SKIP_1) | instid1(VALU_DEP_2)
	v_add_f32_e32 v16, v16, v9
	v_max_num_f32_e32 v5, v5, v5
	v_add_f32_e32 v9, 0x40051340, v16
	s_delay_alu instid0(VALU_DEP_1)
	v_max_num_f32_e32 v5, v5, v9
	s_wait_alu 0xfffe
	s_or_b32 exec_lo, exec_lo, s6
	s_and_saveexec_b32 s6, s5
	s_cbranch_execz .LBB56_87
.LBB56_83:
	v_cmp_ne_u32_e32 vcc_lo, 1, v53
	s_cbranch_vccnz .LBB56_85
; %bb.84:
	v_ashrrev_i32_e32 v9, 31, v8
	v_add_co_u32 v8, vcc_lo, v8, v33
	s_wait_alu 0xfffd
	s_delay_alu instid0(VALU_DEP_2) | instskip(NEXT) | instid1(VALU_DEP_1)
	v_add_co_ci_u32_e64 v9, null, 0, v9, vcc_lo
	v_lshlrev_b64_e32 v[8:9], 1, v[8:9]
	s_delay_alu instid0(VALU_DEP_1) | instskip(SKIP_1) | instid1(VALU_DEP_2)
	v_add_co_u32 v8, vcc_lo, s38, v8
	s_wait_alu 0xfffd
	v_add_co_ci_u32_e64 v9, null, s39, v9, vcc_lo
	global_load_u16 v8, v[8:9], off offset:192
	s_wait_loadcnt 0x0
	v_cvt_f32_f16_e32 v8, v8
	s_delay_alu instid0(VALU_DEP_1)
	v_mul_f32_e32 v8, v48, v8
	s_branch .LBB56_86
.LBB56_85:
	v_mov_b32_e32 v8, 0
.LBB56_86:
	s_delay_alu instid0(VALU_DEP_1) | instskip(NEXT) | instid1(VALU_DEP_1)
	v_dual_add_f32 v12, v12, v8 :: v_dual_max_num_f32 v5, v5, v5
	v_add_f32_e32 v8, 0x40051340, v12
	s_delay_alu instid0(VALU_DEP_1)
	v_max_num_f32_e32 v5, v5, v8
.LBB56_87:
	s_wait_alu 0xfffe
	s_or_b32 exec_lo, exec_lo, s6
	ds_bpermute_b32 v8, v54, v5
	v_mul_hi_u32 v9, s20, v51
	s_wait_dscnt 0x0
	v_dual_max_num_f32 v5, v5, v5 :: v_dual_max_num_f32 v8, v8, v8
	s_delay_alu instid0(VALU_DEP_1) | instskip(SKIP_3) | instid1(VALU_DEP_1)
	v_max_num_f32_e32 v5, v5, v8
	ds_bpermute_b32 v8, v69, v5
	s_wait_dscnt 0x0
	v_max_num_f32_e32 v8, v8, v8
	v_max_num_f32_e32 v5, v5, v8
	ds_bpermute_b32 v8, v71, v5
	s_wait_dscnt 0x0
	v_max_num_f32_e32 v8, v8, v8
	s_delay_alu instid0(VALU_DEP_1) | instskip(SKIP_3) | instid1(VALU_DEP_1)
	v_max_num_f32_e32 v5, v5, v8
	ds_bpermute_b32 v8, v72, v5
	s_wait_dscnt 0x0
	v_max_num_f32_e32 v8, v8, v8
	v_dual_max_num_f32 v5, v5, v8 :: v_dual_add_nc_u32 v8, v51, v9
	ds_bpermute_b32 v9, v73, v5
	v_lshrrev_b32_e32 v8, s21, v8
	s_delay_alu instid0(VALU_DEP_1) | instskip(NEXT) | instid1(VALU_DEP_1)
	v_mul_lo_u32 v8, v8, s22
	v_sub_nc_u32_e32 v8, v51, v8
	s_wait_dscnt 0x0
	v_max_num_f32_e32 v51, v9, v9
	s_delay_alu instid0(VALU_DEP_2) | instskip(NEXT) | instid1(VALU_DEP_2)
	v_mad_co_u64_u32 v[8:9], null, v8, s30, s[24:25]
	v_max_num_f32_e32 v5, v5, v51
	s_and_saveexec_b32 s6, s2
	s_cbranch_execnz .LBB56_91
; %bb.88:
	s_wait_alu 0xfffe
	s_or_b32 exec_lo, exec_lo, s6
	s_and_saveexec_b32 s6, s3
	s_cbranch_execnz .LBB56_95
.LBB56_89:
	s_wait_alu 0xfffe
	s_or_b32 exec_lo, exec_lo, s6
	s_and_saveexec_b32 s6, s4
	s_cbranch_execnz .LBB56_99
.LBB56_90:
	s_wait_alu 0xfffe
	s_or_b32 exec_lo, exec_lo, s6
	s_and_saveexec_b32 s6, s5
	s_cbranch_execnz .LBB56_103
	s_branch .LBB56_107
.LBB56_91:
	v_cmp_ne_u32_e32 vcc_lo, 1, v53
	s_cbranch_vccnz .LBB56_93
; %bb.92:
	s_delay_alu instid0(VALU_DEP_3) | instskip(NEXT) | instid1(VALU_DEP_1)
	v_add_nc_u32_e32 v51, v8, v33
	v_ashrrev_i32_e32 v52, 31, v51
	s_delay_alu instid0(VALU_DEP_1) | instskip(NEXT) | instid1(VALU_DEP_1)
	v_lshlrev_b64_e32 v[51:52], 1, v[51:52]
	v_add_co_u32 v51, vcc_lo, s38, v51
	s_wait_alu 0xfffd
	s_delay_alu instid0(VALU_DEP_2) | instskip(SKIP_3) | instid1(VALU_DEP_1)
	v_add_co_ci_u32_e64 v52, null, s39, v52, vcc_lo
	global_load_u16 v9, v[51:52], off
	s_wait_loadcnt 0x0
	v_cvt_f32_f16_e32 v9, v9
	v_mul_f32_e32 v9, v48, v9
	s_branch .LBB56_94
.LBB56_93:
	v_mov_b32_e32 v9, 0
.LBB56_94:
	s_delay_alu instid0(VALU_DEP_1) | instskip(NEXT) | instid1(VALU_DEP_1)
	v_add_f32_e32 v64, v64, v9
	v_dual_max_num_f32 v6, v6, v6 :: v_dual_add_f32 v9, 0x40051340, v64
	s_delay_alu instid0(VALU_DEP_1)
	v_max_num_f32_e32 v6, v6, v9
	s_wait_alu 0xfffe
	s_or_b32 exec_lo, exec_lo, s6
	s_and_saveexec_b32 s6, s3
	s_cbranch_execz .LBB56_89
.LBB56_95:
	v_cmp_ne_u32_e32 vcc_lo, 1, v53
	s_cbranch_vccnz .LBB56_97
; %bb.96:
	v_ashrrev_i32_e32 v9, 31, v8
	v_add_co_u32 v51, vcc_lo, v8, v33
	s_wait_alu 0xfffd
	s_delay_alu instid0(VALU_DEP_2) | instskip(NEXT) | instid1(VALU_DEP_1)
	v_add_co_ci_u32_e64 v52, null, 0, v9, vcc_lo
	v_lshlrev_b64_e32 v[51:52], 1, v[51:52]
	s_delay_alu instid0(VALU_DEP_1) | instskip(SKIP_1) | instid1(VALU_DEP_2)
	v_add_co_u32 v51, vcc_lo, s38, v51
	s_wait_alu 0xfffd
	v_add_co_ci_u32_e64 v52, null, s39, v52, vcc_lo
	global_load_u16 v9, v[51:52], off offset:64
	s_wait_loadcnt 0x0
	v_cvt_f32_f16_e32 v9, v9
	s_delay_alu instid0(VALU_DEP_1)
	v_mul_f32_e32 v9, v48, v9
	s_branch .LBB56_98
.LBB56_97:
	v_mov_b32_e32 v9, 0
.LBB56_98:
	s_delay_alu instid0(VALU_DEP_1) | instskip(NEXT) | instid1(VALU_DEP_1)
	v_dual_add_f32 v61, v61, v9 :: v_dual_max_num_f32 v6, v6, v6
	v_add_f32_e32 v9, 0x40051340, v61
	s_delay_alu instid0(VALU_DEP_1)
	v_max_num_f32_e32 v6, v6, v9
	s_wait_alu 0xfffe
	s_or_b32 exec_lo, exec_lo, s6
	s_and_saveexec_b32 s6, s4
	s_cbranch_execz .LBB56_90
.LBB56_99:
	v_cmp_ne_u32_e32 vcc_lo, 1, v53
	s_cbranch_vccnz .LBB56_101
; %bb.100:
	v_ashrrev_i32_e32 v9, 31, v8
	v_add_co_u32 v51, vcc_lo, v8, v33
	s_wait_alu 0xfffd
	s_delay_alu instid0(VALU_DEP_2) | instskip(NEXT) | instid1(VALU_DEP_1)
	v_add_co_ci_u32_e64 v52, null, 0, v9, vcc_lo
	v_lshlrev_b64_e32 v[51:52], 1, v[51:52]
	s_delay_alu instid0(VALU_DEP_1) | instskip(SKIP_1) | instid1(VALU_DEP_2)
	v_add_co_u32 v51, vcc_lo, s38, v51
	s_wait_alu 0xfffd
	v_add_co_ci_u32_e64 v52, null, s39, v52, vcc_lo
	global_load_u16 v9, v[51:52], off offset:128
	s_wait_loadcnt 0x0
	v_cvt_f32_f16_e32 v9, v9
	s_delay_alu instid0(VALU_DEP_1)
	v_mul_f32_e32 v9, v48, v9
	s_branch .LBB56_102
.LBB56_101:
	v_mov_b32_e32 v9, 0
.LBB56_102:
	s_delay_alu instid0(VALU_DEP_1) | instskip(SKIP_1) | instid1(VALU_DEP_2)
	v_add_f32_e32 v62, v62, v9
	v_max_num_f32_e32 v6, v6, v6
	v_add_f32_e32 v9, 0x40051340, v62
	s_delay_alu instid0(VALU_DEP_1)
	v_max_num_f32_e32 v6, v6, v9
	s_wait_alu 0xfffe
	s_or_b32 exec_lo, exec_lo, s6
	s_and_saveexec_b32 s6, s5
	s_cbranch_execz .LBB56_107
.LBB56_103:
	v_cmp_ne_u32_e32 vcc_lo, 1, v53
	s_cbranch_vccnz .LBB56_105
; %bb.104:
	v_ashrrev_i32_e32 v9, 31, v8
	v_add_co_u32 v8, vcc_lo, v8, v33
	s_wait_alu 0xfffd
	s_delay_alu instid0(VALU_DEP_2) | instskip(NEXT) | instid1(VALU_DEP_1)
	v_add_co_ci_u32_e64 v9, null, 0, v9, vcc_lo
	v_lshlrev_b64_e32 v[8:9], 1, v[8:9]
	s_delay_alu instid0(VALU_DEP_1) | instskip(SKIP_1) | instid1(VALU_DEP_2)
	v_add_co_u32 v8, vcc_lo, s38, v8
	s_wait_alu 0xfffd
	v_add_co_ci_u32_e64 v9, null, s39, v9, vcc_lo
	global_load_u16 v8, v[8:9], off offset:192
	s_wait_loadcnt 0x0
	v_cvt_f32_f16_e32 v8, v8
	s_delay_alu instid0(VALU_DEP_1)
	v_mul_f32_e32 v8, v48, v8
	s_branch .LBB56_106
.LBB56_105:
	v_mov_b32_e32 v8, 0
.LBB56_106:
	s_delay_alu instid0(VALU_DEP_1) | instskip(NEXT) | instid1(VALU_DEP_1)
	v_dual_add_f32 v11, v11, v8 :: v_dual_max_num_f32 v6, v6, v6
	v_add_f32_e32 v8, 0x40051340, v11
	s_delay_alu instid0(VALU_DEP_1)
	v_max_num_f32_e32 v6, v6, v8
.LBB56_107:
	s_wait_alu 0xfffe
	s_or_b32 exec_lo, exec_lo, s6
	ds_bpermute_b32 v8, v54, v6
	v_max_num_f32_e32 v6, v6, v6
	v_mul_hi_u32 v9, s20, v50
	s_wait_dscnt 0x0
	v_max_num_f32_e32 v8, v8, v8
	s_delay_alu instid0(VALU_DEP_1) | instskip(SKIP_3) | instid1(VALU_DEP_1)
	v_max_num_f32_e32 v6, v6, v8
	ds_bpermute_b32 v8, v69, v6
	s_wait_dscnt 0x0
	v_max_num_f32_e32 v8, v8, v8
	v_max_num_f32_e32 v6, v6, v8
	ds_bpermute_b32 v8, v71, v6
	s_wait_dscnt 0x0
	v_max_num_f32_e32 v8, v8, v8
	s_delay_alu instid0(VALU_DEP_1) | instskip(SKIP_3) | instid1(VALU_DEP_1)
	v_max_num_f32_e32 v6, v6, v8
	ds_bpermute_b32 v8, v72, v6
	s_wait_dscnt 0x0
	v_max_num_f32_e32 v8, v8, v8
	v_max_num_f32_e32 v6, v6, v8
	v_add_nc_u32_e32 v8, v50, v9
	ds_bpermute_b32 v9, v73, v6
	v_lshrrev_b32_e32 v8, s21, v8
	s_delay_alu instid0(VALU_DEP_1) | instskip(NEXT) | instid1(VALU_DEP_1)
	v_mul_lo_u32 v8, v8, s22
	v_sub_nc_u32_e32 v8, v50, v8
	s_wait_dscnt 0x0
	v_max_num_f32_e32 v50, v9, v9
	s_delay_alu instid0(VALU_DEP_2) | instskip(NEXT) | instid1(VALU_DEP_2)
	v_mad_co_u64_u32 v[8:9], null, v8, s30, s[24:25]
	v_max_num_f32_e32 v6, v6, v50
	s_and_saveexec_b32 s6, s2
	s_cbranch_execnz .LBB56_111
; %bb.108:
	s_wait_alu 0xfffe
	s_or_b32 exec_lo, exec_lo, s6
	s_and_saveexec_b32 s2, s3
	s_cbranch_execnz .LBB56_115
.LBB56_109:
	s_wait_alu 0xfffe
	s_or_b32 exec_lo, exec_lo, s2
	s_and_saveexec_b32 s2, s4
	s_cbranch_execnz .LBB56_119
.LBB56_110:
	s_wait_alu 0xfffe
	s_or_b32 exec_lo, exec_lo, s2
	s_and_saveexec_b32 s2, s5
	s_cbranch_execnz .LBB56_123
	s_branch .LBB56_127
.LBB56_111:
	v_cmp_ne_u32_e32 vcc_lo, 1, v53
	s_cbranch_vccnz .LBB56_113
; %bb.112:
	s_delay_alu instid0(VALU_DEP_3) | instskip(NEXT) | instid1(VALU_DEP_1)
	v_add_nc_u32_e32 v50, v8, v33
	v_ashrrev_i32_e32 v51, 31, v50
	s_delay_alu instid0(VALU_DEP_1) | instskip(NEXT) | instid1(VALU_DEP_1)
	v_lshlrev_b64_e32 v[50:51], 1, v[50:51]
	v_add_co_u32 v50, vcc_lo, s38, v50
	s_wait_alu 0xfffd
	s_delay_alu instid0(VALU_DEP_2) | instskip(SKIP_3) | instid1(VALU_DEP_1)
	v_add_co_ci_u32_e64 v51, null, s39, v51, vcc_lo
	global_load_u16 v9, v[50:51], off
	s_wait_loadcnt 0x0
	v_cvt_f32_f16_e32 v9, v9
	v_mul_f32_e32 v9, v48, v9
	s_branch .LBB56_114
.LBB56_113:
	v_mov_b32_e32 v9, 0
.LBB56_114:
	s_delay_alu instid0(VALU_DEP_1) | instskip(SKIP_1) | instid1(VALU_DEP_2)
	v_add_f32_e32 v63, v63, v9
	v_max_num_f32_e32 v7, v7, v7
	v_add_f32_e32 v9, 0x40051340, v63
	s_delay_alu instid0(VALU_DEP_1)
	v_max_num_f32_e32 v7, v7, v9
	s_wait_alu 0xfffe
	s_or_b32 exec_lo, exec_lo, s6
	s_and_saveexec_b32 s2, s3
	s_cbranch_execz .LBB56_109
.LBB56_115:
	v_cmp_ne_u32_e32 vcc_lo, 1, v53
	s_cbranch_vccnz .LBB56_117
; %bb.116:
	v_ashrrev_i32_e32 v9, 31, v8
	v_add_co_u32 v50, vcc_lo, v8, v33
	s_wait_alu 0xfffd
	s_delay_alu instid0(VALU_DEP_2) | instskip(NEXT) | instid1(VALU_DEP_1)
	v_add_co_ci_u32_e64 v51, null, 0, v9, vcc_lo
	v_lshlrev_b64_e32 v[50:51], 1, v[50:51]
	s_delay_alu instid0(VALU_DEP_1) | instskip(SKIP_1) | instid1(VALU_DEP_2)
	v_add_co_u32 v50, vcc_lo, s38, v50
	s_wait_alu 0xfffd
	v_add_co_ci_u32_e64 v51, null, s39, v51, vcc_lo
	global_load_u16 v9, v[50:51], off offset:64
	s_wait_loadcnt 0x0
	v_cvt_f32_f16_e32 v9, v9
	s_delay_alu instid0(VALU_DEP_1)
	v_mul_f32_e32 v9, v48, v9
	s_branch .LBB56_118
.LBB56_117:
	v_mov_b32_e32 v9, 0
.LBB56_118:
	s_delay_alu instid0(VALU_DEP_1) | instskip(NEXT) | instid1(VALU_DEP_1)
	v_dual_add_f32 v60, v60, v9 :: v_dual_max_num_f32 v7, v7, v7
	v_add_f32_e32 v9, 0x40051340, v60
	s_delay_alu instid0(VALU_DEP_1)
	v_max_num_f32_e32 v7, v7, v9
	s_wait_alu 0xfffe
	s_or_b32 exec_lo, exec_lo, s2
	s_and_saveexec_b32 s2, s4
	s_cbranch_execz .LBB56_110
.LBB56_119:
	v_cmp_ne_u32_e32 vcc_lo, 1, v53
	s_cbranch_vccnz .LBB56_121
; %bb.120:
	v_ashrrev_i32_e32 v9, 31, v8
	v_add_co_u32 v50, vcc_lo, v8, v33
	s_wait_alu 0xfffd
	s_delay_alu instid0(VALU_DEP_2) | instskip(NEXT) | instid1(VALU_DEP_1)
	v_add_co_ci_u32_e64 v51, null, 0, v9, vcc_lo
	v_lshlrev_b64_e32 v[50:51], 1, v[50:51]
	s_delay_alu instid0(VALU_DEP_1) | instskip(SKIP_1) | instid1(VALU_DEP_2)
	v_add_co_u32 v50, vcc_lo, s38, v50
	s_wait_alu 0xfffd
	v_add_co_ci_u32_e64 v51, null, s39, v51, vcc_lo
	global_load_u16 v9, v[50:51], off offset:128
	s_wait_loadcnt 0x0
	v_cvt_f32_f16_e32 v9, v9
	s_delay_alu instid0(VALU_DEP_1)
	v_mul_f32_e32 v9, v48, v9
	s_branch .LBB56_122
.LBB56_121:
	v_mov_b32_e32 v9, 0
.LBB56_122:
	s_delay_alu instid0(VALU_DEP_1) | instskip(SKIP_1) | instid1(VALU_DEP_2)
	v_add_f32_e32 v17, v17, v9
	v_max_num_f32_e32 v7, v7, v7
	v_add_f32_e32 v9, 0x40051340, v17
	s_delay_alu instid0(VALU_DEP_1)
	v_max_num_f32_e32 v7, v7, v9
	s_wait_alu 0xfffe
	s_or_b32 exec_lo, exec_lo, s2
	s_and_saveexec_b32 s2, s5
	s_cbranch_execz .LBB56_127
.LBB56_123:
	v_cmp_ne_u32_e32 vcc_lo, 1, v53
	s_cbranch_vccnz .LBB56_125
; %bb.124:
	v_ashrrev_i32_e32 v9, 31, v8
	v_add_co_u32 v8, vcc_lo, v8, v33
	s_wait_alu 0xfffd
	s_delay_alu instid0(VALU_DEP_2) | instskip(NEXT) | instid1(VALU_DEP_1)
	v_add_co_ci_u32_e64 v9, null, 0, v9, vcc_lo
	v_lshlrev_b64_e32 v[8:9], 1, v[8:9]
	s_delay_alu instid0(VALU_DEP_1) | instskip(SKIP_1) | instid1(VALU_DEP_2)
	v_add_co_u32 v8, vcc_lo, s38, v8
	s_wait_alu 0xfffd
	v_add_co_ci_u32_e64 v9, null, s39, v9, vcc_lo
	global_load_u16 v8, v[8:9], off offset:192
	s_wait_loadcnt 0x0
	v_cvt_f32_f16_e32 v8, v8
	s_delay_alu instid0(VALU_DEP_1)
	v_mul_f32_e32 v8, v48, v8
	s_branch .LBB56_126
.LBB56_125:
	v_mov_b32_e32 v8, 0
.LBB56_126:
	s_delay_alu instid0(VALU_DEP_1) | instskip(NEXT) | instid1(VALU_DEP_1)
	v_add_f32_e32 v13, v13, v8
	v_dual_max_num_f32 v7, v7, v7 :: v_dual_add_f32 v8, 0x40051340, v13
	s_delay_alu instid0(VALU_DEP_1)
	v_max_num_f32_e32 v7, v7, v8
.LBB56_127:
	s_wait_alu 0xfffe
	s_or_b32 exec_lo, exec_lo, s2
	ds_bpermute_b32 v8, v54, v7
	v_max_num_f32_e32 v7, v7, v7
	s_mov_b64 s[8:9], src_private_base
	s_wait_loadcnt_dscnt 0x0
	s_barrier_signal -1
	s_barrier_wait -1
	global_inv scope:SCOPE_SE
	v_lshl_add_u32 v75, v37, 1, v39
	s_mov_b32 s41, s40
	s_mov_b32 s42, s40
	s_ashr_i32 s15, s14, 31
	v_dual_mov_b32 v38, 0 :: v_dual_lshlrev_b32 v37, 2, v38
	s_delay_alu instid0(VALU_DEP_1) | instskip(SKIP_1) | instid1(VALU_DEP_1)
	v_lshl_or_b32 v74, v75, 8, v37
	v_max_num_f32_e32 v8, v8, v8
	v_max_num_f32_e32 v7, v7, v8
	ds_bpermute_b32 v8, v69, v7
	s_wait_dscnt 0x0
	v_max_num_f32_e32 v8, v8, v8
	s_delay_alu instid0(VALU_DEP_1) | instskip(SKIP_3) | instid1(VALU_DEP_1)
	v_max_num_f32_e32 v7, v7, v8
	ds_bpermute_b32 v8, v71, v7
	s_wait_dscnt 0x0
	v_dual_max_num_f32 v8, v8, v8 :: v_dual_add_nc_u32 v71, 32, v75
	v_max_num_f32_e32 v7, v7, v8
	ds_bpermute_b32 v8, v72, v7
	s_wait_dscnt 0x0
	v_max_num_f32_e32 v8, v8, v8
	s_delay_alu instid0(VALU_DEP_1) | instskip(SKIP_4) | instid1(VALU_DEP_1)
	v_max_num_f32_e32 v7, v7, v8
	ds_bpermute_b32 v8, v73, v7
	v_lshl_or_b32 v73, v71, 8, v37
	s_wait_dscnt 0x0
	v_max_num_f32_e32 v8, v8, v8
	v_max_num_f32_e32 v7, v7, v8
	v_sub_f32_e32 v8, v66, v4
	s_delay_alu instid0(VALU_DEP_1) | instskip(SKIP_2) | instid1(VALU_DEP_3)
	v_mul_f32_e32 v9, 0x3fb8aa3b, v8
	v_cmp_ngt_f32_e64 s2, 0xc2ce8ed0, v8
	v_cmp_nlt_f32_e32 vcc_lo, 0x42b17218, v8
	v_fma_f32 v48, 0x3fb8aa3b, v8, -v9
	s_delay_alu instid0(VALU_DEP_1) | instskip(SKIP_1) | instid1(VALU_DEP_1)
	v_fmac_f32_e32 v48, 0x32a5705f, v8
	v_sub_f32_e32 v8, v65, v5
	v_mul_f32_e32 v50, 0x3fb8aa3b, v8
	v_cmp_ngt_f32_e64 s3, 0xc2ce8ed0, v8
	v_cmp_nlt_f32_e64 s4, 0x42b17218, v8
	s_delay_alu instid0(VALU_DEP_3) | instskip(NEXT) | instid1(VALU_DEP_1)
	v_fma_f32 v51, 0x3fb8aa3b, v8, -v50
	v_dual_fmac_f32 v51, 0x32a5705f, v8 :: v_dual_sub_f32 v8, v64, v6
	s_delay_alu instid0(VALU_DEP_1) | instskip(SKIP_2) | instid1(VALU_DEP_3)
	v_mul_f32_e32 v52, 0x3fb8aa3b, v8
	v_cmp_ngt_f32_e64 s5, 0xc2ce8ed0, v8
	v_cmp_nlt_f32_e64 s6, 0x42b17218, v8
	v_fma_f32 v53, 0x3fb8aa3b, v8, -v52
	s_delay_alu instid0(VALU_DEP_1) | instskip(SKIP_1) | instid1(VALU_DEP_1)
	v_fmac_f32_e32 v53, 0x32a5705f, v8
	v_rndne_f32_e32 v8, v9
	v_sub_f32_e32 v9, v9, v8
	v_cvt_i32_f32_e32 v8, v8
	s_delay_alu instid0(VALU_DEP_2) | instskip(SKIP_1) | instid1(VALU_DEP_2)
	v_add_f32_e32 v9, v9, v48
	v_rndne_f32_e32 v48, v50
	v_exp_f32_e32 v9, v9
	s_delay_alu instid0(VALU_DEP_1) | instskip(SKIP_1) | instid1(VALU_DEP_2)
	v_sub_f32_e32 v50, v50, v48
	v_cvt_i32_f32_e32 v48, v48
	v_add_f32_e32 v50, v50, v51
	v_rndne_f32_e32 v51, v52
	s_delay_alu instid0(TRANS32_DEP_1) | instskip(NEXT) | instid1(VALU_DEP_3)
	v_ldexp_f32 v8, v9, v8
	v_exp_f32_e32 v9, v50
	s_delay_alu instid0(VALU_DEP_2)
	v_sub_f32_e32 v52, v52, v51
	v_cvt_i32_f32_e32 v51, v51
	s_wait_alu 0xf1ff
	v_cndmask_b32_e64 v8, 0, v8, s2
	v_cmp_gt_u32_e64 s2, s29, v33
	v_add_f32_e32 v52, v52, v53
	v_sub_f32_e32 v80, v3, v7
	s_wait_alu 0xfffd
	v_cndmask_b32_e32 v8, 0x7f800000, v8, vcc_lo
	v_ldexp_f32 v9, v9, v48
	v_sub_f32_e32 v48, v63, v7
	v_exp_f32_e32 v52, v52
	s_delay_alu instid0(VALU_DEP_2) | instskip(NEXT) | instid1(VALU_DEP_2)
	v_cndmask_b32_e64 v9, 0, v9, s3
	v_mul_f32_e32 v50, 0x3fb8aa3b, v48
	v_cmp_ngt_f32_e64 s7, 0xc2ce8ed0, v48
	v_cmp_nlt_f32_e64 s8, 0x42b17218, v48
	s_delay_alu instid0(VALU_DEP_4) | instskip(NEXT) | instid1(VALU_DEP_4)
	v_cndmask_b32_e64 v9, 0x7f800000, v9, s4
	v_fma_f32 v53, 0x3fb8aa3b, v48, -v50
	v_rndne_f32_e32 v54, v50
	s_delay_alu instid0(TRANS32_DEP_1) | instskip(SKIP_2) | instid1(VALU_DEP_3)
	v_ldexp_f32 v51, v52, v51
	s_wait_alu 0xf1ff
	v_cndmask_b32_e64 v52, 0, v8, s2
	v_dual_fmac_f32 v53, 0x32a5705f, v48 :: v_dual_sub_f32 v50, v50, v54
	s_delay_alu instid0(VALU_DEP_2) | instskip(NEXT) | instid1(VALU_DEP_2)
	v_cvt_f16_f32_e32 v8, v52
	v_add_f32_e32 v50, v50, v53
	s_delay_alu instid0(VALU_DEP_1)
	v_exp_f32_e32 v48, v50
	v_cvt_i32_f32_e32 v50, v54
	s_delay_alu instid0(TRANS32_DEP_1) | instid1(VALU_DEP_1)
	v_ldexp_f32 v48, v48, v50
	v_cndmask_b32_e64 v50, 0, v51, s5
	v_cndmask_b32_e64 v51, 0, v9, s2
	s_delay_alu instid0(VALU_DEP_3) | instskip(NEXT) | instid1(VALU_DEP_3)
	v_cndmask_b32_e64 v48, 0, v48, s7
	v_cndmask_b32_e64 v50, 0x7f800000, v50, s6
	s_delay_alu instid0(VALU_DEP_3) | instskip(SKIP_1) | instid1(VALU_DEP_3)
	v_cvt_f16_f32_e32 v9, v51
	s_wait_alu 0xfffe
	v_cndmask_b32_e64 v48, 0x7f800000, v48, s8
	s_delay_alu instid0(VALU_DEP_3) | instskip(NEXT) | instid1(VALU_DEP_3)
	v_cndmask_b32_e64 v50, 0, v50, s2
	v_pack_b32_f16 v8, v8, v9
	s_delay_alu instid0(VALU_DEP_3) | instskip(NEXT) | instid1(VALU_DEP_3)
	v_cndmask_b32_e64 v48, 0, v48, s2
	v_cvt_f16_f32_e32 v9, v50
	s_delay_alu instid0(VALU_DEP_2) | instskip(NEXT) | instid1(VALU_DEP_1)
	v_cvt_f16_f32_e32 v53, v48
	v_pack_b32_f16 v9, v9, v53
	v_add_nc_u32_e32 v53, v44, v36
	ds_store_b64 v53, v[8:9]
	v_sub_f32_e32 v8, v15, v4
	s_delay_alu instid0(VALU_DEP_1) | instskip(SKIP_2) | instid1(VALU_DEP_3)
	v_mul_f32_e32 v9, 0x3fb8aa3b, v8
	v_cmp_ngt_f32_e32 vcc_lo, 0xc2ce8ed0, v8
	v_cmp_nlt_f32_e64 s2, 0x42b17218, v8
	v_fma_f32 v15, 0x3fb8aa3b, v8, -v9
	s_delay_alu instid0(VALU_DEP_1) | instskip(NEXT) | instid1(VALU_DEP_1)
	v_dual_fmac_f32 v15, 0x32a5705f, v8 :: v_dual_sub_f32 v8, v18, v5
	v_mul_f32_e32 v18, 0x3fb8aa3b, v8
	v_cmp_ngt_f32_e64 s3, 0xc2ce8ed0, v8
	v_cmp_nlt_f32_e64 s4, 0x42b17218, v8
	s_delay_alu instid0(VALU_DEP_3) | instskip(NEXT) | instid1(VALU_DEP_1)
	v_fma_f32 v53, 0x3fb8aa3b, v8, -v18
	v_dual_fmac_f32 v53, 0x32a5705f, v8 :: v_dual_sub_f32 v8, v61, v6
	s_delay_alu instid0(VALU_DEP_1) | instskip(SKIP_2) | instid1(VALU_DEP_3)
	v_mul_f32_e32 v54, 0x3fb8aa3b, v8
	v_cmp_ngt_f32_e64 s5, 0xc2ce8ed0, v8
	v_cmp_nlt_f32_e64 s6, 0x42b17218, v8
	v_fma_f32 v61, 0x3fb8aa3b, v8, -v54
	s_delay_alu instid0(VALU_DEP_1) | instskip(SKIP_1) | instid1(VALU_DEP_1)
	v_fmac_f32_e32 v61, 0x32a5705f, v8
	v_rndne_f32_e32 v8, v9
	v_sub_f32_e32 v9, v9, v8
	v_cvt_i32_f32_e32 v8, v8
	s_delay_alu instid0(VALU_DEP_2) | instskip(SKIP_1) | instid1(VALU_DEP_2)
	v_add_f32_e32 v9, v9, v15
	v_rndne_f32_e32 v15, v18
	v_exp_f32_e32 v9, v9
	s_delay_alu instid0(VALU_DEP_1) | instskip(SKIP_1) | instid1(VALU_DEP_2)
	v_sub_f32_e32 v18, v18, v15
	v_cvt_i32_f32_e32 v15, v15
	v_add_f32_e32 v18, v18, v53
	v_rndne_f32_e32 v53, v54
	s_delay_alu instid0(TRANS32_DEP_1) | instskip(NEXT) | instid1(VALU_DEP_3)
	v_ldexp_f32 v8, v9, v8
	v_exp_f32_e32 v9, v18
	s_delay_alu instid0(VALU_DEP_2)
	v_sub_f32_e32 v54, v54, v53
	v_cvt_i32_f32_e32 v53, v53
	s_wait_alu 0xfffd
	v_cndmask_b32_e32 v8, 0, v8, vcc_lo
	v_cmp_gt_u32_e32 vcc_lo, s29, v68
	v_add_f32_e32 v54, v54, v61
	s_wait_alu 0xf1ff
	s_delay_alu instid0(VALU_DEP_3) | instskip(NEXT) | instid1(TRANS32_DEP_1)
	v_cndmask_b32_e64 v8, 0x7f800000, v8, s2
	v_ldexp_f32 v9, v9, v15
	v_sub_f32_e32 v15, v60, v7
	v_exp_f32_e32 v54, v54
	s_delay_alu instid0(VALU_DEP_2) | instskip(NEXT) | instid1(VALU_DEP_2)
	v_cndmask_b32_e64 v9, 0, v9, s3
	v_mul_f32_e32 v18, 0x3fb8aa3b, v15
	v_cmp_ngt_f32_e64 s7, 0xc2ce8ed0, v15
	v_cmp_nlt_f32_e64 s8, 0x42b17218, v15
	s_delay_alu instid0(VALU_DEP_4) | instskip(NEXT) | instid1(VALU_DEP_4)
	v_cndmask_b32_e64 v9, 0x7f800000, v9, s4
	v_fma_f32 v60, 0x3fb8aa3b, v15, -v18
	v_rndne_f32_e32 v61, v18
	s_delay_alu instid0(TRANS32_DEP_1) | instskip(NEXT) | instid1(VALU_DEP_3)
	v_ldexp_f32 v53, v54, v53
	v_fmac_f32_e32 v60, 0x32a5705f, v15
	s_delay_alu instid0(VALU_DEP_3) | instskip(NEXT) | instid1(VALU_DEP_1)
	v_sub_f32_e32 v18, v18, v61
	v_add_f32_e32 v18, v18, v60
	s_wait_alu 0xfffd
	v_cndmask_b32_e32 v60, 0, v9, vcc_lo
	s_delay_alu instid0(VALU_DEP_2) | instskip(SKIP_2) | instid1(VALU_DEP_3)
	v_exp_f32_e32 v15, v18
	v_cvt_i32_f32_e32 v18, v61
	v_cndmask_b32_e32 v61, 0, v8, vcc_lo
	v_cvt_f16_f32_e32 v9, v60
	s_delay_alu instid0(VALU_DEP_2)
	v_cvt_f16_f32_e32 v8, v61
	s_delay_alu instid0(TRANS32_DEP_1) | instid1(VALU_DEP_4)
	v_ldexp_f32 v15, v15, v18
	v_cndmask_b32_e64 v18, 0, v53, s5
	s_delay_alu instid0(VALU_DEP_3) | instskip(SKIP_1) | instid1(VALU_DEP_3)
	v_pack_b32_f16 v8, v8, v9
	s_wait_alu 0xf1ff
	v_cndmask_b32_e64 v15, 0, v15, s7
	s_delay_alu instid0(VALU_DEP_3) | instskip(NEXT) | instid1(VALU_DEP_2)
	v_cndmask_b32_e64 v18, 0x7f800000, v18, s6
	v_cndmask_b32_e64 v15, 0x7f800000, v15, s8
	s_delay_alu instid0(VALU_DEP_1) | instskip(NEXT) | instid1(VALU_DEP_1)
	v_dual_cndmask_b32 v54, 0, v18 :: v_dual_cndmask_b32 v53, 0, v15
	v_cvt_f16_f32_e32 v9, v54
	s_delay_alu instid0(VALU_DEP_2) | instskip(NEXT) | instid1(VALU_DEP_1)
	v_cvt_f16_f32_e32 v15, v53
	v_pack_b32_f16 v9, v9, v15
	v_lshl_add_u32 v15, v68, 3, v44
	ds_store_b64 v15, v[8:9]
	v_sub_f32_e32 v8, v14, v4
	s_delay_alu instid0(VALU_DEP_1) | instskip(SKIP_2) | instid1(VALU_DEP_3)
	v_mul_f32_e32 v9, 0x3fb8aa3b, v8
	v_cmp_ngt_f32_e32 vcc_lo, 0xc2ce8ed0, v8
	v_cmp_nlt_f32_e64 s2, 0x42b17218, v8
	v_fma_f32 v14, 0x3fb8aa3b, v8, -v9
	s_delay_alu instid0(VALU_DEP_1) | instskip(SKIP_1) | instid1(VALU_DEP_1)
	v_fmac_f32_e32 v14, 0x32a5705f, v8
	v_sub_f32_e32 v8, v16, v5
	v_mul_f32_e32 v15, 0x3fb8aa3b, v8
	v_cmp_ngt_f32_e64 s3, 0xc2ce8ed0, v8
	v_cmp_nlt_f32_e64 s4, 0x42b17218, v8
	s_delay_alu instid0(VALU_DEP_3) | instskip(NEXT) | instid1(VALU_DEP_1)
	v_fma_f32 v16, 0x3fb8aa3b, v8, -v15
	v_fmac_f32_e32 v16, 0x32a5705f, v8
	v_sub_f32_e32 v8, v62, v6
	s_delay_alu instid0(VALU_DEP_1) | instskip(SKIP_2) | instid1(VALU_DEP_3)
	v_mul_f32_e32 v18, 0x3fb8aa3b, v8
	v_cmp_ngt_f32_e64 s5, 0xc2ce8ed0, v8
	v_cmp_nlt_f32_e64 s6, 0x42b17218, v8
	v_fma_f32 v62, 0x3fb8aa3b, v8, -v18
	s_delay_alu instid0(VALU_DEP_1) | instskip(SKIP_1) | instid1(VALU_DEP_1)
	v_fmac_f32_e32 v62, 0x32a5705f, v8
	v_rndne_f32_e32 v8, v9
	v_sub_f32_e32 v9, v9, v8
	v_cvt_i32_f32_e32 v8, v8
	s_delay_alu instid0(VALU_DEP_2) | instskip(SKIP_1) | instid1(VALU_DEP_2)
	v_add_f32_e32 v9, v9, v14
	v_rndne_f32_e32 v14, v15
	v_exp_f32_e32 v9, v9
	s_delay_alu instid0(VALU_DEP_1) | instskip(SKIP_1) | instid1(VALU_DEP_2)
	v_sub_f32_e32 v15, v15, v14
	v_cvt_i32_f32_e32 v14, v14
	v_add_f32_e32 v15, v15, v16
	v_rndne_f32_e32 v16, v18
	s_delay_alu instid0(TRANS32_DEP_1) | instskip(NEXT) | instid1(VALU_DEP_3)
	v_ldexp_f32 v8, v9, v8
	v_exp_f32_e32 v9, v15
	s_delay_alu instid0(VALU_DEP_2) | instskip(SKIP_3) | instid1(VALU_DEP_3)
	v_sub_f32_e32 v18, v18, v16
	v_cvt_i32_f32_e32 v16, v16
	s_wait_alu 0xfffd
	v_cndmask_b32_e32 v8, 0, v8, vcc_lo
	v_add_f32_e32 v18, v18, v62
	s_wait_alu 0xf1ff
	s_delay_alu instid0(VALU_DEP_2) | instskip(NEXT) | instid1(TRANS32_DEP_1)
	v_cndmask_b32_e64 v8, 0x7f800000, v8, s2
	v_ldexp_f32 v9, v9, v14
	v_sub_f32_e32 v14, v17, v7
	s_delay_alu instid0(VALU_DEP_2) | instskip(NEXT) | instid1(VALU_DEP_2)
	v_cndmask_b32_e64 v9, 0, v9, s3
	v_mul_f32_e32 v15, 0x3fb8aa3b, v14
	v_cmp_ngt_f32_e64 s7, 0xc2ce8ed0, v14
	v_cmp_nlt_f32_e64 s8, 0x42b17218, v14
	s_delay_alu instid0(VALU_DEP_4) | instskip(NEXT) | instid1(VALU_DEP_4)
	v_cndmask_b32_e64 v9, 0x7f800000, v9, s4
	v_fma_f32 v17, 0x3fb8aa3b, v14, -v15
	v_rndne_f32_e32 v62, v15
	s_delay_alu instid0(VALU_DEP_2) | instskip(NEXT) | instid1(VALU_DEP_2)
	v_fmac_f32_e32 v17, 0x32a5705f, v14
	v_sub_f32_e32 v15, v15, v62
	s_delay_alu instid0(VALU_DEP_1) | instskip(SKIP_1) | instid1(VALU_DEP_1)
	v_add_f32_e32 v15, v15, v17
	v_exp_f32_e32 v17, v18
	v_exp_f32_e32 v15, v15
	s_delay_alu instid0(TRANS32_DEP_2) | instskip(SKIP_1) | instid1(VALU_DEP_2)
	v_ldexp_f32 v16, v17, v16
	v_cvt_i32_f32_e32 v17, v62
	v_cndmask_b32_e64 v14, 0, v16, s5
	s_delay_alu instid0(TRANS32_DEP_1) | instid1(VALU_DEP_2)
	v_ldexp_f32 v15, v15, v17
	v_cmp_gt_u32_e64 s5, s29, v67
	s_delay_alu instid0(VALU_DEP_3) | instskip(SKIP_1) | instid1(VALU_DEP_3)
	v_cndmask_b32_e64 v14, 0x7f800000, v14, s6
	s_wait_alu 0xf1ff
	v_cndmask_b32_e64 v15, 0, v15, s7
	s_delay_alu instid0(VALU_DEP_3) | instskip(SKIP_2) | instid1(VALU_DEP_4)
	v_cndmask_b32_e64 v65, 0, v8, s5
	v_cndmask_b32_e64 v64, 0, v9, s5
	;; [unrolled: 1-line block ×4, first 2 shown]
	s_delay_alu instid0(VALU_DEP_3) | instskip(NEXT) | instid1(VALU_DEP_3)
	v_cvt_f16_f32_e32 v14, v64
	v_cvt_f16_f32_e32 v8, v63
	s_delay_alu instid0(VALU_DEP_3) | instskip(NEXT) | instid1(VALU_DEP_1)
	v_cndmask_b32_e64 v62, 0, v15, s5
	v_cvt_f16_f32_e32 v9, v62
	s_delay_alu instid0(VALU_DEP_1) | instskip(SKIP_1) | instid1(VALU_DEP_1)
	v_pack_b32_f16 v9, v8, v9
	v_cvt_f16_f32_e32 v8, v65
	v_pack_b32_f16 v8, v8, v14
	v_lshl_add_u32 v14, v67, 3, v44
	ds_store_b64 v14, v[8:9]
	v_sub_f32_e32 v8, v10, v4
	s_delay_alu instid0(VALU_DEP_1) | instskip(SKIP_2) | instid1(VALU_DEP_3)
	v_mul_f32_e32 v9, 0x3fb8aa3b, v8
	v_cmp_ngt_f32_e32 vcc_lo, 0xc2ce8ed0, v8
	v_cmp_nlt_f32_e64 s2, 0x42b17218, v8
	v_fma_f32 v10, 0x3fb8aa3b, v8, -v9
	v_rndne_f32_e32 v14, v9
	s_delay_alu instid0(VALU_DEP_1) | instskip(SKIP_1) | instid1(VALU_DEP_2)
	v_dual_fmac_f32 v10, 0x32a5705f, v8 :: v_dual_sub_f32 v9, v9, v14
	v_cvt_i32_f32_e32 v14, v14
	v_dual_add_f32 v9, v9, v10 :: v_dual_sub_f32 v10, v12, v5
	s_delay_alu instid0(VALU_DEP_1) | instskip(NEXT) | instid1(VALU_DEP_1)
	v_exp_f32_e32 v9, v9
	v_mul_f32_e32 v12, 0x3fb8aa3b, v10
	v_cmp_ngt_f32_e64 s3, 0xc2ce8ed0, v10
	v_cmp_nlt_f32_e64 s4, 0x42b17218, v10
	s_delay_alu instid0(VALU_DEP_3) | instskip(SKIP_1) | instid1(TRANS32_DEP_1)
	v_fma_f32 v15, 0x3fb8aa3b, v10, -v12
	v_rndne_f32_e32 v16, v12
	v_ldexp_f32 v9, v9, v14
	s_delay_alu instid0(VALU_DEP_2) | instskip(SKIP_1) | instid1(VALU_DEP_2)
	v_dual_fmac_f32 v15, 0x32a5705f, v10 :: v_dual_sub_f32 v12, v12, v16
	s_wait_alu 0xfffd
	v_dual_sub_f32 v10, v11, v6 :: v_dual_cndmask_b32 v9, 0, v9
	v_cmp_gt_i32_e32 vcc_lo, s29, v75
	s_delay_alu instid0(VALU_DEP_2) | instskip(SKIP_1) | instid1(VALU_DEP_3)
	v_dual_add_f32 v12, v12, v15 :: v_dual_mul_f32 v11, 0x3fb8aa3b, v10
	s_wait_alu 0xf1ff
	v_cndmask_b32_e64 v9, 0x7f800000, v9, s2
	s_delay_alu instid0(VALU_DEP_2)
	v_exp_f32_e32 v8, v12
	v_cvt_i32_f32_e32 v12, v16
	v_rndne_f32_e32 v14, v11
	s_delay_alu instid0(TRANS32_DEP_1) | instid1(VALU_DEP_2)
	v_ldexp_f32 v8, v8, v12
	v_fma_f32 v12, 0x3fb8aa3b, v10, -v11
	s_delay_alu instid0(VALU_DEP_3) | instskip(SKIP_1) | instid1(VALU_DEP_4)
	v_sub_f32_e32 v11, v11, v14
	v_cvt_i32_f32_e32 v14, v14
	v_cndmask_b32_e64 v8, 0, v8, s3
	s_delay_alu instid0(VALU_DEP_4)
	v_fmac_f32_e32 v12, 0x32a5705f, v10
	s_mul_u64 s[2:3], s[24:25], s[14:15]
	s_wait_alu 0xfffe
	s_lshl_b64 s[2:3], s[2:3], 2
	v_cndmask_b32_e64 v8, 0x7f800000, v8, s4
	v_dual_add_f32 v11, v11, v12 :: v_dual_sub_f32 v12, v13, v7
	s_delay_alu instid0(VALU_DEP_1) | instskip(NEXT) | instid1(VALU_DEP_1)
	v_exp_f32_e32 v11, v11
	v_mul_f32_e32 v13, 0x3fb8aa3b, v12
	v_cmp_ngt_f32_e64 s5, 0xc2ce8ed0, v10
	v_cmp_nlt_f32_e64 s6, 0x42b17218, v10
	v_cmp_ngt_f32_e64 s7, 0xc2ce8ed0, v12
	v_cmp_nlt_f32_e64 s8, 0x42b17218, v12
	v_fma_f32 v15, 0x3fb8aa3b, v12, -v13
	v_rndne_f32_e32 v16, v13
	s_delay_alu instid0(TRANS32_DEP_1) | instskip(NEXT) | instid1(VALU_DEP_3)
	v_ldexp_f32 v11, v11, v14
	v_fmac_f32_e32 v15, 0x32a5705f, v12
	s_delay_alu instid0(VALU_DEP_3) | instskip(SKIP_1) | instid1(VALU_DEP_3)
	v_sub_f32_e32 v13, v13, v16
	s_wait_alu 0xf1ff
	v_cndmask_b32_e64 v11, 0, v11, s5
	v_cmp_gt_u32_e64 s5, s29, v70
	s_delay_alu instid0(VALU_DEP_3) | instskip(SKIP_1) | instid1(VALU_DEP_4)
	v_add_f32_e32 v13, v13, v15
	v_mul_lo_u32 v15, s14, v75
	v_cndmask_b32_e64 v11, 0x7f800000, v11, s6
	s_wait_alu 0xf1ff
	v_cndmask_b32_e64 v69, 0, v9, s5
	v_exp_f32_e32 v10, v13
	v_cvt_i32_f32_e32 v13, v16
	v_cndmask_b32_e64 v68, 0, v8, s5
	v_cndmask_b32_e64 v67, 0, v11, s5
	v_ashrrev_i32_e32 v16, 31, v15
	s_lshl_b32 s6, s14, 4
	s_delay_alu instid0(VALU_DEP_2) | instskip(NEXT) | instid1(VALU_DEP_2)
	v_cvt_f16_f32_e32 v8, v67
	v_lshlrev_b64_e32 v[17:18], 2, v[15:16]
	s_delay_alu instid0(TRANS32_DEP_1) | instskip(NEXT) | instid1(VALU_DEP_1)
	v_ldexp_f32 v10, v10, v13
	v_cndmask_b32_e64 v10, 0, v10, s7
	s_delay_alu instid0(VALU_DEP_1) | instskip(NEXT) | instid1(VALU_DEP_1)
	v_cndmask_b32_e64 v10, 0x7f800000, v10, s8
	v_cndmask_b32_e64 v66, 0, v10, s5
	v_cvt_f16_f32_e32 v10, v68
	s_wait_alu 0xfffe
	s_add_nc_u64 s[4:5], s[26:27], s[2:3]
	s_delay_alu instid0(VALU_DEP_2) | instskip(NEXT) | instid1(VALU_DEP_1)
	v_cvt_f16_f32_e32 v9, v66
	v_pack_b32_f16 v9, v8, v9
	v_cvt_f16_f32_e32 v8, v69
	s_delay_alu instid0(VALU_DEP_1)
	v_pack_b32_f16 v8, v8, v10
	v_lshl_add_u32 v10, v70, 3, v44
	v_add_nc_u32_e32 v70, 16, v75
	ds_store_b64 v10, v[8:9]
	s_wait_alu 0xfffe
	v_add_co_u32 v8, s2, s4, v17
	s_wait_alu 0xf1ff
	v_add_co_ci_u32_e64 v9, null, s5, v18, s2
	v_lshl_or_b32 v72, v70, 8, v37
	s_delay_alu instid0(VALU_DEP_3) | instskip(SKIP_1) | instid1(VALU_DEP_3)
	v_add_co_u32 v8, s3, v8, v37
	s_wait_alu 0xf1ff
	v_add_co_ci_u32_e64 v9, null, 0, v9, s3
	s_wait_alu 0xfffd
	s_delay_alu instid0(VALU_DEP_2) | instskip(NEXT) | instid1(VALU_DEP_2)
	v_cndmask_b32_e32 v11, 0, v8, vcc_lo
	v_cndmask_b32_e32 v12, s9, v9, vcc_lo
	v_cmp_gt_i32_e32 vcc_lo, s29, v70
	v_dual_mov_b32 v8, s40 :: v_dual_mov_b32 v9, s41
	v_mov_b32_e32 v10, s42
	s_clause 0x1
	scratch_store_b32 off, v38, off
	scratch_store_b96 off, v[8:10], off offset:4
	flat_load_b128 v[11:14], v[11:12]
	s_wait_loadcnt_dscnt 0x0
	ds_store_b128 v74, v[11:14]
	v_add_nc_u32_e32 v11, s6, v15
	s_delay_alu instid0(VALU_DEP_1) | instskip(NEXT) | instid1(VALU_DEP_1)
	v_ashrrev_i32_e32 v12, 31, v11
	v_lshlrev_b64_e32 v[13:14], 2, v[11:12]
	v_add_nc_u32_e32 v11, s6, v11
	s_delay_alu instid0(VALU_DEP_2) | instskip(SKIP_1) | instid1(VALU_DEP_3)
	v_add_co_u32 v12, s2, s4, v13
	s_wait_alu 0xf1ff
	v_add_co_ci_u32_e64 v15, null, s5, v14, s2
	s_delay_alu instid0(VALU_DEP_2) | instskip(SKIP_1) | instid1(VALU_DEP_2)
	v_add_co_u32 v12, s3, v12, v37
	s_wait_alu 0xf1ff
	v_add_co_ci_u32_e64 v16, null, 0, v15, s3
	s_wait_alu 0xfffd
	s_delay_alu instid0(VALU_DEP_2)
	v_cndmask_b32_e32 v15, 0, v12, vcc_lo
	s_clause 0x1
	scratch_store_b32 off, v38, off
	scratch_store_b96 off, v[8:10], off offset:4
	v_cndmask_b32_e32 v16, s9, v16, vcc_lo
	v_ashrrev_i32_e32 v12, 31, v11
	v_cmp_gt_i32_e32 vcc_lo, s29, v71
	flat_load_b128 v[76:79], v[15:16]
	v_lshlrev_b64_e32 v[15:16], 2, v[11:12]
	v_add_nc_u32_e32 v11, s6, v11
	s_delay_alu instid0(VALU_DEP_2) | instskip(SKIP_1) | instid1(VALU_DEP_3)
	v_add_co_u32 v12, s2, s4, v15
	s_wait_alu 0xf1ff
	v_add_co_ci_u32_e64 v39, null, s5, v16, s2
	s_delay_alu instid0(VALU_DEP_2) | instskip(SKIP_1) | instid1(VALU_DEP_2)
	v_add_co_u32 v12, s3, v12, v37
	s_wait_alu 0xf1ff
	v_add_co_ci_u32_e64 v39, null, 0, v39, s3
	s_wait_loadcnt_dscnt 0x0
	ds_store_b128 v72, v[76:79]
	s_wait_alu 0xfffd
	v_cndmask_b32_e32 v76, 0, v12, vcc_lo
	v_cndmask_b32_e32 v77, s9, v39, vcc_lo
	s_clause 0x1
	scratch_store_b32 off, v38, off
	scratch_store_b96 off, v[8:10], off offset:4
	v_ashrrev_i32_e32 v12, 31, v11
	v_add_nc_u32_e32 v39, 48, v75
	flat_load_b128 v[76:79], v[76:77]
	v_lshlrev_b64_e32 v[11:12], 2, v[11:12]
	v_cmp_gt_i32_e32 vcc_lo, s29, v39
	s_delay_alu instid0(VALU_DEP_2) | instskip(NEXT) | instid1(VALU_DEP_1)
	v_add_co_u32 v44, s2, s4, v11
	v_add_co_u32 v44, s3, v44, v37
	s_wait_loadcnt_dscnt 0x0
	ds_store_b128 v73, v[76:79]
	s_wait_alu 0xf1ff
	v_add_co_ci_u32_e64 v76, null, s5, v12, s2
	s_clause 0x1
	scratch_store_b32 off, v38, off
	scratch_store_b96 off, v[8:10], off offset:4
	v_add_co_ci_u32_e64 v77, null, 0, v76, s3
	s_wait_alu 0xfffd
	v_cndmask_b32_e32 v76, 0, v44, vcc_lo
	v_lshl_or_b32 v44, v39, 8, v37
	s_delay_alu instid0(VALU_DEP_3)
	v_cndmask_b32_e32 v77, s9, v77, vcc_lo
	flat_load_b128 v[76:79], v[76:77]
	s_wait_loadcnt_dscnt 0x0
	ds_store_b128 v44, v[76:79]
	v_dual_sub_f32 v76, v0, v4 :: v_dual_sub_f32 v77, v1, v5
	v_sub_f32_e32 v78, v2, v6
	s_wait_storecnt_dscnt 0x0
	s_barrier_signal -1
	s_barrier_wait -1
	global_inv scope:SCOPE_SE
	ds_load_b128 v[0:3], v35 offset:18432
	v_cmp_ngt_f32_e32 vcc_lo, 0xc2ce8ed0, v76
	v_cmp_nlt_f32_e64 s2, 0x42b17218, v76
	v_cmp_ngt_f32_e64 s3, 0xc2ce8ed0, v77
	v_cmp_nlt_f32_e64 s4, 0x42b17218, v77
	v_cmp_ngt_f32_e64 s5, 0xc2ce8ed0, v78
	v_cmp_nlt_f32_e64 s6, 0x42b17218, v78
	s_wait_dscnt 0x0
	v_lshrrev_b32_e32 v81, 16, v0
	v_and_b32_e32 v79, 0xffff, v0
	v_mul_f32_e32 v0, 0x3fb8aa3b, v76
	v_lshrrev_b32_e32 v82, 16, v1
	v_and_b32_e32 v83, 0xffff, v1
	v_lshrrev_b32_e32 v84, 16, v2
	v_and_b32_e32 v86, 0xffff, v2
	v_fma_f32 v1, 0x3fb8aa3b, v76, -v0
	v_mul_f32_e32 v2, 0x3fb8aa3b, v77
	v_lshrrev_b32_e32 v85, 16, v3
	v_and_b32_e32 v87, 0xffff, v3
	v_mul_u32_u24_e32 v88, 0x10001, v79
	v_fmac_f32_e32 v1, 0x32a5705f, v76
	v_fma_f32 v3, 0x3fb8aa3b, v77, -v2
	v_mul_f32_e32 v76, 0x3fb8aa3b, v78
	v_mul_u32_u24_e32 v81, 0x10001, v81
	v_mul_u32_u24_e32 v83, 0x10001, v83
	s_delay_alu instid0(VALU_DEP_4) | instskip(NEXT) | instid1(VALU_DEP_4)
	v_fmac_f32_e32 v3, 0x32a5705f, v77
	v_fma_f32 v77, 0x3fb8aa3b, v78, -v76
	s_delay_alu instid0(VALU_DEP_1) | instskip(SKIP_1) | instid1(VALU_DEP_1)
	v_fmac_f32_e32 v77, 0x32a5705f, v78
	v_rndne_f32_e32 v78, v0
	v_sub_f32_e32 v0, v0, v78
	s_delay_alu instid0(VALU_DEP_1) | instskip(SKIP_1) | instid1(VALU_DEP_2)
	v_add_f32_e32 v0, v0, v1
	v_rndne_f32_e32 v1, v2
	v_exp_f32_e32 v0, v0
	s_delay_alu instid0(VALU_DEP_1) | instskip(SKIP_1) | instid1(VALU_DEP_2)
	v_sub_f32_e32 v2, v2, v1
	v_cvt_i32_f32_e32 v1, v1
	v_add_f32_e32 v2, v2, v3
	v_rndne_f32_e32 v3, v76
	s_delay_alu instid0(VALU_DEP_2) | instskip(NEXT) | instid1(VALU_DEP_1)
	v_exp_f32_e32 v2, v2
	v_sub_f32_e32 v76, v76, v3
	v_cvt_i32_f32_e32 v3, v3
	s_delay_alu instid0(VALU_DEP_2) | instskip(SKIP_1) | instid1(TRANS32_DEP_1)
	v_add_f32_e32 v76, v76, v77
	v_cvt_i32_f32_e32 v77, v78
	v_ldexp_f32 v1, v2, v1
	s_delay_alu instid0(VALU_DEP_3) | instskip(NEXT) | instid1(VALU_DEP_2)
	v_exp_f32_e32 v2, v76
	v_ldexp_f32 v0, v0, v77
	ds_load_2addr_b64 v[76:79], v36 offset1:32
	s_wait_alu 0xf1ff
	v_cndmask_b32_e64 v1, 0, v1, s3
	s_wait_alu 0xfffd
	v_cndmask_b32_e32 v0, 0, v0, vcc_lo
	s_delay_alu instid0(VALU_DEP_2) | instskip(SKIP_1) | instid1(VALU_DEP_3)
	v_cndmask_b32_e64 v1, 0x7f800000, v1, s4
	v_ldexp_f32 v2, v2, v3
	v_cndmask_b32_e64 v0, 0x7f800000, v0, s2
	s_delay_alu instid0(VALU_DEP_2) | instskip(NEXT) | instid1(VALU_DEP_2)
	v_cndmask_b32_e64 v2, 0, v2, s5
	v_cvt_f16_f32_e32 v3, v0
	s_delay_alu instid0(VALU_DEP_2) | instskip(NEXT) | instid1(VALU_DEP_2)
	v_cndmask_b32_e64 v2, 0x7f800000, v2, s6
	v_and_b32_e32 v3, 0xffff, v3
	s_wait_dscnt 0x0
	v_pk_mul_f16 v89, v76, v88
	v_pk_mul_f16 v91, v76, v83
	s_delay_alu instid0(VALU_DEP_3) | instskip(NEXT) | instid1(VALU_DEP_1)
	v_mul_u32_u24_e32 v3, 0x10001, v3
	v_pk_fma_f16 v47, v47, v3, v89
	v_pk_mul_f16 v49, v49, v3
	v_cvt_f16_f32_e32 v3, v1
	v_pk_mul_f16 v89, v76, v81
	s_delay_alu instid0(VALU_DEP_3) | instskip(NEXT) | instid1(VALU_DEP_3)
	v_pk_fma_f16 v49, v77, v88, v49
	v_and_b32_e32 v3, 0xffff, v3
	s_delay_alu instid0(VALU_DEP_1) | instskip(NEXT) | instid1(VALU_DEP_1)
	v_mul_u32_u24_e32 v3, 0x10001, v3
	v_pk_fma_f16 v45, v45, v3, v89
	v_pk_mul_f16 v46, v46, v3
	v_mul_f32_e32 v3, 0x3fb8aa3b, v80
	s_delay_alu instid0(VALU_DEP_2) | instskip(NEXT) | instid1(VALU_DEP_2)
	v_pk_fma_f16 v46, v77, v81, v46
	v_fma_f32 v89, 0x3fb8aa3b, v80, -v3
	v_rndne_f32_e32 v90, v3
	s_delay_alu instid0(VALU_DEP_2) | instskip(NEXT) | instid1(VALU_DEP_2)
	v_fmac_f32_e32 v89, 0x32a5705f, v80
	v_sub_f32_e32 v3, v3, v90
	s_delay_alu instid0(VALU_DEP_1) | instskip(SKIP_1) | instid1(VALU_DEP_2)
	v_add_f32_e32 v3, v3, v89
	v_cvt_f16_f32_e32 v89, v2
	v_exp_f32_e32 v3, v3
	s_delay_alu instid0(VALU_DEP_1) | instskip(SKIP_2) | instid1(VALU_DEP_3)
	v_and_b32_e32 v89, 0xffff, v89
	v_cmp_ngt_f32_e32 vcc_lo, 0xc2ce8ed0, v80
	v_cmp_nlt_f32_e64 s2, 0x42b17218, v80
	v_mul_u32_u24_e32 v89, 0x10001, v89
	s_delay_alu instid0(VALU_DEP_1) | instskip(SKIP_2) | instid1(VALU_DEP_2)
	v_pk_fma_f16 v42, v42, v89, v91
	v_pk_mul_f16 v43, v43, v89
	v_cvt_i32_f32_e32 v89, v90
	v_pk_fma_f16 v43, v77, v83, v43
	s_delay_alu instid0(TRANS32_DEP_1) | instid1(VALU_DEP_2)
	v_ldexp_f32 v3, v3, v89
	s_wait_alu 0xfffd
	s_delay_alu instid0(VALU_DEP_1) | instskip(SKIP_1) | instid1(VALU_DEP_1)
	v_cndmask_b32_e32 v3, 0, v3, vcc_lo
	s_wait_alu 0xf1ff
	v_cndmask_b32_e64 v3, 0x7f800000, v3, s2
	s_or_b32 s2, s24, 64
	s_wait_alu 0xfffe
	s_ashr_i32 s3, s2, 31
	s_delay_alu instid0(VALU_DEP_1)
	v_cvt_f16_f32_e32 v80, v3
	s_wait_alu 0xfffe
	s_mul_u64 s[2:3], s[2:3], s[14:15]
	s_wait_alu 0xfffe
	s_lshl_b64 s[2:3], s[2:3], 2
	v_and_b32_e32 v80, 0xffff, v80
	s_wait_alu 0xfffe
	s_add_nc_u64 s[4:5], s[26:27], s[2:3]
	s_sub_co_i32 s3, s29, 64
	s_wait_alu 0xfffe
	v_add_co_u32 v17, vcc_lo, s4, v17
	v_mul_u32_u24_e32 v80, 0x10001, v80
	s_wait_alu 0xfffd
	v_add_co_ci_u32_e64 v18, null, s5, v18, vcc_lo
	s_delay_alu instid0(VALU_DEP_3) | instskip(NEXT) | instid1(VALU_DEP_3)
	v_add_co_u32 v17, s2, v17, v37
	v_pk_mul_f16 v41, v41, v80
	v_pk_mul_f16 v40, v40, v80
	v_mul_u32_u24_e32 v80, 0x10001, v82
	v_cmp_gt_i32_e32 vcc_lo, s3, v75
	s_wait_alu 0xf1ff
	v_add_co_ci_u32_e64 v18, null, 0, v18, s2
	s_delay_alu instid0(VALU_DEP_3)
	v_pk_fma_f16 v41, v76, v80, v41
	v_pk_fma_f16 v40, v77, v80, v40
	v_mul_u32_u24_e32 v76, 0x10001, v85
	s_wait_alu 0xfffd
	v_cndmask_b32_e32 v17, 0, v17, vcc_lo
	v_cndmask_b32_e32 v18, s9, v18, vcc_lo
	v_add_co_u32 v13, vcc_lo, s4, v13
	v_pk_fma_f16 v77, v78, v76, v41
	v_pk_fma_f16 v76, v79, v76, v40
	v_mul_u32_u24_e32 v40, 0x10001, v86
	s_wait_alu 0xfffd
	v_add_co_ci_u32_e64 v14, null, s5, v14, vcc_lo
	v_add_co_u32 v13, s2, v13, v37
	s_delay_alu instid0(VALU_DEP_3)
	v_pk_fma_f16 v49, v79, v40, v49
	v_pk_fma_f16 v47, v78, v40, v47
	v_mul_u32_u24_e32 v40, 0x10001, v84
	v_cmp_gt_i32_e32 vcc_lo, s3, v70
	s_wait_alu 0xf1ff
	v_add_co_ci_u32_e64 v14, null, 0, v14, s2
	s_delay_alu instid0(VALU_DEP_3)
	v_pk_fma_f16 v46, v79, v40, v46
	v_pk_fma_f16 v45, v78, v40, v45
	v_mul_u32_u24_e32 v40, 0x10001, v87
	s_wait_alu 0xfffd
	v_cndmask_b32_e32 v13, 0, v13, vcc_lo
	v_cndmask_b32_e32 v14, s9, v14, vcc_lo
	s_delay_alu instid0(VALU_DEP_3)
	v_pk_fma_f16 v79, v79, v40, v43
	v_pk_fma_f16 v78, v78, v40, v42
	ds_load_b128 v[40:43], v35 offset:18448
	s_wait_dscnt 0x0
	v_lshrrev_b32_e32 v80, 16, v40
	v_lshrrev_b32_e32 v81, 16, v41
	v_and_b32_e32 v82, 0xffff, v40
	v_and_b32_e32 v83, 0xffff, v41
	v_lshrrev_b32_e32 v84, 16, v42
	v_lshrrev_b32_e32 v85, 16, v43
	v_and_b32_e32 v86, 0xffff, v42
	v_and_b32_e32 v87, 0xffff, v43
	ds_load_2addr_b64 v[40:43], v36 offset0:64 offset1:96
	v_mul_u32_u24_e32 v81, 0x10001, v81
	v_mul_u32_u24_e32 v80, 0x10001, v80
	s_wait_dscnt 0x0
	s_delay_alu instid0(VALU_DEP_2)
	v_pk_fma_f16 v77, v40, v81, v77
	v_pk_fma_f16 v76, v41, v81, v76
	v_mul_u32_u24_e32 v81, 0x10001, v82
	v_pk_fma_f16 v46, v41, v80, v46
	v_pk_fma_f16 v45, v40, v80, v45
	v_mul_u32_u24_e32 v80, 0x10001, v83
	s_delay_alu instid0(VALU_DEP_4) | instskip(SKIP_1) | instid1(VALU_DEP_3)
	v_pk_fma_f16 v47, v40, v81, v47
	v_pk_fma_f16 v49, v41, v81, v49
	;; [unrolled: 1-line block ×3, first 2 shown]
	v_mul_u32_u24_e32 v78, 0x10001, v85
	v_pk_fma_f16 v41, v41, v80, v79
	s_delay_alu instid0(VALU_DEP_2) | instskip(SKIP_2) | instid1(VALU_DEP_1)
	v_pk_fma_f16 v77, v42, v78, v77
	v_pk_fma_f16 v76, v43, v78, v76
	v_mul_u32_u24_e32 v78, 0x10001, v86
	v_pk_fma_f16 v49, v43, v78, v49
	v_pk_fma_f16 v47, v42, v78, v47
	v_mul_u32_u24_e32 v78, 0x10001, v84
	s_delay_alu instid0(VALU_DEP_1) | instskip(SKIP_2) | instid1(VALU_DEP_1)
	v_pk_fma_f16 v46, v43, v78, v46
	v_pk_fma_f16 v45, v42, v78, v45
	v_mul_u32_u24_e32 v78, 0x10001, v87
	v_pk_fma_f16 v79, v43, v78, v41
	v_pk_fma_f16 v78, v42, v78, v40
	ds_load_b128 v[40:43], v35 offset:18464
	s_wait_dscnt 0x0
	v_lshrrev_b32_e32 v80, 16, v40
	v_lshrrev_b32_e32 v81, 16, v41
	v_and_b32_e32 v82, 0xffff, v40
	v_and_b32_e32 v83, 0xffff, v41
	v_lshrrev_b32_e32 v84, 16, v42
	v_lshrrev_b32_e32 v85, 16, v43
	v_and_b32_e32 v86, 0xffff, v42
	v_and_b32_e32 v87, 0xffff, v43
	ds_load_2addr_b64 v[40:43], v36 offset0:128 offset1:160
	v_mul_u32_u24_e32 v81, 0x10001, v81
	v_mul_u32_u24_e32 v80, 0x10001, v80
	s_wait_dscnt 0x0
	s_delay_alu instid0(VALU_DEP_2)
	v_pk_fma_f16 v77, v40, v81, v77
	v_pk_fma_f16 v76, v41, v81, v76
	v_mul_u32_u24_e32 v81, 0x10001, v82
	v_pk_fma_f16 v46, v41, v80, v46
	v_pk_fma_f16 v45, v40, v80, v45
	v_mul_u32_u24_e32 v80, 0x10001, v83
	s_delay_alu instid0(VALU_DEP_4) | instskip(SKIP_1) | instid1(VALU_DEP_3)
	v_pk_fma_f16 v47, v40, v81, v47
	v_pk_fma_f16 v49, v41, v81, v49
	;; [unrolled: 1-line block ×3, first 2 shown]
	v_mul_u32_u24_e32 v78, 0x10001, v85
	v_pk_fma_f16 v41, v41, v80, v79
	s_delay_alu instid0(VALU_DEP_2) | instskip(SKIP_2) | instid1(VALU_DEP_1)
	v_pk_fma_f16 v77, v42, v78, v77
	v_pk_fma_f16 v76, v43, v78, v76
	v_mul_u32_u24_e32 v78, 0x10001, v86
	v_pk_fma_f16 v49, v43, v78, v49
	v_pk_fma_f16 v47, v42, v78, v47
	v_mul_u32_u24_e32 v78, 0x10001, v84
	s_delay_alu instid0(VALU_DEP_1) | instskip(SKIP_2) | instid1(VALU_DEP_1)
	v_pk_fma_f16 v46, v43, v78, v46
	v_pk_fma_f16 v45, v42, v78, v45
	v_mul_u32_u24_e32 v78, 0x10001, v87
	v_pk_fma_f16 v79, v43, v78, v41
	v_pk_fma_f16 v78, v42, v78, v40
	ds_load_b128 v[40:43], v35 offset:18480
	s_wait_dscnt 0x0
	v_lshrrev_b32_e32 v80, 16, v40
	v_lshrrev_b32_e32 v81, 16, v41
	v_and_b32_e32 v82, 0xffff, v40
	v_and_b32_e32 v83, 0xffff, v41
	v_lshrrev_b32_e32 v84, 16, v42
	v_lshrrev_b32_e32 v85, 16, v43
	v_and_b32_e32 v86, 0xffff, v42
	v_and_b32_e32 v87, 0xffff, v43
	ds_load_2addr_b64 v[40:43], v36 offset0:192 offset1:224
	v_mul_u32_u24_e32 v81, 0x10001, v81
	v_mul_u32_u24_e32 v80, 0x10001, v80
	s_wait_dscnt 0x0
	s_delay_alu instid0(VALU_DEP_2)
	v_pk_fma_f16 v77, v40, v81, v77
	v_pk_fma_f16 v76, v41, v81, v76
	v_mul_u32_u24_e32 v81, 0x10001, v82
	v_pk_fma_f16 v46, v41, v80, v46
	v_pk_fma_f16 v45, v40, v80, v45
	v_mul_u32_u24_e32 v80, 0x10001, v83
	s_delay_alu instid0(VALU_DEP_4) | instskip(SKIP_1) | instid1(VALU_DEP_3)
	v_pk_fma_f16 v47, v40, v81, v47
	v_pk_fma_f16 v49, v41, v81, v49
	v_pk_fma_f16 v40, v40, v80, v78
	v_mul_u32_u24_e32 v78, 0x10001, v85
	v_pk_fma_f16 v41, v41, v80, v79
	s_delay_alu instid0(VALU_DEP_2) | instskip(SKIP_2) | instid1(VALU_DEP_2)
	v_pk_fma_f16 v81, v43, v78, v76
	v_mul_u32_u24_e32 v76, 0x10001, v86
	v_pk_fma_f16 v80, v42, v78, v77
	v_pk_fma_f16 v49, v43, v76, v49
	;; [unrolled: 1-line block ×3, first 2 shown]
	v_mul_u32_u24_e32 v76, 0x10001, v84
	s_delay_alu instid0(VALU_DEP_1) | instskip(SKIP_2) | instid1(VALU_DEP_1)
	v_pk_fma_f16 v46, v43, v76, v46
	v_pk_fma_f16 v45, v42, v76, v45
	v_mul_u32_u24_e32 v76, 0x10001, v87
	v_pk_fma_f16 v82, v43, v76, v41
	v_pk_fma_f16 v83, v42, v76, v40
	ds_load_b128 v[40:43], v35 offset:18496
	s_wait_dscnt 0x0
	v_lshrrev_b32_e32 v84, 16, v40
	v_lshrrev_b32_e32 v76, 16, v41
	v_and_b32_e32 v85, 0xffff, v40
	v_add_nc_u32_e32 v40, 0x800, v36
	v_and_b32_e32 v41, 0xffff, v41
	v_lshrrev_b32_e32 v86, 16, v42
	v_mul_u32_u24_e32 v88, 0x10001, v76
	v_and_b32_e32 v42, 0xffff, v42
	ds_load_2addr_b64 v[76:79], v40 offset1:32
	v_mul_u32_u24_e32 v85, 0x10001, v85
	v_lshrrev_b32_e32 v87, 16, v43
	v_and_b32_e32 v43, 0xffff, v43
	v_mul_u32_u24_e32 v84, 0x10001, v84
	v_mul_u32_u24_e32 v41, 0x10001, v41
	;; [unrolled: 1-line block ×3, first 2 shown]
	s_delay_alu instid0(VALU_DEP_4)
	v_mul_u32_u24_e32 v43, 0x10001, v43
	s_wait_dscnt 0x0
	v_pk_fma_f16 v49, v77, v85, v49
	v_pk_fma_f16 v47, v76, v85, v47
	;; [unrolled: 1-line block ×8, first 2 shown]
	v_mul_u32_u24_e32 v76, 0x10001, v87
	v_pk_fma_f16 v49, v79, v42, v49
	v_pk_fma_f16 v42, v78, v42, v47
	v_mul_u32_u24_e32 v47, 0x10001, v86
	v_pk_fma_f16 v41, v78, v43, v41
	v_pk_fma_f16 v80, v78, v76, v80
	;; [unrolled: 1-line block ×3, first 2 shown]
	s_delay_alu instid0(VALU_DEP_4)
	v_pk_fma_f16 v46, v79, v47, v46
	v_pk_fma_f16 v45, v78, v47, v45
	;; [unrolled: 1-line block ×3, first 2 shown]
	ds_load_b128 v[76:79], v35 offset:18512
	s_wait_dscnt 0x0
	v_lshrrev_b32_e32 v43, 16, v76
	v_lshrrev_b32_e32 v82, 16, v77
	v_and_b32_e32 v83, 0xffff, v76
	v_and_b32_e32 v84, 0xffff, v77
	v_lshrrev_b32_e32 v85, 16, v78
	v_lshrrev_b32_e32 v86, 16, v79
	v_and_b32_e32 v87, 0xffff, v78
	v_and_b32_e32 v88, 0xffff, v79
	ds_load_2addr_b64 v[76:79], v40 offset0:64 offset1:96
	v_mul_u32_u24_e32 v82, 0x10001, v82
	v_mul_u32_u24_e32 v43, 0x10001, v43
	s_wait_dscnt 0x0
	s_delay_alu instid0(VALU_DEP_2)
	v_pk_fma_f16 v80, v76, v82, v80
	v_pk_fma_f16 v81, v77, v82, v81
	v_mul_u32_u24_e32 v82, 0x10001, v83
	v_pk_fma_f16 v46, v77, v43, v46
	v_pk_fma_f16 v43, v76, v43, v45
	v_mul_u32_u24_e32 v45, 0x10001, v84
	s_delay_alu instid0(VALU_DEP_4) | instskip(SKIP_1) | instid1(VALU_DEP_3)
	v_pk_fma_f16 v49, v77, v82, v49
	v_pk_fma_f16 v42, v76, v82, v42
	;; [unrolled: 1-line block ×3, first 2 shown]
	v_mul_u32_u24_e32 v76, 0x10001, v87
	v_pk_fma_f16 v47, v77, v45, v47
	v_mul_u32_u24_e32 v45, 0x10001, v86
	s_delay_alu instid0(VALU_DEP_3) | instskip(SKIP_2) | instid1(VALU_DEP_4)
	v_pk_fma_f16 v49, v79, v76, v49
	v_pk_fma_f16 v42, v78, v76, v42
	v_mul_u32_u24_e32 v76, 0x10001, v85
	v_pk_fma_f16 v80, v78, v45, v80
	v_pk_fma_f16 v45, v79, v45, v81
	s_delay_alu instid0(VALU_DEP_3) | instskip(SKIP_2) | instid1(VALU_DEP_1)
	v_pk_fma_f16 v46, v79, v76, v46
	v_pk_fma_f16 v43, v78, v76, v43
	v_mul_u32_u24_e32 v76, 0x10001, v88
	v_pk_fma_f16 v47, v79, v76, v47
	v_pk_fma_f16 v41, v78, v76, v41
	ds_load_b128 v[76:79], v35 offset:18528
	s_wait_dscnt 0x0
	v_lshrrev_b32_e32 v81, 16, v76
	v_lshrrev_b32_e32 v82, 16, v77
	v_and_b32_e32 v83, 0xffff, v76
	v_and_b32_e32 v84, 0xffff, v77
	v_lshrrev_b32_e32 v85, 16, v78
	v_lshrrev_b32_e32 v86, 16, v79
	v_and_b32_e32 v87, 0xffff, v78
	v_and_b32_e32 v88, 0xffff, v79
	ds_load_2addr_b64 v[76:79], v40 offset0:128 offset1:160
	v_mul_u32_u24_e32 v82, 0x10001, v82
	v_mul_u32_u24_e32 v81, 0x10001, v81
	s_wait_dscnt 0x0
	s_delay_alu instid0(VALU_DEP_2)
	v_pk_fma_f16 v80, v76, v82, v80
	v_pk_fma_f16 v45, v77, v82, v45
	v_mul_u32_u24_e32 v82, 0x10001, v83
	v_pk_fma_f16 v46, v77, v81, v46
	v_pk_fma_f16 v43, v76, v81, v43
	v_mul_u32_u24_e32 v81, 0x10001, v84
	s_delay_alu instid0(VALU_DEP_4) | instskip(SKIP_1) | instid1(VALU_DEP_3)
	v_pk_fma_f16 v42, v76, v82, v42
	v_pk_fma_f16 v49, v77, v82, v49
	;; [unrolled: 1-line block ×3, first 2 shown]
	v_mul_u32_u24_e32 v76, 0x10001, v86
	v_pk_fma_f16 v47, v77, v81, v47
	s_delay_alu instid0(VALU_DEP_2) | instskip(SKIP_2) | instid1(VALU_DEP_1)
	v_pk_fma_f16 v80, v78, v76, v80
	v_pk_fma_f16 v45, v79, v76, v45
	v_mul_u32_u24_e32 v76, 0x10001, v87
	v_pk_fma_f16 v49, v79, v76, v49
	v_pk_fma_f16 v42, v78, v76, v42
	v_mul_u32_u24_e32 v76, 0x10001, v85
	s_delay_alu instid0(VALU_DEP_1) | instskip(SKIP_2) | instid1(VALU_DEP_1)
	v_pk_fma_f16 v46, v79, v76, v46
	v_pk_fma_f16 v43, v78, v76, v43
	v_mul_u32_u24_e32 v76, 0x10001, v88
	v_pk_fma_f16 v47, v79, v76, v47
	v_pk_fma_f16 v41, v78, v76, v41
	ds_load_b128 v[76:79], v35 offset:18544
	s_wait_dscnt 0x0
	v_lshrrev_b32_e32 v81, 16, v76
	v_lshrrev_b32_e32 v82, 16, v77
	v_and_b32_e32 v83, 0xffff, v76
	v_and_b32_e32 v84, 0xffff, v77
	v_lshrrev_b32_e32 v85, 16, v78
	v_lshrrev_b32_e32 v86, 16, v79
	v_and_b32_e32 v87, 0xffff, v78
	v_and_b32_e32 v88, 0xffff, v79
	ds_load_2addr_b64 v[76:79], v40 offset0:192 offset1:224
	v_mul_u32_u24_e32 v82, 0x10001, v82
	v_mul_u32_u24_e32 v81, 0x10001, v81
	s_wait_dscnt 0x0
	s_delay_alu instid0(VALU_DEP_2)
	v_pk_fma_f16 v80, v76, v82, v80
	v_pk_fma_f16 v45, v77, v82, v45
	v_mul_u32_u24_e32 v82, 0x10001, v83
	v_pk_fma_f16 v46, v77, v81, v46
	v_pk_fma_f16 v43, v76, v81, v43
	v_mul_u32_u24_e32 v81, 0x10001, v84
	s_delay_alu instid0(VALU_DEP_4) | instskip(SKIP_1) | instid1(VALU_DEP_3)
	v_pk_fma_f16 v42, v76, v82, v42
	v_pk_fma_f16 v49, v77, v82, v49
	v_pk_fma_f16 v41, v76, v81, v41
	v_mul_u32_u24_e32 v76, 0x10001, v86
	v_pk_fma_f16 v47, v77, v81, v47
	s_delay_alu instid0(VALU_DEP_2) | instskip(SKIP_2) | instid1(VALU_DEP_1)
	v_pk_fma_f16 v80, v78, v76, v80
	v_pk_fma_f16 v45, v79, v76, v45
	v_mul_u32_u24_e32 v76, 0x10001, v87
	v_pk_fma_f16 v49, v79, v76, v49
	v_pk_fma_f16 v42, v78, v76, v42
	v_mul_u32_u24_e32 v76, 0x10001, v85
	s_delay_alu instid0(VALU_DEP_1) | instskip(SKIP_2) | instid1(VALU_DEP_1)
	v_pk_fma_f16 v46, v79, v76, v46
	v_pk_fma_f16 v43, v78, v76, v43
	v_mul_u32_u24_e32 v76, 0x10001, v88
	v_pk_fma_f16 v47, v79, v76, v47
	v_pk_fma_f16 v81, v78, v76, v41
	ds_load_b128 v[76:79], v35 offset:18560
	s_wait_dscnt 0x0
	v_lshrrev_b32_e32 v41, 16, v77
	v_lshrrev_b32_e32 v82, 16, v76
	v_and_b32_e32 v83, 0xffff, v76
	v_and_b32_e32 v84, 0xffff, v77
	v_lshrrev_b32_e32 v85, 16, v78
	v_mul_u32_u24_e32 v89, 0x10001, v41
	v_add_nc_u32_e32 v41, 0x1000, v36
	v_lshrrev_b32_e32 v86, 16, v79
	v_and_b32_e32 v87, 0xffff, v78
	v_and_b32_e32 v88, 0xffff, v79
	v_mul_u32_u24_e32 v82, 0x10001, v82
	ds_load_2addr_b64 v[76:79], v41 offset1:32
	v_mul_u32_u24_e32 v83, 0x10001, v83
	s_wait_dscnt 0x0
	v_pk_fma_f16 v46, v77, v82, v46
	v_pk_fma_f16 v43, v76, v82, v43
	v_mul_u32_u24_e32 v82, 0x10001, v84
	v_pk_fma_f16 v80, v76, v89, v80
	v_pk_fma_f16 v45, v77, v89, v45
	;; [unrolled: 1-line block ×5, first 2 shown]
	v_mul_u32_u24_e32 v77, 0x10001, v86
	v_pk_fma_f16 v76, v76, v82, v81
	s_delay_alu instid0(VALU_DEP_2) | instskip(SKIP_2) | instid1(VALU_DEP_1)
	v_pk_fma_f16 v80, v78, v77, v80
	v_pk_fma_f16 v45, v79, v77, v45
	v_mul_u32_u24_e32 v77, 0x10001, v87
	v_pk_fma_f16 v49, v79, v77, v49
	v_pk_fma_f16 v42, v78, v77, v42
	v_mul_u32_u24_e32 v77, 0x10001, v85
	s_delay_alu instid0(VALU_DEP_1) | instskip(SKIP_2) | instid1(VALU_DEP_1)
	v_pk_fma_f16 v46, v79, v77, v46
	v_pk_fma_f16 v43, v78, v77, v43
	v_mul_u32_u24_e32 v77, 0x10001, v88
	v_pk_fma_f16 v47, v79, v77, v47
	v_pk_fma_f16 v81, v78, v77, v76
	ds_load_b128 v[76:79], v35 offset:18576
	s_wait_dscnt 0x0
	v_lshrrev_b32_e32 v82, 16, v76
	v_lshrrev_b32_e32 v83, 16, v77
	v_and_b32_e32 v84, 0xffff, v76
	v_and_b32_e32 v85, 0xffff, v77
	v_lshrrev_b32_e32 v86, 16, v78
	v_lshrrev_b32_e32 v87, 16, v79
	v_and_b32_e32 v88, 0xffff, v78
	v_and_b32_e32 v89, 0xffff, v79
	ds_load_2addr_b64 v[76:79], v41 offset0:64 offset1:96
	v_mul_u32_u24_e32 v83, 0x10001, v83
	v_mul_u32_u24_e32 v82, 0x10001, v82
	s_wait_dscnt 0x0
	s_delay_alu instid0(VALU_DEP_2)
	v_pk_fma_f16 v80, v76, v83, v80
	v_pk_fma_f16 v45, v77, v83, v45
	v_mul_u32_u24_e32 v83, 0x10001, v84
	v_pk_fma_f16 v46, v77, v82, v46
	v_pk_fma_f16 v43, v76, v82, v43
	v_mul_u32_u24_e32 v82, 0x10001, v85
	s_delay_alu instid0(VALU_DEP_4) | instskip(SKIP_1) | instid1(VALU_DEP_3)
	v_pk_fma_f16 v49, v77, v83, v49
	v_pk_fma_f16 v42, v76, v83, v42
	v_pk_fma_f16 v47, v77, v82, v47
	v_mul_u32_u24_e32 v77, 0x10001, v87
	v_pk_fma_f16 v76, v76, v82, v81
	s_delay_alu instid0(VALU_DEP_2) | instskip(SKIP_2) | instid1(VALU_DEP_1)
	v_pk_fma_f16 v80, v78, v77, v80
	v_pk_fma_f16 v45, v79, v77, v45
	v_mul_u32_u24_e32 v77, 0x10001, v88
	v_pk_fma_f16 v49, v79, v77, v49
	v_pk_fma_f16 v42, v78, v77, v42
	v_mul_u32_u24_e32 v77, 0x10001, v86
	s_delay_alu instid0(VALU_DEP_1) | instskip(SKIP_2) | instid1(VALU_DEP_1)
	v_pk_fma_f16 v46, v79, v77, v46
	v_pk_fma_f16 v43, v78, v77, v43
	v_mul_u32_u24_e32 v77, 0x10001, v89
	v_pk_fma_f16 v47, v79, v77, v47
	v_pk_fma_f16 v81, v78, v77, v76
	ds_load_b128 v[76:79], v35 offset:18592
	s_wait_dscnt 0x0
	v_lshrrev_b32_e32 v82, 16, v76
	v_lshrrev_b32_e32 v83, 16, v77
	v_and_b32_e32 v84, 0xffff, v76
	v_and_b32_e32 v85, 0xffff, v77
	v_lshrrev_b32_e32 v86, 16, v78
	v_lshrrev_b32_e32 v87, 16, v79
	v_and_b32_e32 v88, 0xffff, v78
	v_and_b32_e32 v89, 0xffff, v79
	ds_load_2addr_b64 v[76:79], v41 offset0:128 offset1:160
	v_mul_u32_u24_e32 v83, 0x10001, v83
	v_mul_u32_u24_e32 v82, 0x10001, v82
	s_wait_dscnt 0x0
	s_delay_alu instid0(VALU_DEP_2)
	v_pk_fma_f16 v80, v76, v83, v80
	v_pk_fma_f16 v45, v77, v83, v45
	v_mul_u32_u24_e32 v83, 0x10001, v84
	v_pk_fma_f16 v46, v77, v82, v46
	v_pk_fma_f16 v43, v76, v82, v43
	v_mul_u32_u24_e32 v82, 0x10001, v85
	s_delay_alu instid0(VALU_DEP_4) | instskip(SKIP_1) | instid1(VALU_DEP_3)
	v_pk_fma_f16 v49, v77, v83, v49
	v_pk_fma_f16 v42, v76, v83, v42
	v_pk_fma_f16 v47, v77, v82, v47
	;; [unrolled: 40-line block ×3, first 2 shown]
	v_mul_u32_u24_e32 v77, 0x10001, v87
	v_pk_fma_f16 v76, v76, v82, v81
	s_delay_alu instid0(VALU_DEP_2) | instskip(SKIP_2) | instid1(VALU_DEP_1)
	v_pk_fma_f16 v80, v78, v77, v80
	v_pk_fma_f16 v45, v79, v77, v45
	v_mul_u32_u24_e32 v77, 0x10001, v88
	v_pk_fma_f16 v81, v78, v77, v42
	v_mul_u32_u24_e32 v42, 0x10001, v86
	v_pk_fma_f16 v49, v79, v77, v49
	s_delay_alu instid0(VALU_DEP_2) | instskip(SKIP_2) | instid1(VALU_DEP_1)
	v_pk_fma_f16 v46, v79, v42, v46
	v_pk_fma_f16 v43, v78, v42, v43
	v_mul_u32_u24_e32 v42, 0x10001, v89
	v_pk_fma_f16 v47, v79, v42, v47
	v_pk_fma_f16 v82, v78, v42, v76
	ds_load_b128 v[76:79], v35 offset:18624
	s_wait_dscnt 0x0
	v_lshrrev_b32_e32 v42, 16, v77
	v_lshrrev_b32_e32 v83, 16, v76
	v_and_b32_e32 v84, 0xffff, v76
	v_and_b32_e32 v85, 0xffff, v77
	v_lshrrev_b32_e32 v86, 16, v78
	v_mul_u32_u24_e32 v90, 0x10001, v42
	v_add_nc_u32_e32 v42, 0x1800, v36
	v_lshrrev_b32_e32 v87, 16, v79
	v_and_b32_e32 v88, 0xffff, v78
	v_and_b32_e32 v89, 0xffff, v79
	v_mul_u32_u24_e32 v83, 0x10001, v83
	ds_load_2addr_b64 v[76:79], v42 offset1:32
	v_mul_u32_u24_e32 v84, 0x10001, v84
	s_wait_dscnt 0x0
	v_pk_fma_f16 v46, v77, v83, v46
	v_pk_fma_f16 v43, v76, v83, v43
	v_mul_u32_u24_e32 v83, 0x10001, v85
	v_pk_fma_f16 v80, v76, v90, v80
	v_pk_fma_f16 v45, v77, v90, v45
	v_pk_fma_f16 v49, v77, v84, v49
	v_pk_fma_f16 v81, v76, v84, v81
	v_pk_fma_f16 v47, v77, v83, v47
	v_mul_u32_u24_e32 v77, 0x10001, v87
	v_pk_fma_f16 v76, v76, v83, v82
	s_delay_alu instid0(VALU_DEP_2) | instskip(SKIP_2) | instid1(VALU_DEP_1)
	v_pk_fma_f16 v80, v78, v77, v80
	v_pk_fma_f16 v45, v79, v77, v45
	v_mul_u32_u24_e32 v77, 0x10001, v88
	v_pk_fma_f16 v49, v79, v77, v49
	v_pk_fma_f16 v81, v78, v77, v81
	v_mul_u32_u24_e32 v77, 0x10001, v86
	s_delay_alu instid0(VALU_DEP_1) | instskip(SKIP_2) | instid1(VALU_DEP_1)
	v_pk_fma_f16 v46, v79, v77, v46
	v_pk_fma_f16 v43, v78, v77, v43
	v_mul_u32_u24_e32 v77, 0x10001, v89
	v_pk_fma_f16 v47, v79, v77, v47
	v_pk_fma_f16 v82, v78, v77, v76
	ds_load_b128 v[76:79], v35 offset:18640
	s_wait_dscnt 0x0
	v_lshrrev_b32_e32 v83, 16, v76
	v_lshrrev_b32_e32 v84, 16, v77
	v_and_b32_e32 v85, 0xffff, v76
	v_and_b32_e32 v86, 0xffff, v77
	v_lshrrev_b32_e32 v87, 16, v78
	v_lshrrev_b32_e32 v88, 16, v79
	v_and_b32_e32 v89, 0xffff, v78
	v_and_b32_e32 v90, 0xffff, v79
	ds_load_2addr_b64 v[76:79], v42 offset0:64 offset1:96
	v_mul_u32_u24_e32 v84, 0x10001, v84
	v_mul_u32_u24_e32 v83, 0x10001, v83
	s_wait_dscnt 0x0
	s_delay_alu instid0(VALU_DEP_2)
	v_pk_fma_f16 v80, v76, v84, v80
	v_pk_fma_f16 v45, v77, v84, v45
	v_mul_u32_u24_e32 v84, 0x10001, v85
	v_pk_fma_f16 v46, v77, v83, v46
	v_pk_fma_f16 v43, v76, v83, v43
	v_mul_u32_u24_e32 v83, 0x10001, v86
	s_delay_alu instid0(VALU_DEP_4) | instskip(SKIP_1) | instid1(VALU_DEP_3)
	v_pk_fma_f16 v49, v77, v84, v49
	v_pk_fma_f16 v81, v76, v84, v81
	v_pk_fma_f16 v47, v77, v83, v47
	v_mul_u32_u24_e32 v77, 0x10001, v88
	v_pk_fma_f16 v76, v76, v83, v82
	s_delay_alu instid0(VALU_DEP_2) | instskip(SKIP_2) | instid1(VALU_DEP_1)
	v_pk_fma_f16 v80, v78, v77, v80
	v_pk_fma_f16 v45, v79, v77, v45
	v_mul_u32_u24_e32 v77, 0x10001, v89
	v_pk_fma_f16 v49, v79, v77, v49
	v_pk_fma_f16 v81, v78, v77, v81
	v_mul_u32_u24_e32 v77, 0x10001, v87
	s_delay_alu instid0(VALU_DEP_1) | instskip(SKIP_2) | instid1(VALU_DEP_1)
	v_pk_fma_f16 v46, v79, v77, v46
	v_pk_fma_f16 v43, v78, v77, v43
	v_mul_u32_u24_e32 v77, 0x10001, v90
	v_pk_fma_f16 v47, v79, v77, v47
	v_pk_fma_f16 v82, v78, v77, v76
	ds_load_b128 v[76:79], v35 offset:18656
	s_wait_dscnt 0x0
	v_lshrrev_b32_e32 v83, 16, v76
	v_lshrrev_b32_e32 v84, 16, v77
	v_and_b32_e32 v85, 0xffff, v76
	v_and_b32_e32 v86, 0xffff, v77
	v_lshrrev_b32_e32 v87, 16, v78
	v_lshrrev_b32_e32 v88, 16, v79
	v_and_b32_e32 v89, 0xffff, v78
	v_and_b32_e32 v90, 0xffff, v79
	ds_load_2addr_b64 v[76:79], v42 offset0:128 offset1:160
	v_mul_u32_u24_e32 v84, 0x10001, v84
	v_mul_u32_u24_e32 v83, 0x10001, v83
	s_wait_dscnt 0x0
	s_delay_alu instid0(VALU_DEP_2)
	v_pk_fma_f16 v80, v76, v84, v80
	v_pk_fma_f16 v45, v77, v84, v45
	v_mul_u32_u24_e32 v84, 0x10001, v85
	v_pk_fma_f16 v46, v77, v83, v46
	v_pk_fma_f16 v43, v76, v83, v43
	v_mul_u32_u24_e32 v83, 0x10001, v86
	s_delay_alu instid0(VALU_DEP_4) | instskip(SKIP_1) | instid1(VALU_DEP_3)
	v_pk_fma_f16 v49, v77, v84, v49
	v_pk_fma_f16 v81, v76, v84, v81
	v_pk_fma_f16 v47, v77, v83, v47
	v_mul_u32_u24_e32 v77, 0x10001, v88
	v_pk_fma_f16 v76, v76, v83, v82
	s_delay_alu instid0(VALU_DEP_2) | instskip(SKIP_2) | instid1(VALU_DEP_1)
	v_pk_fma_f16 v80, v78, v77, v80
	v_pk_fma_f16 v45, v79, v77, v45
	v_mul_u32_u24_e32 v77, 0x10001, v89
	v_pk_fma_f16 v49, v79, v77, v49
	v_pk_fma_f16 v81, v78, v77, v81
	v_mul_u32_u24_e32 v77, 0x10001, v87
	s_delay_alu instid0(VALU_DEP_1) | instskip(SKIP_2) | instid1(VALU_DEP_1)
	v_pk_fma_f16 v46, v79, v77, v46
	v_pk_fma_f16 v43, v78, v77, v43
	v_mul_u32_u24_e32 v77, 0x10001, v90
	v_pk_fma_f16 v47, v79, v77, v47
	v_pk_fma_f16 v82, v78, v77, v76
	ds_load_b128 v[76:79], v35 offset:18672
	s_wait_dscnt 0x0
	v_lshrrev_b32_e32 v83, 16, v76
	v_lshrrev_b32_e32 v84, 16, v77
	v_and_b32_e32 v85, 0xffff, v76
	v_and_b32_e32 v86, 0xffff, v77
	v_lshrrev_b32_e32 v87, 16, v78
	v_lshrrev_b32_e32 v88, 16, v79
	v_and_b32_e32 v89, 0xffff, v78
	v_and_b32_e32 v90, 0xffff, v79
	ds_load_2addr_b64 v[76:79], v42 offset0:192 offset1:224
	v_mul_u32_u24_e32 v84, 0x10001, v84
	v_mul_u32_u24_e32 v83, 0x10001, v83
	s_wait_dscnt 0x0
	s_delay_alu instid0(VALU_DEP_2)
	v_pk_fma_f16 v80, v76, v84, v80
	v_pk_fma_f16 v45, v77, v84, v45
	v_mul_u32_u24_e32 v84, 0x10001, v85
	v_pk_fma_f16 v46, v77, v83, v46
	v_pk_fma_f16 v43, v76, v83, v43
	v_mul_u32_u24_e32 v83, 0x10001, v86
	s_delay_alu instid0(VALU_DEP_4) | instskip(SKIP_1) | instid1(VALU_DEP_3)
	v_pk_fma_f16 v49, v77, v84, v49
	v_pk_fma_f16 v81, v76, v84, v81
	v_pk_fma_f16 v47, v77, v83, v47
	v_mul_u32_u24_e32 v77, 0x10001, v88
	v_pk_fma_f16 v76, v76, v83, v82
	s_delay_alu instid0(VALU_DEP_2) | instskip(SKIP_2) | instid1(VALU_DEP_1)
	v_pk_fma_f16 v80, v78, v77, v80
	v_pk_fma_f16 v45, v79, v77, v45
	v_mul_u32_u24_e32 v77, 0x10001, v89
	v_pk_fma_f16 v49, v79, v77, v49
	v_pk_fma_f16 v81, v78, v77, v81
	v_mul_u32_u24_e32 v77, 0x10001, v87
	s_delay_alu instid0(VALU_DEP_1) | instskip(SKIP_2) | instid1(VALU_DEP_2)
	v_pk_fma_f16 v82, v78, v77, v43
	v_mul_u32_u24_e32 v43, 0x10001, v90
	v_pk_fma_f16 v46, v79, v77, v46
	v_pk_fma_f16 v47, v79, v43, v47
	;; [unrolled: 1-line block ×3, first 2 shown]
	ds_load_b128 v[76:79], v35 offset:18688
	s_wait_dscnt 0x0
	v_lshrrev_b32_e32 v43, 16, v77
	v_lshrrev_b32_e32 v84, 16, v76
	v_and_b32_e32 v85, 0xffff, v76
	v_and_b32_e32 v86, 0xffff, v77
	v_lshrrev_b32_e32 v87, 16, v78
	v_mul_u32_u24_e32 v91, 0x10001, v43
	v_add_nc_u32_e32 v43, 0x2000, v36
	v_lshrrev_b32_e32 v88, 16, v79
	v_and_b32_e32 v89, 0xffff, v78
	v_and_b32_e32 v90, 0xffff, v79
	v_mul_u32_u24_e32 v84, 0x10001, v84
	ds_load_2addr_b64 v[76:79], v43 offset1:32
	v_mul_u32_u24_e32 v85, 0x10001, v85
	s_wait_dscnt 0x0
	v_pk_fma_f16 v46, v77, v84, v46
	v_pk_fma_f16 v82, v76, v84, v82
	v_mul_u32_u24_e32 v84, 0x10001, v86
	v_pk_fma_f16 v80, v76, v91, v80
	v_pk_fma_f16 v45, v77, v91, v45
	;; [unrolled: 1-line block ×5, first 2 shown]
	v_mul_u32_u24_e32 v77, 0x10001, v88
	v_pk_fma_f16 v76, v76, v84, v83
	s_delay_alu instid0(VALU_DEP_2) | instskip(SKIP_2) | instid1(VALU_DEP_1)
	v_pk_fma_f16 v80, v78, v77, v80
	v_pk_fma_f16 v45, v79, v77, v45
	v_mul_u32_u24_e32 v77, 0x10001, v89
	v_pk_fma_f16 v49, v79, v77, v49
	v_pk_fma_f16 v81, v78, v77, v81
	v_mul_u32_u24_e32 v77, 0x10001, v87
	s_delay_alu instid0(VALU_DEP_1) | instskip(SKIP_2) | instid1(VALU_DEP_1)
	v_pk_fma_f16 v46, v79, v77, v46
	v_pk_fma_f16 v82, v78, v77, v82
	v_mul_u32_u24_e32 v77, 0x10001, v90
	v_pk_fma_f16 v47, v79, v77, v47
	v_pk_fma_f16 v83, v78, v77, v76
	ds_load_b128 v[76:79], v35 offset:18704
	s_wait_dscnt 0x0
	v_lshrrev_b32_e32 v84, 16, v76
	v_lshrrev_b32_e32 v85, 16, v77
	v_and_b32_e32 v86, 0xffff, v76
	v_and_b32_e32 v87, 0xffff, v77
	v_lshrrev_b32_e32 v88, 16, v78
	v_lshrrev_b32_e32 v89, 16, v79
	v_and_b32_e32 v90, 0xffff, v78
	v_and_b32_e32 v91, 0xffff, v79
	ds_load_2addr_b64 v[76:79], v43 offset0:64 offset1:96
	v_mul_u32_u24_e32 v85, 0x10001, v85
	v_mul_u32_u24_e32 v84, 0x10001, v84
	s_wait_dscnt 0x0
	s_delay_alu instid0(VALU_DEP_2)
	v_pk_fma_f16 v80, v76, v85, v80
	v_pk_fma_f16 v45, v77, v85, v45
	v_mul_u32_u24_e32 v85, 0x10001, v86
	v_pk_fma_f16 v46, v77, v84, v46
	v_pk_fma_f16 v82, v76, v84, v82
	v_mul_u32_u24_e32 v84, 0x10001, v87
	s_delay_alu instid0(VALU_DEP_4) | instskip(SKIP_1) | instid1(VALU_DEP_3)
	v_pk_fma_f16 v49, v77, v85, v49
	v_pk_fma_f16 v81, v76, v85, v81
	v_pk_fma_f16 v47, v77, v84, v47
	v_mul_u32_u24_e32 v77, 0x10001, v89
	v_pk_fma_f16 v76, v76, v84, v83
	s_delay_alu instid0(VALU_DEP_2) | instskip(SKIP_2) | instid1(VALU_DEP_1)
	v_pk_fma_f16 v80, v78, v77, v80
	v_pk_fma_f16 v45, v79, v77, v45
	v_mul_u32_u24_e32 v77, 0x10001, v90
	v_pk_fma_f16 v49, v79, v77, v49
	v_pk_fma_f16 v81, v78, v77, v81
	v_mul_u32_u24_e32 v77, 0x10001, v88
	s_delay_alu instid0(VALU_DEP_1) | instskip(SKIP_2) | instid1(VALU_DEP_1)
	v_pk_fma_f16 v46, v79, v77, v46
	v_pk_fma_f16 v82, v78, v77, v82
	v_mul_u32_u24_e32 v77, 0x10001, v91
	v_pk_fma_f16 v47, v79, v77, v47
	v_pk_fma_f16 v83, v78, v77, v76
	ds_load_b128 v[76:79], v35 offset:18720
	s_wait_dscnt 0x0
	v_lshrrev_b32_e32 v84, 16, v76
	v_lshrrev_b32_e32 v85, 16, v77
	v_and_b32_e32 v86, 0xffff, v76
	v_and_b32_e32 v87, 0xffff, v77
	v_lshrrev_b32_e32 v88, 16, v78
	v_lshrrev_b32_e32 v89, 16, v79
	v_and_b32_e32 v90, 0xffff, v78
	v_and_b32_e32 v91, 0xffff, v79
	ds_load_2addr_b64 v[76:79], v43 offset0:128 offset1:160
	v_mul_u32_u24_e32 v85, 0x10001, v85
	v_mul_u32_u24_e32 v84, 0x10001, v84
	s_wait_dscnt 0x0
	s_delay_alu instid0(VALU_DEP_2)
	v_pk_fma_f16 v80, v76, v85, v80
	v_pk_fma_f16 v45, v77, v85, v45
	v_mul_u32_u24_e32 v85, 0x10001, v86
	v_pk_fma_f16 v46, v77, v84, v46
	v_pk_fma_f16 v82, v76, v84, v82
	v_mul_u32_u24_e32 v84, 0x10001, v87
	s_delay_alu instid0(VALU_DEP_4) | instskip(SKIP_1) | instid1(VALU_DEP_3)
	v_pk_fma_f16 v49, v77, v85, v49
	v_pk_fma_f16 v81, v76, v85, v81
	v_pk_fma_f16 v47, v77, v84, v47
	;; [unrolled: 40-line block ×3, first 2 shown]
	v_mul_u32_u24_e32 v77, 0x10001, v89
	v_pk_fma_f16 v76, v76, v84, v83
	s_delay_alu instid0(VALU_DEP_2) | instskip(SKIP_2) | instid1(VALU_DEP_2)
	v_pk_fma_f16 v83, v79, v77, v45
	v_mul_u32_u24_e32 v45, 0x10001, v90
	v_pk_fma_f16 v80, v78, v77, v80
	v_pk_fma_f16 v49, v79, v45, v49
	;; [unrolled: 1-line block ×3, first 2 shown]
	v_mul_u32_u24_e32 v45, 0x10001, v88
	s_delay_alu instid0(VALU_DEP_1) | instskip(SKIP_2) | instid1(VALU_DEP_1)
	v_pk_fma_f16 v46, v79, v45, v46
	v_pk_fma_f16 v82, v78, v45, v82
	v_mul_u32_u24_e32 v45, 0x10001, v91
	v_pk_fma_f16 v47, v79, v45, v47
	v_pk_fma_f16 v84, v78, v45, v76
	ds_load_b128 v[76:79], v35 offset:18752
	s_wait_dscnt 0x0
	v_lshrrev_b32_e32 v45, 16, v77
	v_lshrrev_b32_e32 v85, 16, v76
	v_and_b32_e32 v86, 0xffff, v76
	v_and_b32_e32 v87, 0xffff, v77
	v_lshrrev_b32_e32 v88, 16, v78
	v_mul_u32_u24_e32 v92, 0x10001, v45
	v_add_nc_u32_e32 v45, 0x2800, v36
	v_lshrrev_b32_e32 v89, 16, v79
	v_and_b32_e32 v90, 0xffff, v78
	v_and_b32_e32 v91, 0xffff, v79
	v_mul_u32_u24_e32 v85, 0x10001, v85
	ds_load_2addr_b64 v[76:79], v45 offset1:32
	v_mul_u32_u24_e32 v86, 0x10001, v86
	s_wait_dscnt 0x0
	v_pk_fma_f16 v46, v77, v85, v46
	v_pk_fma_f16 v82, v76, v85, v82
	v_mul_u32_u24_e32 v85, 0x10001, v87
	v_pk_fma_f16 v80, v76, v92, v80
	v_pk_fma_f16 v83, v77, v92, v83
	;; [unrolled: 1-line block ×5, first 2 shown]
	v_mul_u32_u24_e32 v77, 0x10001, v89
	v_pk_fma_f16 v76, v76, v85, v84
	s_delay_alu instid0(VALU_DEP_2) | instskip(SKIP_2) | instid1(VALU_DEP_1)
	v_pk_fma_f16 v80, v78, v77, v80
	v_pk_fma_f16 v83, v79, v77, v83
	v_mul_u32_u24_e32 v77, 0x10001, v90
	v_pk_fma_f16 v49, v79, v77, v49
	v_pk_fma_f16 v81, v78, v77, v81
	v_mul_u32_u24_e32 v77, 0x10001, v88
	s_delay_alu instid0(VALU_DEP_1) | instskip(SKIP_2) | instid1(VALU_DEP_1)
	v_pk_fma_f16 v46, v79, v77, v46
	v_pk_fma_f16 v82, v78, v77, v82
	v_mul_u32_u24_e32 v77, 0x10001, v91
	v_pk_fma_f16 v47, v79, v77, v47
	v_pk_fma_f16 v84, v78, v77, v76
	ds_load_b128 v[76:79], v35 offset:18768
	s_wait_dscnt 0x0
	v_lshrrev_b32_e32 v85, 16, v76
	v_lshrrev_b32_e32 v86, 16, v77
	v_and_b32_e32 v87, 0xffff, v76
	v_and_b32_e32 v88, 0xffff, v77
	v_lshrrev_b32_e32 v89, 16, v78
	v_lshrrev_b32_e32 v90, 16, v79
	v_and_b32_e32 v91, 0xffff, v78
	v_and_b32_e32 v92, 0xffff, v79
	ds_load_2addr_b64 v[76:79], v45 offset0:64 offset1:96
	v_mul_u32_u24_e32 v86, 0x10001, v86
	v_mul_u32_u24_e32 v85, 0x10001, v85
	s_wait_dscnt 0x0
	s_delay_alu instid0(VALU_DEP_2)
	v_pk_fma_f16 v80, v76, v86, v80
	v_pk_fma_f16 v83, v77, v86, v83
	v_mul_u32_u24_e32 v86, 0x10001, v87
	v_pk_fma_f16 v46, v77, v85, v46
	v_pk_fma_f16 v82, v76, v85, v82
	v_mul_u32_u24_e32 v85, 0x10001, v88
	s_delay_alu instid0(VALU_DEP_4) | instskip(SKIP_1) | instid1(VALU_DEP_3)
	v_pk_fma_f16 v49, v77, v86, v49
	v_pk_fma_f16 v81, v76, v86, v81
	v_pk_fma_f16 v47, v77, v85, v47
	v_mul_u32_u24_e32 v77, 0x10001, v90
	v_pk_fma_f16 v76, v76, v85, v84
	s_delay_alu instid0(VALU_DEP_2) | instskip(SKIP_2) | instid1(VALU_DEP_1)
	v_pk_fma_f16 v80, v78, v77, v80
	v_pk_fma_f16 v83, v79, v77, v83
	v_mul_u32_u24_e32 v77, 0x10001, v91
	v_pk_fma_f16 v49, v79, v77, v49
	v_pk_fma_f16 v81, v78, v77, v81
	v_mul_u32_u24_e32 v77, 0x10001, v89
	s_delay_alu instid0(VALU_DEP_1) | instskip(SKIP_2) | instid1(VALU_DEP_1)
	v_pk_fma_f16 v46, v79, v77, v46
	v_pk_fma_f16 v82, v78, v77, v82
	v_mul_u32_u24_e32 v77, 0x10001, v92
	v_pk_fma_f16 v47, v79, v77, v47
	v_pk_fma_f16 v84, v78, v77, v76
	ds_load_b128 v[76:79], v35 offset:18784
	s_wait_dscnt 0x0
	v_lshrrev_b32_e32 v85, 16, v76
	v_lshrrev_b32_e32 v86, 16, v77
	v_and_b32_e32 v87, 0xffff, v76
	v_and_b32_e32 v88, 0xffff, v77
	v_lshrrev_b32_e32 v89, 16, v78
	v_lshrrev_b32_e32 v90, 16, v79
	v_and_b32_e32 v91, 0xffff, v78
	v_and_b32_e32 v92, 0xffff, v79
	ds_load_2addr_b64 v[76:79], v45 offset0:128 offset1:160
	v_mul_u32_u24_e32 v86, 0x10001, v86
	v_mul_u32_u24_e32 v85, 0x10001, v85
	s_wait_dscnt 0x0
	s_delay_alu instid0(VALU_DEP_2)
	v_pk_fma_f16 v80, v76, v86, v80
	v_pk_fma_f16 v83, v77, v86, v83
	v_mul_u32_u24_e32 v86, 0x10001, v87
	v_pk_fma_f16 v46, v77, v85, v46
	v_pk_fma_f16 v82, v76, v85, v82
	v_mul_u32_u24_e32 v85, 0x10001, v88
	s_delay_alu instid0(VALU_DEP_4) | instskip(SKIP_1) | instid1(VALU_DEP_3)
	v_pk_fma_f16 v49, v77, v86, v49
	v_pk_fma_f16 v81, v76, v86, v81
	v_pk_fma_f16 v47, v77, v85, v47
	;; [unrolled: 40-line block ×3, first 2 shown]
	v_mul_u32_u24_e32 v77, 0x10001, v90
	v_pk_fma_f16 v76, v76, v85, v84
	s_delay_alu instid0(VALU_DEP_2) | instskip(SKIP_2) | instid1(VALU_DEP_1)
	v_pk_fma_f16 v80, v78, v77, v80
	v_pk_fma_f16 v83, v79, v77, v83
	v_mul_u32_u24_e32 v77, 0x10001, v91
	v_pk_fma_f16 v49, v79, v77, v49
	v_pk_fma_f16 v81, v78, v77, v81
	v_mul_u32_u24_e32 v77, 0x10001, v89
	s_delay_alu instid0(VALU_DEP_1) | instskip(SKIP_2) | instid1(VALU_DEP_2)
	v_pk_fma_f16 v84, v79, v77, v46
	v_mul_u32_u24_e32 v46, 0x10001, v92
	v_pk_fma_f16 v82, v78, v77, v82
	v_pk_fma_f16 v47, v79, v46, v47
	;; [unrolled: 1-line block ×3, first 2 shown]
	ds_load_b128 v[76:79], v35 offset:18816
	s_wait_dscnt 0x0
	v_lshrrev_b32_e32 v46, 16, v77
	v_lshrrev_b32_e32 v86, 16, v76
	v_and_b32_e32 v87, 0xffff, v76
	v_and_b32_e32 v88, 0xffff, v77
	v_lshrrev_b32_e32 v89, 16, v78
	v_mul_u32_u24_e32 v93, 0x10001, v46
	v_add_nc_u32_e32 v46, 0x3000, v36
	v_lshrrev_b32_e32 v90, 16, v79
	v_and_b32_e32 v91, 0xffff, v78
	v_and_b32_e32 v92, 0xffff, v79
	v_mul_u32_u24_e32 v86, 0x10001, v86
	ds_load_2addr_b64 v[76:79], v46 offset1:32
	v_mul_u32_u24_e32 v87, 0x10001, v87
	s_wait_dscnt 0x0
	v_pk_fma_f16 v84, v77, v86, v84
	v_pk_fma_f16 v82, v76, v86, v82
	v_mul_u32_u24_e32 v86, 0x10001, v88
	v_pk_fma_f16 v80, v76, v93, v80
	v_pk_fma_f16 v83, v77, v93, v83
	;; [unrolled: 1-line block ×5, first 2 shown]
	v_mul_u32_u24_e32 v77, 0x10001, v90
	v_pk_fma_f16 v76, v76, v86, v85
	s_delay_alu instid0(VALU_DEP_2) | instskip(SKIP_2) | instid1(VALU_DEP_1)
	v_pk_fma_f16 v80, v78, v77, v80
	v_pk_fma_f16 v83, v79, v77, v83
	v_mul_u32_u24_e32 v77, 0x10001, v91
	v_pk_fma_f16 v49, v79, v77, v49
	v_pk_fma_f16 v81, v78, v77, v81
	v_mul_u32_u24_e32 v77, 0x10001, v89
	s_delay_alu instid0(VALU_DEP_1) | instskip(SKIP_2) | instid1(VALU_DEP_1)
	v_pk_fma_f16 v84, v79, v77, v84
	v_pk_fma_f16 v82, v78, v77, v82
	v_mul_u32_u24_e32 v77, 0x10001, v92
	v_pk_fma_f16 v47, v79, v77, v47
	v_pk_fma_f16 v85, v78, v77, v76
	ds_load_b128 v[76:79], v35 offset:18832
	s_wait_dscnt 0x0
	v_lshrrev_b32_e32 v86, 16, v76
	v_lshrrev_b32_e32 v87, 16, v77
	v_and_b32_e32 v88, 0xffff, v76
	v_and_b32_e32 v89, 0xffff, v77
	v_lshrrev_b32_e32 v90, 16, v78
	v_lshrrev_b32_e32 v91, 16, v79
	v_and_b32_e32 v92, 0xffff, v78
	v_and_b32_e32 v93, 0xffff, v79
	ds_load_2addr_b64 v[76:79], v46 offset0:64 offset1:96
	v_mul_u32_u24_e32 v87, 0x10001, v87
	v_mul_u32_u24_e32 v86, 0x10001, v86
	s_wait_dscnt 0x0
	s_delay_alu instid0(VALU_DEP_2)
	v_pk_fma_f16 v80, v76, v87, v80
	v_pk_fma_f16 v83, v77, v87, v83
	v_mul_u32_u24_e32 v87, 0x10001, v88
	v_pk_fma_f16 v84, v77, v86, v84
	v_pk_fma_f16 v82, v76, v86, v82
	v_mul_u32_u24_e32 v86, 0x10001, v89
	s_delay_alu instid0(VALU_DEP_4) | instskip(SKIP_1) | instid1(VALU_DEP_3)
	v_pk_fma_f16 v49, v77, v87, v49
	v_pk_fma_f16 v81, v76, v87, v81
	v_pk_fma_f16 v47, v77, v86, v47
	v_mul_u32_u24_e32 v77, 0x10001, v91
	v_pk_fma_f16 v76, v76, v86, v85
	s_delay_alu instid0(VALU_DEP_2) | instskip(SKIP_2) | instid1(VALU_DEP_1)
	v_pk_fma_f16 v80, v78, v77, v80
	v_pk_fma_f16 v83, v79, v77, v83
	v_mul_u32_u24_e32 v77, 0x10001, v92
	v_pk_fma_f16 v49, v79, v77, v49
	v_pk_fma_f16 v81, v78, v77, v81
	v_mul_u32_u24_e32 v77, 0x10001, v90
	s_delay_alu instid0(VALU_DEP_1) | instskip(SKIP_2) | instid1(VALU_DEP_1)
	v_pk_fma_f16 v84, v79, v77, v84
	v_pk_fma_f16 v82, v78, v77, v82
	v_mul_u32_u24_e32 v77, 0x10001, v93
	v_pk_fma_f16 v47, v79, v77, v47
	v_pk_fma_f16 v85, v78, v77, v76
	ds_load_b128 v[76:79], v35 offset:18848
	s_wait_dscnt 0x0
	v_lshrrev_b32_e32 v86, 16, v76
	v_lshrrev_b32_e32 v87, 16, v77
	v_and_b32_e32 v88, 0xffff, v76
	v_and_b32_e32 v89, 0xffff, v77
	v_lshrrev_b32_e32 v90, 16, v78
	v_lshrrev_b32_e32 v91, 16, v79
	v_and_b32_e32 v92, 0xffff, v78
	v_and_b32_e32 v93, 0xffff, v79
	ds_load_2addr_b64 v[76:79], v46 offset0:128 offset1:160
	v_mul_u32_u24_e32 v87, 0x10001, v87
	v_mul_u32_u24_e32 v86, 0x10001, v86
	s_wait_dscnt 0x0
	s_delay_alu instid0(VALU_DEP_2)
	v_pk_fma_f16 v80, v76, v87, v80
	v_pk_fma_f16 v83, v77, v87, v83
	v_mul_u32_u24_e32 v87, 0x10001, v88
	v_pk_fma_f16 v84, v77, v86, v84
	v_pk_fma_f16 v82, v76, v86, v82
	v_mul_u32_u24_e32 v86, 0x10001, v89
	s_delay_alu instid0(VALU_DEP_4) | instskip(SKIP_1) | instid1(VALU_DEP_3)
	v_pk_fma_f16 v49, v77, v87, v49
	v_pk_fma_f16 v81, v76, v87, v81
	v_pk_fma_f16 v47, v77, v86, v47
	;; [unrolled: 40-line block ×3, first 2 shown]
	v_mul_u32_u24_e32 v77, 0x10001, v91
	v_pk_fma_f16 v76, v76, v86, v85
	s_delay_alu instid0(VALU_DEP_2) | instskip(SKIP_2) | instid1(VALU_DEP_1)
	v_pk_fma_f16 v80, v78, v77, v80
	v_pk_fma_f16 v85, v79, v77, v83
	v_mul_u32_u24_e32 v77, 0x10001, v92
	v_pk_fma_f16 v49, v79, v77, v49
	v_pk_fma_f16 v86, v78, v77, v81
	v_mul_u32_u24_e32 v77, 0x10001, v90
	s_delay_alu instid0(VALU_DEP_1) | instskip(SKIP_2) | instid1(VALU_DEP_1)
	v_pk_fma_f16 v87, v79, v77, v84
	v_pk_fma_f16 v88, v78, v77, v82
	v_mul_u32_u24_e32 v77, 0x10001, v93
	v_pk_fma_f16 v89, v79, v77, v47
	v_pk_fma_f16 v90, v78, v77, v76
	ds_load_b128 v[76:79], v35 offset:18880
	s_wait_dscnt 0x0
	v_lshrrev_b32_e32 v47, 16, v77
	v_lshrrev_b32_e32 v93, 16, v79
	v_and_b32_e32 v94, 0xffff, v79
	v_lshrrev_b32_e32 v91, 16, v76
	v_and_b32_e32 v76, 0xffff, v76
	v_mul_u32_u24_e32 v79, 0x10001, v47
	v_add_nc_u32_e32 v47, 0x3800, v36
	v_and_b32_e32 v77, 0xffff, v77
	v_lshrrev_b32_e32 v92, 16, v78
	v_mul_u32_u24_e32 v76, 0x10001, v76
	v_and_b32_e32 v78, 0xffff, v78
	ds_load_2addr_b64 v[81:84], v47 offset1:32
	s_wait_dscnt 0x0
	v_pk_fma_f16 v80, v81, v79, v80
	v_pk_fma_f16 v79, v82, v79, v85
	;; [unrolled: 1-line block ×3, first 2 shown]
	v_mul_u32_u24_e32 v49, 0x10001, v91
	v_pk_fma_f16 v76, v81, v76, v86
	s_delay_alu instid0(VALU_DEP_2) | instskip(SKIP_3) | instid1(VALU_DEP_2)
	v_pk_fma_f16 v86, v82, v49, v87
	v_pk_fma_f16 v87, v81, v49, v88
	v_mul_u32_u24_e32 v49, 0x10001, v77
	v_mul_u32_u24_e32 v77, 0x10001, v93
	v_pk_fma_f16 v88, v82, v49, v89
	v_pk_fma_f16 v89, v81, v49, v90
	s_delay_alu instid0(VALU_DEP_3) | instskip(SKIP_3) | instid1(VALU_DEP_2)
	v_pk_fma_f16 v49, v83, v77, v80
	v_pk_fma_f16 v82, v84, v77, v79
	v_mul_u32_u24_e32 v77, 0x10001, v78
	v_mul_u32_u24_e32 v78, 0x10001, v94
	v_pk_fma_f16 v79, v84, v77, v85
	v_pk_fma_f16 v76, v83, v77, v76
	v_mul_u32_u24_e32 v77, 0x10001, v92
	s_delay_alu instid0(VALU_DEP_4) | instskip(SKIP_1) | instid1(VALU_DEP_3)
	v_pk_fma_f16 v81, v84, v78, v88
	v_pk_fma_f16 v78, v83, v78, v89
	;; [unrolled: 1-line block ×4, first 2 shown]
	ds_load_2addr_b64 v[83:86], v47 offset0:64 offset1:96
	ds_load_b128 v[87:90], v35 offset:18896
	ds_load_2addr_b64 v[91:94], v47 offset0:128 offset1:160
	ds_load_b128 v[95:98], v35 offset:18912
	;; [unrolled: 2-line block ×3, first 2 shown]
	s_wait_loadcnt_dscnt 0x0
	s_barrier_signal -1
	s_barrier_wait -1
	global_inv scope:SCOPE_SE
	s_clause 0x1
	scratch_store_b32 off, v38, off
	scratch_store_b96 off, v[8:10], off offset:4
	flat_load_b128 v[107:110], v[17:18]
	v_lshrrev_b32_e32 v17, 16, v87
	v_lshrrev_b32_e32 v18, 16, v88
	v_and_b32_e32 v75, 0xffff, v88
	v_lshrrev_b32_e32 v88, 16, v90
	v_and_b32_e32 v90, 0xffff, v90
	v_mul_u32_u24_e32 v17, 0x10001, v17
	v_mul_u32_u24_e32 v18, 0x10001, v18
	;; [unrolled: 1-line block ×3, first 2 shown]
	s_delay_alu instid0(VALU_DEP_2)
	v_pk_fma_f16 v49, v83, v18, v49
	v_pk_fma_f16 v18, v84, v18, v82
	v_and_b32_e32 v82, 0xffff, v96
	s_wait_loadcnt_dscnt 0x0
	ds_store_b128 v74, v[107:110]
	v_and_b32_e32 v74, 0xffff, v87
	v_lshrrev_b32_e32 v87, 16, v89
	v_and_b32_e32 v89, 0xffff, v89
	s_clause 0x1
	scratch_store_b32 off, v38, off
	scratch_store_b96 off, v[8:10], off offset:4
	v_mul_u32_u24_e32 v74, 0x10001, v74
	s_delay_alu instid0(VALU_DEP_1)
	v_pk_fma_f16 v79, v84, v74, v79
	v_pk_fma_f16 v74, v83, v74, v76
	;; [unrolled: 1-line block ×6, first 2 shown]
	v_mul_u32_u24_e32 v78, 0x10001, v88
	v_lshrrev_b32_e32 v80, 16, v96
	v_and_b32_e32 v81, 0xffff, v95
	v_lshrrev_b32_e32 v84, 16, v98
	v_lshrrev_b32_e32 v83, 16, v97
	v_pk_fma_f16 v49, v85, v78, v49
	v_pk_fma_f16 v18, v86, v78, v18
	v_mul_u32_u24_e32 v78, 0x10001, v89
	v_mul_u32_u24_e32 v80, 0x10001, v80
	s_delay_alu instid0(VALU_DEP_2) | instskip(SKIP_2) | instid1(VALU_DEP_4)
	v_pk_fma_f16 v79, v86, v78, v79
	v_pk_fma_f16 v74, v85, v78, v74
	v_mul_u32_u24_e32 v78, 0x10001, v87
	v_pk_fma_f16 v49, v91, v80, v49
	v_pk_fma_f16 v18, v92, v80, v18
	v_mul_u32_u24_e32 v80, 0x10001, v81
	v_and_b32_e32 v81, 0xffff, v103
	v_pk_fma_f16 v76, v86, v78, v76
	v_pk_fma_f16 v17, v85, v78, v17
	v_mul_u32_u24_e32 v78, 0x10001, v90
	v_pk_fma_f16 v79, v92, v80, v79
	v_pk_fma_f16 v74, v91, v80, v74
	v_lshrrev_b32_e32 v80, 16, v104
	s_delay_alu instid0(VALU_DEP_4)
	v_pk_fma_f16 v77, v86, v78, v77
	v_pk_fma_f16 v75, v85, v78, v75
	v_lshrrev_b32_e32 v78, 16, v95
	v_and_b32_e32 v85, 0xffff, v97
	v_and_b32_e32 v86, 0xffff, v98
	v_mul_u32_u24_e32 v80, 0x10001, v80
	s_delay_alu instid0(VALU_DEP_4) | instskip(NEXT) | instid1(VALU_DEP_1)
	v_mul_u32_u24_e32 v78, 0x10001, v78
	v_pk_fma_f16 v76, v92, v78, v76
	v_pk_fma_f16 v17, v91, v78, v17
	v_mul_u32_u24_e32 v78, 0x10001, v82
	v_and_b32_e32 v82, 0xffff, v104
	s_delay_alu instid0(VALU_DEP_2) | instskip(SKIP_3) | instid1(VALU_DEP_2)
	v_pk_fma_f16 v77, v92, v78, v77
	v_pk_fma_f16 v75, v91, v78, v75
	v_mul_u32_u24_e32 v78, 0x10001, v84
	v_lshrrev_b32_e32 v84, 16, v106
	v_pk_fma_f16 v49, v93, v78, v49
	v_pk_fma_f16 v18, v94, v78, v18
	v_mul_u32_u24_e32 v78, 0x10001, v85
	v_and_b32_e32 v85, 0xffff, v105
	s_delay_alu instid0(VALU_DEP_4) | instskip(NEXT) | instid1(VALU_DEP_4)
	v_pk_fma_f16 v49, v99, v80, v49
	v_pk_fma_f16 v18, v100, v80, v18
	s_delay_alu instid0(VALU_DEP_4) | instskip(SKIP_4) | instid1(VALU_DEP_3)
	v_pk_fma_f16 v79, v94, v78, v79
	v_pk_fma_f16 v74, v93, v78, v74
	v_mul_u32_u24_e32 v78, 0x10001, v83
	v_mul_u32_u24_e32 v80, 0x10001, v81
	v_lshrrev_b32_e32 v83, 16, v105
	v_pk_fma_f16 v76, v94, v78, v76
	v_pk_fma_f16 v17, v93, v78, v17
	v_mul_u32_u24_e32 v78, 0x10001, v86
	v_pk_fma_f16 v79, v100, v80, v79
	v_pk_fma_f16 v74, v99, v80, v74
	v_and_b32_e32 v86, 0xffff, v106
	s_delay_alu instid0(VALU_DEP_4) | instskip(SKIP_2) | instid1(VALU_DEP_1)
	v_pk_fma_f16 v77, v94, v78, v77
	v_pk_fma_f16 v75, v93, v78, v75
	v_lshrrev_b32_e32 v78, 16, v103
	v_mul_u32_u24_e32 v78, 0x10001, v78
	s_delay_alu instid0(VALU_DEP_1) | instskip(SKIP_2) | instid1(VALU_DEP_1)
	v_pk_fma_f16 v76, v100, v78, v76
	v_pk_fma_f16 v17, v99, v78, v17
	v_mul_u32_u24_e32 v78, 0x10001, v82
	v_pk_fma_f16 v77, v100, v78, v77
	v_pk_fma_f16 v75, v99, v78, v75
	v_mul_u32_u24_e32 v78, 0x10001, v84
	s_delay_alu instid0(VALU_DEP_1) | instskip(SKIP_2) | instid1(VALU_DEP_1)
	v_pk_fma_f16 v49, v101, v78, v49
	v_pk_fma_f16 v18, v102, v78, v18
	v_mul_u32_u24_e32 v78, 0x10001, v85
	v_pk_fma_f16 v79, v102, v78, v79
	v_pk_fma_f16 v78, v101, v78, v74
	;; [unrolled: 7-line block ×3, first 2 shown]
	flat_load_b128 v[74:77], v[13:14]
	v_add_co_u32 v13, vcc_lo, s4, v15
	s_wait_alu 0xfffd
	v_add_co_ci_u32_e64 v14, null, s5, v16, vcc_lo
	v_cmp_gt_i32_e32 vcc_lo, s3, v71
	s_delay_alu instid0(VALU_DEP_3) | instskip(SKIP_1) | instid1(VALU_DEP_3)
	v_add_co_u32 v13, s2, v13, v37
	s_wait_alu 0xf1ff
	v_add_co_ci_u32_e64 v14, null, 0, v14, s2
	s_wait_alu 0xfffd
	s_delay_alu instid0(VALU_DEP_2) | instskip(NEXT) | instid1(VALU_DEP_2)
	v_cndmask_b32_e32 v13, 0, v13, vcc_lo
	v_cndmask_b32_e32 v14, s9, v14, vcc_lo
	s_wait_loadcnt_dscnt 0x0
	ds_store_b128 v72, v[74:77]
	s_clause 0x1
	scratch_store_b32 off, v38, off
	scratch_store_b96 off, v[8:10], off offset:4
	flat_load_b128 v[13:16], v[13:14]
	s_clause 0x1
	scratch_store_b96 off, v[8:10], off offset:4
	scratch_store_b32 off, v38, off
	v_add_co_u32 v8, vcc_lo, s4, v11
	s_wait_alu 0xfffd
	v_add_co_ci_u32_e64 v9, null, s5, v12, vcc_lo
	v_cmp_gt_i32_e32 vcc_lo, s3, v39
	s_delay_alu instid0(VALU_DEP_3) | instskip(SKIP_1) | instid1(VALU_DEP_3)
	v_add_co_u32 v8, s2, v8, v37
	s_wait_alu 0xf1ff
	v_add_co_ci_u32_e64 v9, null, 0, v9, s2
	s_wait_alu 0xfffd
	s_delay_alu instid0(VALU_DEP_2) | instskip(NEXT) | instid1(VALU_DEP_2)
	v_cndmask_b32_e32 v8, 0, v8, vcc_lo
	v_cndmask_b32_e32 v9, s9, v9, vcc_lo
	s_wait_loadcnt_dscnt 0x0
	ds_store_b128 v73, v[13:16]
	flat_load_b128 v[8:11], v[8:9]
	s_wait_loadcnt_dscnt 0x0
	ds_store_b128 v44, v[8:11]
	s_wait_storecnt_dscnt 0x0
	s_barrier_signal -1
	s_barrier_wait -1
	global_inv scope:SCOPE_SE
	ds_load_b128 v[8:11], v35 offset:18944
	s_wait_dscnt 0x0
	v_lshrrev_b32_e32 v12, 16, v8
	v_and_b32_e32 v8, 0xffff, v8
	v_lshrrev_b32_e32 v13, 16, v9
	v_and_b32_e32 v14, 0xffff, v9
	v_lshrrev_b32_e32 v15, 16, v10
	v_lshrrev_b32_e32 v16, 16, v11
	v_and_b32_e32 v37, 0xffff, v10
	v_and_b32_e32 v38, 0xffff, v11
	v_mul_u32_u24_e32 v39, 0x10001, v8
	ds_load_2addr_b64 v[8:11], v36 offset1:32
	v_mul_u32_u24_e32 v12, 0x10001, v12
	v_mul_u32_u24_e32 v14, 0x10001, v14
	;; [unrolled: 1-line block ×4, first 2 shown]
	s_wait_dscnt 0x0
	v_pk_fma_f16 v17, v8, v12, v17
	v_pk_fma_f16 v12, v9, v12, v80
	;; [unrolled: 1-line block ×7, first 2 shown]
	v_mul_u32_u24_e32 v15, 0x10001, v38
	v_pk_fma_f16 v39, v9, v39, v79
	v_pk_fma_f16 v8, v8, v13, v49
	v_pk_fma_f16 v9, v9, v13, v18
	v_mul_u32_u24_e32 v13, 0x10001, v37
	v_pk_fma_f16 v37, v10, v15, v70
	v_pk_fma_f16 v14, v11, v15, v14
	v_mul_u32_u24_e32 v15, 0x10001, v16
	s_delay_alu instid0(VALU_DEP_4) | instskip(SKIP_1) | instid1(VALU_DEP_3)
	v_pk_fma_f16 v18, v10, v13, v44
	v_pk_fma_f16 v13, v11, v13, v39
	;; [unrolled: 1-line block ×4, first 2 shown]
	ds_load_b128 v[8:11], v35 offset:18960
	s_wait_dscnt 0x0
	v_lshrrev_b32_e32 v38, 16, v8
	v_and_b32_e32 v8, 0xffff, v8
	v_lshrrev_b32_e32 v39, 16, v9
	v_and_b32_e32 v44, 0xffff, v9
	v_lshrrev_b32_e32 v49, 16, v10
	v_lshrrev_b32_e32 v70, 16, v11
	v_and_b32_e32 v71, 0xffff, v10
	v_and_b32_e32 v72, 0xffff, v11
	v_mul_u32_u24_e32 v73, 0x10001, v8
	ds_load_2addr_b64 v[8:11], v36 offset0:64 offset1:96
	v_mul_u32_u24_e32 v38, 0x10001, v38
	s_wait_dscnt 0x0
	s_delay_alu instid0(VALU_DEP_1) | instskip(SKIP_4) | instid1(VALU_DEP_3)
	v_pk_fma_f16 v17, v8, v38, v17
	v_pk_fma_f16 v12, v9, v38, v12
	v_mul_u32_u24_e32 v38, 0x10001, v44
	v_pk_fma_f16 v18, v8, v73, v18
	v_pk_fma_f16 v13, v9, v73, v13
	v_pk_fma_f16 v37, v8, v38, v37
	v_pk_fma_f16 v14, v9, v38, v14
	v_mul_u32_u24_e32 v38, 0x10001, v39
	s_delay_alu instid0(VALU_DEP_1) | instskip(SKIP_2) | instid1(VALU_DEP_2)
	v_pk_fma_f16 v9, v9, v38, v15
	v_mul_u32_u24_e32 v15, 0x10001, v71
	v_pk_fma_f16 v8, v8, v38, v16
	v_pk_fma_f16 v16, v10, v15, v18
	v_pk_fma_f16 v13, v11, v15, v13
	v_mul_u32_u24_e32 v15, 0x10001, v49
	s_delay_alu instid0(VALU_DEP_1) | instskip(SKIP_2) | instid1(VALU_DEP_1)
	v_pk_fma_f16 v17, v10, v15, v17
	v_pk_fma_f16 v12, v11, v15, v12
	v_mul_u32_u24_e32 v15, 0x10001, v72
	v_pk_fma_f16 v18, v10, v15, v37
	v_pk_fma_f16 v14, v11, v15, v14
	v_mul_u32_u24_e32 v15, 0x10001, v70
	s_delay_alu instid0(VALU_DEP_1)
	v_pk_fma_f16 v37, v10, v15, v8
	v_pk_fma_f16 v15, v11, v15, v9
	ds_load_b128 v[8:11], v35 offset:18976
	s_wait_dscnt 0x0
	v_lshrrev_b32_e32 v38, 16, v8
	v_and_b32_e32 v8, 0xffff, v8
	v_lshrrev_b32_e32 v39, 16, v9
	v_and_b32_e32 v44, 0xffff, v9
	v_lshrrev_b32_e32 v49, 16, v10
	v_lshrrev_b32_e32 v70, 16, v11
	v_and_b32_e32 v71, 0xffff, v10
	v_and_b32_e32 v72, 0xffff, v11
	v_mul_u32_u24_e32 v73, 0x10001, v8
	ds_load_2addr_b64 v[8:11], v36 offset0:128 offset1:160
	v_mul_u32_u24_e32 v38, 0x10001, v38
	s_wait_dscnt 0x0
	s_delay_alu instid0(VALU_DEP_1) | instskip(SKIP_4) | instid1(VALU_DEP_3)
	v_pk_fma_f16 v17, v8, v38, v17
	v_pk_fma_f16 v12, v9, v38, v12
	v_mul_u32_u24_e32 v38, 0x10001, v44
	v_pk_fma_f16 v16, v8, v73, v16
	v_pk_fma_f16 v13, v9, v73, v13
	v_pk_fma_f16 v18, v8, v38, v18
	v_pk_fma_f16 v14, v9, v38, v14
	v_mul_u32_u24_e32 v38, 0x10001, v39
	s_delay_alu instid0(VALU_DEP_1) | instskip(SKIP_2) | instid1(VALU_DEP_2)
	v_pk_fma_f16 v9, v9, v38, v15
	v_mul_u32_u24_e32 v15, 0x10001, v71
	v_pk_fma_f16 v8, v8, v38, v37
	v_pk_fma_f16 v16, v10, v15, v16
	v_pk_fma_f16 v13, v11, v15, v13
	v_mul_u32_u24_e32 v15, 0x10001, v49
	s_delay_alu instid0(VALU_DEP_1) | instskip(SKIP_2) | instid1(VALU_DEP_1)
	v_pk_fma_f16 v17, v10, v15, v17
	v_pk_fma_f16 v12, v11, v15, v12
	v_mul_u32_u24_e32 v15, 0x10001, v72
	v_pk_fma_f16 v18, v10, v15, v18
	v_pk_fma_f16 v14, v11, v15, v14
	v_mul_u32_u24_e32 v15, 0x10001, v70
	s_delay_alu instid0(VALU_DEP_1)
	v_pk_fma_f16 v37, v10, v15, v8
	v_pk_fma_f16 v15, v11, v15, v9
	;; [unrolled: 40-line block ×3, first 2 shown]
	ds_load_b128 v[8:11], v35 offset:19008
	s_wait_dscnt 0x0
	v_lshrrev_b32_e32 v37, 16, v8
	v_and_b32_e32 v8, 0xffff, v8
	v_lshrrev_b32_e32 v38, 16, v9
	v_and_b32_e32 v39, 0xffff, v9
	v_lshrrev_b32_e32 v44, 16, v10
	v_lshrrev_b32_e32 v49, 16, v11
	v_and_b32_e32 v70, 0xffff, v10
	v_and_b32_e32 v71, 0xffff, v11
	v_mul_u32_u24_e32 v72, 0x10001, v8
	ds_load_2addr_b64 v[8:11], v40 offset1:32
	v_mul_u32_u24_e32 v37, 0x10001, v37
	s_wait_dscnt 0x0
	s_delay_alu instid0(VALU_DEP_1) | instskip(SKIP_4) | instid1(VALU_DEP_3)
	v_pk_fma_f16 v17, v8, v37, v17
	v_pk_fma_f16 v12, v9, v37, v12
	v_mul_u32_u24_e32 v37, 0x10001, v39
	v_pk_fma_f16 v16, v8, v72, v16
	v_pk_fma_f16 v13, v9, v72, v13
	v_pk_fma_f16 v18, v8, v37, v18
	v_pk_fma_f16 v14, v9, v37, v14
	v_mul_u32_u24_e32 v37, 0x10001, v38
	s_delay_alu instid0(VALU_DEP_1) | instskip(SKIP_2) | instid1(VALU_DEP_2)
	v_pk_fma_f16 v9, v9, v37, v15
	v_mul_u32_u24_e32 v15, 0x10001, v70
	v_pk_fma_f16 v8, v8, v37, v36
	v_pk_fma_f16 v16, v10, v15, v16
	v_pk_fma_f16 v13, v11, v15, v13
	v_mul_u32_u24_e32 v15, 0x10001, v44
	s_delay_alu instid0(VALU_DEP_1) | instskip(SKIP_2) | instid1(VALU_DEP_1)
	v_pk_fma_f16 v17, v10, v15, v17
	v_pk_fma_f16 v12, v11, v15, v12
	v_mul_u32_u24_e32 v15, 0x10001, v71
	v_pk_fma_f16 v18, v10, v15, v18
	v_pk_fma_f16 v14, v11, v15, v14
	v_mul_u32_u24_e32 v15, 0x10001, v49
	s_delay_alu instid0(VALU_DEP_1)
	v_pk_fma_f16 v36, v10, v15, v8
	v_pk_fma_f16 v15, v11, v15, v9
	ds_load_b128 v[8:11], v35 offset:19024
	s_wait_dscnt 0x0
	v_lshrrev_b32_e32 v37, 16, v8
	v_and_b32_e32 v8, 0xffff, v8
	v_lshrrev_b32_e32 v38, 16, v9
	v_and_b32_e32 v39, 0xffff, v9
	v_lshrrev_b32_e32 v44, 16, v10
	v_lshrrev_b32_e32 v49, 16, v11
	v_and_b32_e32 v70, 0xffff, v10
	v_and_b32_e32 v71, 0xffff, v11
	v_mul_u32_u24_e32 v72, 0x10001, v8
	ds_load_2addr_b64 v[8:11], v40 offset0:64 offset1:96
	v_mul_u32_u24_e32 v37, 0x10001, v37
	s_wait_dscnt 0x0
	s_delay_alu instid0(VALU_DEP_1) | instskip(SKIP_4) | instid1(VALU_DEP_3)
	v_pk_fma_f16 v17, v8, v37, v17
	v_pk_fma_f16 v12, v9, v37, v12
	v_mul_u32_u24_e32 v37, 0x10001, v39
	v_pk_fma_f16 v16, v8, v72, v16
	v_pk_fma_f16 v13, v9, v72, v13
	v_pk_fma_f16 v18, v8, v37, v18
	v_pk_fma_f16 v14, v9, v37, v14
	v_mul_u32_u24_e32 v37, 0x10001, v38
	s_delay_alu instid0(VALU_DEP_1) | instskip(SKIP_2) | instid1(VALU_DEP_2)
	v_pk_fma_f16 v9, v9, v37, v15
	v_mul_u32_u24_e32 v15, 0x10001, v70
	v_pk_fma_f16 v8, v8, v37, v36
	v_pk_fma_f16 v16, v10, v15, v16
	v_pk_fma_f16 v13, v11, v15, v13
	v_mul_u32_u24_e32 v15, 0x10001, v44
	s_delay_alu instid0(VALU_DEP_1) | instskip(SKIP_2) | instid1(VALU_DEP_1)
	v_pk_fma_f16 v17, v10, v15, v17
	v_pk_fma_f16 v12, v11, v15, v12
	v_mul_u32_u24_e32 v15, 0x10001, v71
	v_pk_fma_f16 v18, v10, v15, v18
	v_pk_fma_f16 v14, v11, v15, v14
	v_mul_u32_u24_e32 v15, 0x10001, v49
	s_delay_alu instid0(VALU_DEP_1)
	v_pk_fma_f16 v36, v10, v15, v8
	v_pk_fma_f16 v15, v11, v15, v9
	ds_load_b128 v[8:11], v35 offset:19040
	s_wait_dscnt 0x0
	v_lshrrev_b32_e32 v37, 16, v8
	v_and_b32_e32 v8, 0xffff, v8
	v_lshrrev_b32_e32 v38, 16, v9
	v_and_b32_e32 v39, 0xffff, v9
	v_lshrrev_b32_e32 v44, 16, v10
	v_lshrrev_b32_e32 v49, 16, v11
	v_and_b32_e32 v70, 0xffff, v10
	v_and_b32_e32 v71, 0xffff, v11
	v_mul_u32_u24_e32 v72, 0x10001, v8
	ds_load_2addr_b64 v[8:11], v40 offset0:128 offset1:160
	;; [unrolled: 40-line block ×3, first 2 shown]
	v_mul_u32_u24_e32 v37, 0x10001, v37
	s_wait_dscnt 0x0
	s_delay_alu instid0(VALU_DEP_1) | instskip(SKIP_4) | instid1(VALU_DEP_3)
	v_pk_fma_f16 v17, v8, v37, v17
	v_pk_fma_f16 v12, v9, v37, v12
	v_mul_u32_u24_e32 v37, 0x10001, v39
	v_pk_fma_f16 v16, v8, v72, v16
	v_pk_fma_f16 v13, v9, v72, v13
	;; [unrolled: 1-line block ×4, first 2 shown]
	v_mul_u32_u24_e32 v37, 0x10001, v38
	s_delay_alu instid0(VALU_DEP_1) | instskip(SKIP_2) | instid1(VALU_DEP_2)
	v_pk_fma_f16 v9, v9, v37, v15
	v_mul_u32_u24_e32 v15, 0x10001, v70
	v_pk_fma_f16 v8, v8, v37, v36
	v_pk_fma_f16 v16, v10, v15, v16
	;; [unrolled: 1-line block ×3, first 2 shown]
	v_mul_u32_u24_e32 v15, 0x10001, v44
	s_delay_alu instid0(VALU_DEP_1) | instskip(SKIP_2) | instid1(VALU_DEP_1)
	v_pk_fma_f16 v17, v10, v15, v17
	v_pk_fma_f16 v12, v11, v15, v12
	v_mul_u32_u24_e32 v15, 0x10001, v71
	v_pk_fma_f16 v18, v10, v15, v18
	v_pk_fma_f16 v14, v11, v15, v14
	v_mul_u32_u24_e32 v15, 0x10001, v49
	s_delay_alu instid0(VALU_DEP_1)
	v_pk_fma_f16 v36, v10, v15, v8
	v_pk_fma_f16 v15, v11, v15, v9
	ds_load_b128 v[8:11], v35 offset:19072
	s_wait_dscnt 0x0
	v_lshrrev_b32_e32 v37, 16, v8
	v_and_b32_e32 v8, 0xffff, v8
	v_lshrrev_b32_e32 v38, 16, v9
	v_and_b32_e32 v39, 0xffff, v9
	v_lshrrev_b32_e32 v40, 16, v10
	v_lshrrev_b32_e32 v44, 16, v11
	v_and_b32_e32 v49, 0xffff, v10
	v_and_b32_e32 v70, 0xffff, v11
	v_mul_u32_u24_e32 v71, 0x10001, v8
	ds_load_2addr_b64 v[8:11], v41 offset1:32
	v_mul_u32_u24_e32 v37, 0x10001, v37
	s_wait_dscnt 0x0
	s_delay_alu instid0(VALU_DEP_1) | instskip(SKIP_4) | instid1(VALU_DEP_3)
	v_pk_fma_f16 v17, v8, v37, v17
	v_pk_fma_f16 v12, v9, v37, v12
	v_mul_u32_u24_e32 v37, 0x10001, v39
	v_pk_fma_f16 v16, v8, v71, v16
	v_pk_fma_f16 v13, v9, v71, v13
	v_pk_fma_f16 v18, v8, v37, v18
	v_pk_fma_f16 v14, v9, v37, v14
	v_mul_u32_u24_e32 v37, 0x10001, v38
	s_delay_alu instid0(VALU_DEP_1) | instskip(SKIP_2) | instid1(VALU_DEP_2)
	v_pk_fma_f16 v9, v9, v37, v15
	v_mul_u32_u24_e32 v15, 0x10001, v49
	v_pk_fma_f16 v8, v8, v37, v36
	v_pk_fma_f16 v16, v10, v15, v16
	v_pk_fma_f16 v13, v11, v15, v13
	v_mul_u32_u24_e32 v15, 0x10001, v40
	s_delay_alu instid0(VALU_DEP_1) | instskip(SKIP_2) | instid1(VALU_DEP_1)
	v_pk_fma_f16 v17, v10, v15, v17
	v_pk_fma_f16 v12, v11, v15, v12
	v_mul_u32_u24_e32 v15, 0x10001, v70
	v_pk_fma_f16 v18, v10, v15, v18
	v_pk_fma_f16 v14, v11, v15, v14
	v_mul_u32_u24_e32 v15, 0x10001, v44
	s_delay_alu instid0(VALU_DEP_1)
	v_pk_fma_f16 v36, v10, v15, v8
	v_pk_fma_f16 v15, v11, v15, v9
	ds_load_b128 v[8:11], v35 offset:19088
	s_wait_dscnt 0x0
	v_lshrrev_b32_e32 v37, 16, v8
	v_and_b32_e32 v8, 0xffff, v8
	v_lshrrev_b32_e32 v38, 16, v9
	v_and_b32_e32 v39, 0xffff, v9
	v_lshrrev_b32_e32 v40, 16, v10
	v_lshrrev_b32_e32 v44, 16, v11
	v_and_b32_e32 v49, 0xffff, v10
	v_and_b32_e32 v70, 0xffff, v11
	v_mul_u32_u24_e32 v71, 0x10001, v8
	ds_load_2addr_b64 v[8:11], v41 offset0:64 offset1:96
	v_mul_u32_u24_e32 v37, 0x10001, v37
	s_wait_dscnt 0x0
	s_delay_alu instid0(VALU_DEP_1) | instskip(SKIP_4) | instid1(VALU_DEP_3)
	v_pk_fma_f16 v17, v8, v37, v17
	v_pk_fma_f16 v12, v9, v37, v12
	v_mul_u32_u24_e32 v37, 0x10001, v39
	v_pk_fma_f16 v16, v8, v71, v16
	v_pk_fma_f16 v13, v9, v71, v13
	v_pk_fma_f16 v18, v8, v37, v18
	v_pk_fma_f16 v14, v9, v37, v14
	v_mul_u32_u24_e32 v37, 0x10001, v38
	s_delay_alu instid0(VALU_DEP_1) | instskip(SKIP_2) | instid1(VALU_DEP_2)
	v_pk_fma_f16 v9, v9, v37, v15
	v_mul_u32_u24_e32 v15, 0x10001, v49
	v_pk_fma_f16 v8, v8, v37, v36
	v_pk_fma_f16 v16, v10, v15, v16
	v_pk_fma_f16 v13, v11, v15, v13
	v_mul_u32_u24_e32 v15, 0x10001, v40
	s_delay_alu instid0(VALU_DEP_1) | instskip(SKIP_2) | instid1(VALU_DEP_1)
	v_pk_fma_f16 v17, v10, v15, v17
	v_pk_fma_f16 v12, v11, v15, v12
	v_mul_u32_u24_e32 v15, 0x10001, v70
	v_pk_fma_f16 v18, v10, v15, v18
	v_pk_fma_f16 v14, v11, v15, v14
	v_mul_u32_u24_e32 v15, 0x10001, v44
	s_delay_alu instid0(VALU_DEP_1)
	v_pk_fma_f16 v36, v10, v15, v8
	v_pk_fma_f16 v15, v11, v15, v9
	ds_load_b128 v[8:11], v35 offset:19104
	s_wait_dscnt 0x0
	v_lshrrev_b32_e32 v37, 16, v8
	v_and_b32_e32 v8, 0xffff, v8
	v_lshrrev_b32_e32 v38, 16, v9
	v_and_b32_e32 v39, 0xffff, v9
	v_lshrrev_b32_e32 v40, 16, v10
	v_lshrrev_b32_e32 v44, 16, v11
	v_and_b32_e32 v49, 0xffff, v10
	v_and_b32_e32 v70, 0xffff, v11
	v_mul_u32_u24_e32 v71, 0x10001, v8
	ds_load_2addr_b64 v[8:11], v41 offset0:128 offset1:160
	;; [unrolled: 40-line block ×3, first 2 shown]
	v_mul_u32_u24_e32 v37, 0x10001, v37
	s_wait_dscnt 0x0
	s_delay_alu instid0(VALU_DEP_1) | instskip(SKIP_4) | instid1(VALU_DEP_3)
	v_pk_fma_f16 v17, v8, v37, v17
	v_pk_fma_f16 v12, v9, v37, v12
	v_mul_u32_u24_e32 v37, 0x10001, v39
	v_pk_fma_f16 v16, v8, v71, v16
	v_pk_fma_f16 v13, v9, v71, v13
	;; [unrolled: 1-line block ×4, first 2 shown]
	v_mul_u32_u24_e32 v37, 0x10001, v38
	s_delay_alu instid0(VALU_DEP_1) | instskip(SKIP_2) | instid1(VALU_DEP_2)
	v_pk_fma_f16 v9, v9, v37, v15
	v_mul_u32_u24_e32 v15, 0x10001, v49
	v_pk_fma_f16 v8, v8, v37, v36
	v_pk_fma_f16 v16, v10, v15, v16
	;; [unrolled: 1-line block ×3, first 2 shown]
	v_mul_u32_u24_e32 v15, 0x10001, v40
	s_delay_alu instid0(VALU_DEP_1) | instskip(SKIP_2) | instid1(VALU_DEP_1)
	v_pk_fma_f16 v17, v10, v15, v17
	v_pk_fma_f16 v12, v11, v15, v12
	v_mul_u32_u24_e32 v15, 0x10001, v70
	v_pk_fma_f16 v18, v10, v15, v18
	v_pk_fma_f16 v14, v11, v15, v14
	v_mul_u32_u24_e32 v15, 0x10001, v44
	s_delay_alu instid0(VALU_DEP_1)
	v_pk_fma_f16 v36, v10, v15, v8
	v_pk_fma_f16 v15, v11, v15, v9
	ds_load_b128 v[8:11], v35 offset:19136
	s_wait_dscnt 0x0
	v_lshrrev_b32_e32 v37, 16, v8
	v_and_b32_e32 v8, 0xffff, v8
	v_lshrrev_b32_e32 v38, 16, v9
	v_and_b32_e32 v39, 0xffff, v9
	v_lshrrev_b32_e32 v40, 16, v10
	v_lshrrev_b32_e32 v41, 16, v11
	v_and_b32_e32 v44, 0xffff, v10
	v_and_b32_e32 v49, 0xffff, v11
	v_mul_u32_u24_e32 v70, 0x10001, v8
	ds_load_2addr_b64 v[8:11], v42 offset1:32
	v_mul_u32_u24_e32 v37, 0x10001, v37
	s_wait_dscnt 0x0
	s_delay_alu instid0(VALU_DEP_1) | instskip(SKIP_4) | instid1(VALU_DEP_3)
	v_pk_fma_f16 v17, v8, v37, v17
	v_pk_fma_f16 v12, v9, v37, v12
	v_mul_u32_u24_e32 v37, 0x10001, v39
	v_pk_fma_f16 v16, v8, v70, v16
	v_pk_fma_f16 v13, v9, v70, v13
	v_pk_fma_f16 v18, v8, v37, v18
	v_pk_fma_f16 v14, v9, v37, v14
	v_mul_u32_u24_e32 v37, 0x10001, v38
	s_delay_alu instid0(VALU_DEP_1) | instskip(SKIP_2) | instid1(VALU_DEP_2)
	v_pk_fma_f16 v9, v9, v37, v15
	v_mul_u32_u24_e32 v15, 0x10001, v44
	v_pk_fma_f16 v8, v8, v37, v36
	v_pk_fma_f16 v16, v10, v15, v16
	v_pk_fma_f16 v13, v11, v15, v13
	v_mul_u32_u24_e32 v15, 0x10001, v40
	s_delay_alu instid0(VALU_DEP_1) | instskip(SKIP_2) | instid1(VALU_DEP_1)
	v_pk_fma_f16 v17, v10, v15, v17
	v_pk_fma_f16 v12, v11, v15, v12
	v_mul_u32_u24_e32 v15, 0x10001, v49
	v_pk_fma_f16 v18, v10, v15, v18
	v_pk_fma_f16 v14, v11, v15, v14
	v_mul_u32_u24_e32 v15, 0x10001, v41
	s_delay_alu instid0(VALU_DEP_1)
	v_pk_fma_f16 v36, v10, v15, v8
	v_pk_fma_f16 v15, v11, v15, v9
	ds_load_b128 v[8:11], v35 offset:19152
	s_wait_dscnt 0x0
	v_lshrrev_b32_e32 v37, 16, v8
	v_and_b32_e32 v8, 0xffff, v8
	v_lshrrev_b32_e32 v38, 16, v9
	v_and_b32_e32 v39, 0xffff, v9
	v_lshrrev_b32_e32 v40, 16, v10
	v_lshrrev_b32_e32 v41, 16, v11
	v_and_b32_e32 v44, 0xffff, v10
	v_and_b32_e32 v49, 0xffff, v11
	v_mul_u32_u24_e32 v70, 0x10001, v8
	ds_load_2addr_b64 v[8:11], v42 offset0:64 offset1:96
	v_mul_u32_u24_e32 v37, 0x10001, v37
	s_wait_dscnt 0x0
	s_delay_alu instid0(VALU_DEP_1) | instskip(SKIP_4) | instid1(VALU_DEP_3)
	v_pk_fma_f16 v17, v8, v37, v17
	v_pk_fma_f16 v12, v9, v37, v12
	v_mul_u32_u24_e32 v37, 0x10001, v39
	v_pk_fma_f16 v16, v8, v70, v16
	v_pk_fma_f16 v13, v9, v70, v13
	v_pk_fma_f16 v18, v8, v37, v18
	v_pk_fma_f16 v14, v9, v37, v14
	v_mul_u32_u24_e32 v37, 0x10001, v38
	s_delay_alu instid0(VALU_DEP_1) | instskip(SKIP_2) | instid1(VALU_DEP_2)
	v_pk_fma_f16 v9, v9, v37, v15
	v_mul_u32_u24_e32 v15, 0x10001, v44
	v_pk_fma_f16 v8, v8, v37, v36
	v_pk_fma_f16 v16, v10, v15, v16
	v_pk_fma_f16 v13, v11, v15, v13
	v_mul_u32_u24_e32 v15, 0x10001, v40
	s_delay_alu instid0(VALU_DEP_1) | instskip(SKIP_2) | instid1(VALU_DEP_1)
	v_pk_fma_f16 v17, v10, v15, v17
	v_pk_fma_f16 v12, v11, v15, v12
	v_mul_u32_u24_e32 v15, 0x10001, v49
	v_pk_fma_f16 v18, v10, v15, v18
	v_pk_fma_f16 v14, v11, v15, v14
	v_mul_u32_u24_e32 v15, 0x10001, v41
	s_delay_alu instid0(VALU_DEP_1)
	v_pk_fma_f16 v36, v10, v15, v8
	v_pk_fma_f16 v15, v11, v15, v9
	ds_load_b128 v[8:11], v35 offset:19168
	s_wait_dscnt 0x0
	v_lshrrev_b32_e32 v37, 16, v8
	v_and_b32_e32 v8, 0xffff, v8
	v_lshrrev_b32_e32 v38, 16, v9
	v_and_b32_e32 v39, 0xffff, v9
	v_lshrrev_b32_e32 v40, 16, v10
	v_lshrrev_b32_e32 v41, 16, v11
	v_and_b32_e32 v44, 0xffff, v10
	v_and_b32_e32 v49, 0xffff, v11
	v_mul_u32_u24_e32 v70, 0x10001, v8
	ds_load_2addr_b64 v[8:11], v42 offset0:128 offset1:160
	;; [unrolled: 40-line block ×3, first 2 shown]
	v_mul_u32_u24_e32 v37, 0x10001, v37
	s_wait_dscnt 0x0
	s_delay_alu instid0(VALU_DEP_1) | instskip(SKIP_4) | instid1(VALU_DEP_3)
	v_pk_fma_f16 v17, v8, v37, v17
	v_pk_fma_f16 v12, v9, v37, v12
	v_mul_u32_u24_e32 v37, 0x10001, v39
	v_pk_fma_f16 v16, v8, v70, v16
	v_pk_fma_f16 v13, v9, v70, v13
	;; [unrolled: 1-line block ×4, first 2 shown]
	v_mul_u32_u24_e32 v37, 0x10001, v38
	s_delay_alu instid0(VALU_DEP_1) | instskip(SKIP_2) | instid1(VALU_DEP_2)
	v_pk_fma_f16 v9, v9, v37, v15
	v_mul_u32_u24_e32 v15, 0x10001, v44
	v_pk_fma_f16 v8, v8, v37, v36
	v_pk_fma_f16 v16, v10, v15, v16
	;; [unrolled: 1-line block ×3, first 2 shown]
	v_mul_u32_u24_e32 v15, 0x10001, v40
	s_delay_alu instid0(VALU_DEP_1) | instskip(SKIP_2) | instid1(VALU_DEP_1)
	v_pk_fma_f16 v17, v10, v15, v17
	v_pk_fma_f16 v12, v11, v15, v12
	v_mul_u32_u24_e32 v15, 0x10001, v49
	v_pk_fma_f16 v18, v10, v15, v18
	v_pk_fma_f16 v14, v11, v15, v14
	v_mul_u32_u24_e32 v15, 0x10001, v41
	s_delay_alu instid0(VALU_DEP_1)
	v_pk_fma_f16 v36, v10, v15, v8
	v_pk_fma_f16 v15, v11, v15, v9
	ds_load_b128 v[8:11], v35 offset:19200
	s_wait_dscnt 0x0
	v_lshrrev_b32_e32 v37, 16, v8
	v_and_b32_e32 v8, 0xffff, v8
	v_lshrrev_b32_e32 v38, 16, v9
	v_and_b32_e32 v39, 0xffff, v9
	v_lshrrev_b32_e32 v40, 16, v10
	v_lshrrev_b32_e32 v41, 16, v11
	v_and_b32_e32 v42, 0xffff, v10
	v_and_b32_e32 v44, 0xffff, v11
	v_mul_u32_u24_e32 v49, 0x10001, v8
	ds_load_2addr_b64 v[8:11], v43 offset1:32
	v_mul_u32_u24_e32 v37, 0x10001, v37
	s_wait_dscnt 0x0
	s_delay_alu instid0(VALU_DEP_1) | instskip(SKIP_4) | instid1(VALU_DEP_3)
	v_pk_fma_f16 v17, v8, v37, v17
	v_pk_fma_f16 v12, v9, v37, v12
	v_mul_u32_u24_e32 v37, 0x10001, v39
	v_pk_fma_f16 v16, v8, v49, v16
	v_pk_fma_f16 v13, v9, v49, v13
	v_pk_fma_f16 v18, v8, v37, v18
	v_pk_fma_f16 v14, v9, v37, v14
	v_mul_u32_u24_e32 v37, 0x10001, v38
	s_delay_alu instid0(VALU_DEP_1) | instskip(SKIP_2) | instid1(VALU_DEP_2)
	v_pk_fma_f16 v9, v9, v37, v15
	v_mul_u32_u24_e32 v15, 0x10001, v42
	v_pk_fma_f16 v8, v8, v37, v36
	v_pk_fma_f16 v16, v10, v15, v16
	v_pk_fma_f16 v13, v11, v15, v13
	v_mul_u32_u24_e32 v15, 0x10001, v40
	s_delay_alu instid0(VALU_DEP_1) | instskip(SKIP_2) | instid1(VALU_DEP_1)
	v_pk_fma_f16 v17, v10, v15, v17
	v_pk_fma_f16 v12, v11, v15, v12
	v_mul_u32_u24_e32 v15, 0x10001, v44
	v_pk_fma_f16 v18, v10, v15, v18
	v_pk_fma_f16 v14, v11, v15, v14
	v_mul_u32_u24_e32 v15, 0x10001, v41
	s_delay_alu instid0(VALU_DEP_1)
	v_pk_fma_f16 v36, v10, v15, v8
	v_pk_fma_f16 v15, v11, v15, v9
	ds_load_b128 v[8:11], v35 offset:19216
	s_wait_dscnt 0x0
	v_lshrrev_b32_e32 v37, 16, v8
	v_and_b32_e32 v8, 0xffff, v8
	v_lshrrev_b32_e32 v38, 16, v9
	v_and_b32_e32 v39, 0xffff, v9
	v_lshrrev_b32_e32 v40, 16, v10
	v_lshrrev_b32_e32 v41, 16, v11
	v_and_b32_e32 v42, 0xffff, v10
	v_and_b32_e32 v44, 0xffff, v11
	v_mul_u32_u24_e32 v49, 0x10001, v8
	ds_load_2addr_b64 v[8:11], v43 offset0:64 offset1:96
	v_mul_u32_u24_e32 v37, 0x10001, v37
	s_wait_dscnt 0x0
	s_delay_alu instid0(VALU_DEP_1) | instskip(SKIP_4) | instid1(VALU_DEP_3)
	v_pk_fma_f16 v17, v8, v37, v17
	v_pk_fma_f16 v12, v9, v37, v12
	v_mul_u32_u24_e32 v37, 0x10001, v39
	v_pk_fma_f16 v16, v8, v49, v16
	v_pk_fma_f16 v13, v9, v49, v13
	v_pk_fma_f16 v18, v8, v37, v18
	v_pk_fma_f16 v14, v9, v37, v14
	v_mul_u32_u24_e32 v37, 0x10001, v38
	s_delay_alu instid0(VALU_DEP_1) | instskip(SKIP_2) | instid1(VALU_DEP_2)
	v_pk_fma_f16 v9, v9, v37, v15
	v_mul_u32_u24_e32 v15, 0x10001, v42
	v_pk_fma_f16 v8, v8, v37, v36
	v_pk_fma_f16 v16, v10, v15, v16
	v_pk_fma_f16 v13, v11, v15, v13
	v_mul_u32_u24_e32 v15, 0x10001, v40
	s_delay_alu instid0(VALU_DEP_1) | instskip(SKIP_2) | instid1(VALU_DEP_1)
	v_pk_fma_f16 v17, v10, v15, v17
	v_pk_fma_f16 v12, v11, v15, v12
	v_mul_u32_u24_e32 v15, 0x10001, v44
	v_pk_fma_f16 v18, v10, v15, v18
	v_pk_fma_f16 v14, v11, v15, v14
	v_mul_u32_u24_e32 v15, 0x10001, v41
	s_delay_alu instid0(VALU_DEP_1)
	v_pk_fma_f16 v36, v10, v15, v8
	v_pk_fma_f16 v15, v11, v15, v9
	ds_load_b128 v[8:11], v35 offset:19232
	s_wait_dscnt 0x0
	v_lshrrev_b32_e32 v37, 16, v8
	v_and_b32_e32 v8, 0xffff, v8
	v_lshrrev_b32_e32 v38, 16, v9
	v_and_b32_e32 v39, 0xffff, v9
	v_lshrrev_b32_e32 v40, 16, v10
	v_lshrrev_b32_e32 v41, 16, v11
	v_and_b32_e32 v42, 0xffff, v10
	v_and_b32_e32 v44, 0xffff, v11
	v_mul_u32_u24_e32 v49, 0x10001, v8
	ds_load_2addr_b64 v[8:11], v43 offset0:128 offset1:160
	;; [unrolled: 40-line block ×3, first 2 shown]
	v_mul_u32_u24_e32 v37, 0x10001, v37
	s_wait_dscnt 0x0
	s_delay_alu instid0(VALU_DEP_1) | instskip(SKIP_4) | instid1(VALU_DEP_3)
	v_pk_fma_f16 v17, v8, v37, v17
	v_pk_fma_f16 v12, v9, v37, v12
	v_mul_u32_u24_e32 v37, 0x10001, v39
	v_pk_fma_f16 v16, v8, v49, v16
	v_pk_fma_f16 v13, v9, v49, v13
	;; [unrolled: 1-line block ×4, first 2 shown]
	v_mul_u32_u24_e32 v37, 0x10001, v38
	s_delay_alu instid0(VALU_DEP_1) | instskip(SKIP_2) | instid1(VALU_DEP_2)
	v_pk_fma_f16 v9, v9, v37, v15
	v_mul_u32_u24_e32 v15, 0x10001, v42
	v_pk_fma_f16 v8, v8, v37, v36
	v_pk_fma_f16 v16, v10, v15, v16
	;; [unrolled: 1-line block ×3, first 2 shown]
	v_mul_u32_u24_e32 v15, 0x10001, v40
	s_delay_alu instid0(VALU_DEP_1) | instskip(SKIP_2) | instid1(VALU_DEP_1)
	v_pk_fma_f16 v17, v10, v15, v17
	v_pk_fma_f16 v12, v11, v15, v12
	v_mul_u32_u24_e32 v15, 0x10001, v44
	v_pk_fma_f16 v18, v10, v15, v18
	v_pk_fma_f16 v14, v11, v15, v14
	v_mul_u32_u24_e32 v15, 0x10001, v41
	s_delay_alu instid0(VALU_DEP_1)
	v_pk_fma_f16 v36, v10, v15, v8
	v_pk_fma_f16 v15, v11, v15, v9
	ds_load_b128 v[8:11], v35 offset:19264
	s_wait_dscnt 0x0
	v_lshrrev_b32_e32 v37, 16, v8
	v_and_b32_e32 v8, 0xffff, v8
	v_lshrrev_b32_e32 v38, 16, v9
	v_and_b32_e32 v39, 0xffff, v9
	v_lshrrev_b32_e32 v40, 16, v10
	v_lshrrev_b32_e32 v41, 16, v11
	v_and_b32_e32 v42, 0xffff, v10
	v_and_b32_e32 v43, 0xffff, v11
	v_mul_u32_u24_e32 v44, 0x10001, v8
	ds_load_2addr_b64 v[8:11], v45 offset1:32
	v_mul_u32_u24_e32 v37, 0x10001, v37
	s_wait_dscnt 0x0
	s_delay_alu instid0(VALU_DEP_1) | instskip(SKIP_4) | instid1(VALU_DEP_3)
	v_pk_fma_f16 v17, v8, v37, v17
	v_pk_fma_f16 v12, v9, v37, v12
	v_mul_u32_u24_e32 v37, 0x10001, v39
	v_pk_fma_f16 v16, v8, v44, v16
	v_pk_fma_f16 v13, v9, v44, v13
	v_pk_fma_f16 v18, v8, v37, v18
	v_pk_fma_f16 v14, v9, v37, v14
	v_mul_u32_u24_e32 v37, 0x10001, v38
	s_delay_alu instid0(VALU_DEP_1) | instskip(SKIP_2) | instid1(VALU_DEP_2)
	v_pk_fma_f16 v9, v9, v37, v15
	v_mul_u32_u24_e32 v15, 0x10001, v42
	v_pk_fma_f16 v8, v8, v37, v36
	v_pk_fma_f16 v16, v10, v15, v16
	v_pk_fma_f16 v13, v11, v15, v13
	v_mul_u32_u24_e32 v15, 0x10001, v40
	s_delay_alu instid0(VALU_DEP_1) | instskip(SKIP_2) | instid1(VALU_DEP_1)
	v_pk_fma_f16 v17, v10, v15, v17
	v_pk_fma_f16 v12, v11, v15, v12
	v_mul_u32_u24_e32 v15, 0x10001, v43
	v_pk_fma_f16 v18, v10, v15, v18
	v_pk_fma_f16 v14, v11, v15, v14
	v_mul_u32_u24_e32 v15, 0x10001, v41
	s_delay_alu instid0(VALU_DEP_1)
	v_pk_fma_f16 v36, v10, v15, v8
	v_pk_fma_f16 v15, v11, v15, v9
	ds_load_b128 v[8:11], v35 offset:19280
	s_wait_dscnt 0x0
	v_lshrrev_b32_e32 v37, 16, v8
	v_and_b32_e32 v8, 0xffff, v8
	v_lshrrev_b32_e32 v38, 16, v9
	v_and_b32_e32 v39, 0xffff, v9
	v_lshrrev_b32_e32 v40, 16, v10
	v_lshrrev_b32_e32 v41, 16, v11
	v_and_b32_e32 v42, 0xffff, v10
	v_and_b32_e32 v43, 0xffff, v11
	v_mul_u32_u24_e32 v44, 0x10001, v8
	ds_load_2addr_b64 v[8:11], v45 offset0:64 offset1:96
	v_mul_u32_u24_e32 v37, 0x10001, v37
	s_wait_dscnt 0x0
	s_delay_alu instid0(VALU_DEP_1) | instskip(SKIP_4) | instid1(VALU_DEP_3)
	v_pk_fma_f16 v17, v8, v37, v17
	v_pk_fma_f16 v12, v9, v37, v12
	v_mul_u32_u24_e32 v37, 0x10001, v39
	v_pk_fma_f16 v16, v8, v44, v16
	v_pk_fma_f16 v13, v9, v44, v13
	v_pk_fma_f16 v18, v8, v37, v18
	v_pk_fma_f16 v14, v9, v37, v14
	v_mul_u32_u24_e32 v37, 0x10001, v38
	s_delay_alu instid0(VALU_DEP_1) | instskip(SKIP_2) | instid1(VALU_DEP_2)
	v_pk_fma_f16 v9, v9, v37, v15
	v_mul_u32_u24_e32 v15, 0x10001, v42
	v_pk_fma_f16 v8, v8, v37, v36
	v_pk_fma_f16 v16, v10, v15, v16
	v_pk_fma_f16 v13, v11, v15, v13
	v_mul_u32_u24_e32 v15, 0x10001, v40
	s_delay_alu instid0(VALU_DEP_1) | instskip(SKIP_2) | instid1(VALU_DEP_1)
	v_pk_fma_f16 v17, v10, v15, v17
	v_pk_fma_f16 v12, v11, v15, v12
	v_mul_u32_u24_e32 v15, 0x10001, v43
	v_pk_fma_f16 v18, v10, v15, v18
	v_pk_fma_f16 v14, v11, v15, v14
	v_mul_u32_u24_e32 v15, 0x10001, v41
	s_delay_alu instid0(VALU_DEP_1)
	v_pk_fma_f16 v36, v10, v15, v8
	v_pk_fma_f16 v15, v11, v15, v9
	ds_load_b128 v[8:11], v35 offset:19296
	s_wait_dscnt 0x0
	v_lshrrev_b32_e32 v37, 16, v8
	v_and_b32_e32 v8, 0xffff, v8
	v_lshrrev_b32_e32 v38, 16, v9
	v_and_b32_e32 v39, 0xffff, v9
	v_lshrrev_b32_e32 v40, 16, v10
	v_lshrrev_b32_e32 v41, 16, v11
	v_and_b32_e32 v42, 0xffff, v10
	v_and_b32_e32 v43, 0xffff, v11
	v_mul_u32_u24_e32 v44, 0x10001, v8
	ds_load_2addr_b64 v[8:11], v45 offset0:128 offset1:160
	;; [unrolled: 40-line block ×3, first 2 shown]
	v_mul_u32_u24_e32 v37, 0x10001, v37
	s_wait_dscnt 0x0
	s_delay_alu instid0(VALU_DEP_1) | instskip(SKIP_4) | instid1(VALU_DEP_3)
	v_pk_fma_f16 v17, v8, v37, v17
	v_pk_fma_f16 v12, v9, v37, v12
	v_mul_u32_u24_e32 v37, 0x10001, v39
	v_pk_fma_f16 v16, v8, v44, v16
	v_pk_fma_f16 v13, v9, v44, v13
	;; [unrolled: 1-line block ×4, first 2 shown]
	v_mul_u32_u24_e32 v37, 0x10001, v38
	s_delay_alu instid0(VALU_DEP_1) | instskip(SKIP_2) | instid1(VALU_DEP_2)
	v_pk_fma_f16 v9, v9, v37, v15
	v_mul_u32_u24_e32 v15, 0x10001, v42
	v_pk_fma_f16 v8, v8, v37, v36
	v_pk_fma_f16 v16, v10, v15, v16
	;; [unrolled: 1-line block ×3, first 2 shown]
	v_mul_u32_u24_e32 v15, 0x10001, v40
	s_delay_alu instid0(VALU_DEP_1) | instskip(SKIP_2) | instid1(VALU_DEP_1)
	v_pk_fma_f16 v17, v10, v15, v17
	v_pk_fma_f16 v12, v11, v15, v12
	v_mul_u32_u24_e32 v15, 0x10001, v43
	v_pk_fma_f16 v18, v10, v15, v18
	v_pk_fma_f16 v14, v11, v15, v14
	v_mul_u32_u24_e32 v15, 0x10001, v41
	s_delay_alu instid0(VALU_DEP_1)
	v_pk_fma_f16 v36, v10, v15, v8
	v_pk_fma_f16 v15, v11, v15, v9
	ds_load_b128 v[8:11], v35 offset:19328
	s_wait_dscnt 0x0
	v_lshrrev_b32_e32 v37, 16, v8
	v_and_b32_e32 v8, 0xffff, v8
	v_lshrrev_b32_e32 v38, 16, v9
	v_and_b32_e32 v39, 0xffff, v9
	v_lshrrev_b32_e32 v40, 16, v10
	v_lshrrev_b32_e32 v41, 16, v11
	v_and_b32_e32 v42, 0xffff, v10
	v_and_b32_e32 v43, 0xffff, v11
	v_mul_u32_u24_e32 v44, 0x10001, v8
	ds_load_2addr_b64 v[8:11], v46 offset1:32
	v_mul_u32_u24_e32 v37, 0x10001, v37
	s_wait_dscnt 0x0
	s_delay_alu instid0(VALU_DEP_1) | instskip(SKIP_4) | instid1(VALU_DEP_3)
	v_pk_fma_f16 v17, v8, v37, v17
	v_pk_fma_f16 v12, v9, v37, v12
	v_mul_u32_u24_e32 v37, 0x10001, v39
	v_pk_fma_f16 v16, v8, v44, v16
	v_pk_fma_f16 v13, v9, v44, v13
	v_pk_fma_f16 v18, v8, v37, v18
	v_pk_fma_f16 v14, v9, v37, v14
	v_mul_u32_u24_e32 v37, 0x10001, v38
	s_delay_alu instid0(VALU_DEP_1) | instskip(SKIP_2) | instid1(VALU_DEP_2)
	v_pk_fma_f16 v9, v9, v37, v15
	v_mul_u32_u24_e32 v15, 0x10001, v42
	v_pk_fma_f16 v8, v8, v37, v36
	v_pk_fma_f16 v16, v10, v15, v16
	v_pk_fma_f16 v13, v11, v15, v13
	v_mul_u32_u24_e32 v15, 0x10001, v40
	s_delay_alu instid0(VALU_DEP_1) | instskip(SKIP_2) | instid1(VALU_DEP_1)
	v_pk_fma_f16 v17, v10, v15, v17
	v_pk_fma_f16 v12, v11, v15, v12
	v_mul_u32_u24_e32 v15, 0x10001, v43
	v_pk_fma_f16 v18, v10, v15, v18
	v_pk_fma_f16 v14, v11, v15, v14
	v_mul_u32_u24_e32 v15, 0x10001, v41
	s_delay_alu instid0(VALU_DEP_1)
	v_pk_fma_f16 v36, v10, v15, v8
	v_pk_fma_f16 v15, v11, v15, v9
	ds_load_b128 v[8:11], v35 offset:19344
	s_wait_dscnt 0x0
	v_lshrrev_b32_e32 v37, 16, v8
	v_and_b32_e32 v8, 0xffff, v8
	v_lshrrev_b32_e32 v38, 16, v9
	v_and_b32_e32 v39, 0xffff, v9
	v_lshrrev_b32_e32 v40, 16, v10
	v_lshrrev_b32_e32 v41, 16, v11
	v_and_b32_e32 v42, 0xffff, v10
	v_and_b32_e32 v43, 0xffff, v11
	v_mul_u32_u24_e32 v44, 0x10001, v8
	ds_load_2addr_b64 v[8:11], v46 offset0:64 offset1:96
	v_mul_u32_u24_e32 v37, 0x10001, v37
	s_wait_dscnt 0x0
	s_delay_alu instid0(VALU_DEP_1) | instskip(SKIP_4) | instid1(VALU_DEP_3)
	v_pk_fma_f16 v17, v8, v37, v17
	v_pk_fma_f16 v12, v9, v37, v12
	v_mul_u32_u24_e32 v37, 0x10001, v39
	v_pk_fma_f16 v16, v8, v44, v16
	v_pk_fma_f16 v13, v9, v44, v13
	v_pk_fma_f16 v18, v8, v37, v18
	v_pk_fma_f16 v14, v9, v37, v14
	v_mul_u32_u24_e32 v37, 0x10001, v38
	s_delay_alu instid0(VALU_DEP_1) | instskip(SKIP_2) | instid1(VALU_DEP_2)
	v_pk_fma_f16 v9, v9, v37, v15
	v_mul_u32_u24_e32 v15, 0x10001, v42
	v_pk_fma_f16 v8, v8, v37, v36
	v_pk_fma_f16 v16, v10, v15, v16
	v_pk_fma_f16 v13, v11, v15, v13
	v_mul_u32_u24_e32 v15, 0x10001, v40
	s_delay_alu instid0(VALU_DEP_1) | instskip(SKIP_2) | instid1(VALU_DEP_1)
	v_pk_fma_f16 v17, v10, v15, v17
	v_pk_fma_f16 v12, v11, v15, v12
	v_mul_u32_u24_e32 v15, 0x10001, v43
	v_pk_fma_f16 v18, v10, v15, v18
	v_pk_fma_f16 v14, v11, v15, v14
	v_mul_u32_u24_e32 v15, 0x10001, v41
	s_delay_alu instid0(VALU_DEP_1)
	v_pk_fma_f16 v36, v10, v15, v8
	v_pk_fma_f16 v15, v11, v15, v9
	ds_load_b128 v[8:11], v35 offset:19360
	s_wait_dscnt 0x0
	v_lshrrev_b32_e32 v37, 16, v8
	v_and_b32_e32 v8, 0xffff, v8
	v_lshrrev_b32_e32 v38, 16, v9
	v_and_b32_e32 v39, 0xffff, v9
	v_lshrrev_b32_e32 v40, 16, v10
	v_lshrrev_b32_e32 v41, 16, v11
	v_and_b32_e32 v42, 0xffff, v10
	v_and_b32_e32 v43, 0xffff, v11
	v_mul_u32_u24_e32 v44, 0x10001, v8
	ds_load_2addr_b64 v[8:11], v46 offset0:128 offset1:160
	;; [unrolled: 40-line block ×3, first 2 shown]
	v_mul_u32_u24_e32 v37, 0x10001, v37
	s_wait_dscnt 0x0
	s_delay_alu instid0(VALU_DEP_1) | instskip(SKIP_4) | instid1(VALU_DEP_3)
	v_pk_fma_f16 v17, v8, v37, v17
	v_pk_fma_f16 v12, v9, v37, v12
	v_mul_u32_u24_e32 v37, 0x10001, v39
	v_pk_fma_f16 v16, v8, v44, v16
	v_pk_fma_f16 v13, v9, v44, v13
	;; [unrolled: 1-line block ×4, first 2 shown]
	v_mul_u32_u24_e32 v37, 0x10001, v38
	s_delay_alu instid0(VALU_DEP_1) | instskip(SKIP_2) | instid1(VALU_DEP_2)
	v_pk_fma_f16 v9, v9, v37, v15
	v_mul_u32_u24_e32 v15, 0x10001, v42
	v_pk_fma_f16 v8, v8, v37, v36
	v_pk_fma_f16 v16, v10, v15, v16
	;; [unrolled: 1-line block ×3, first 2 shown]
	v_mul_u32_u24_e32 v15, 0x10001, v40
	s_delay_alu instid0(VALU_DEP_1) | instskip(SKIP_2) | instid1(VALU_DEP_1)
	v_pk_fma_f16 v17, v10, v15, v17
	v_pk_fma_f16 v12, v11, v15, v12
	v_mul_u32_u24_e32 v15, 0x10001, v43
	v_pk_fma_f16 v18, v10, v15, v18
	v_pk_fma_f16 v14, v11, v15, v14
	v_mul_u32_u24_e32 v15, 0x10001, v41
	s_delay_alu instid0(VALU_DEP_1)
	v_pk_fma_f16 v36, v10, v15, v8
	v_pk_fma_f16 v15, v11, v15, v9
	ds_load_b128 v[8:11], v35 offset:19392
	s_wait_dscnt 0x0
	v_lshrrev_b32_e32 v37, 16, v8
	v_and_b32_e32 v8, 0xffff, v8
	v_lshrrev_b32_e32 v38, 16, v9
	v_and_b32_e32 v39, 0xffff, v9
	v_lshrrev_b32_e32 v40, 16, v10
	v_lshrrev_b32_e32 v41, 16, v11
	v_and_b32_e32 v42, 0xffff, v10
	v_and_b32_e32 v43, 0xffff, v11
	v_mul_u32_u24_e32 v44, 0x10001, v8
	ds_load_2addr_b64 v[8:11], v47 offset1:32
	v_mul_u32_u24_e32 v37, 0x10001, v37
	s_wait_dscnt 0x0
	s_delay_alu instid0(VALU_DEP_1) | instskip(SKIP_4) | instid1(VALU_DEP_3)
	v_pk_fma_f16 v17, v8, v37, v17
	v_pk_fma_f16 v12, v9, v37, v12
	v_mul_u32_u24_e32 v37, 0x10001, v39
	v_pk_fma_f16 v16, v8, v44, v16
	v_pk_fma_f16 v13, v9, v44, v13
	v_pk_fma_f16 v18, v8, v37, v18
	v_pk_fma_f16 v14, v9, v37, v14
	v_mul_u32_u24_e32 v37, 0x10001, v38
	s_delay_alu instid0(VALU_DEP_1) | instskip(SKIP_2) | instid1(VALU_DEP_2)
	v_pk_fma_f16 v9, v9, v37, v15
	v_mul_u32_u24_e32 v15, 0x10001, v42
	v_pk_fma_f16 v8, v8, v37, v36
	v_pk_fma_f16 v16, v10, v15, v16
	v_pk_fma_f16 v13, v11, v15, v13
	v_mul_u32_u24_e32 v15, 0x10001, v40
	s_delay_alu instid0(VALU_DEP_1) | instskip(SKIP_2) | instid1(VALU_DEP_1)
	v_pk_fma_f16 v17, v10, v15, v17
	v_pk_fma_f16 v12, v11, v15, v12
	v_mul_u32_u24_e32 v15, 0x10001, v43
	v_pk_fma_f16 v18, v10, v15, v18
	v_pk_fma_f16 v14, v11, v15, v14
	v_mul_u32_u24_e32 v15, 0x10001, v41
	s_delay_alu instid0(VALU_DEP_1)
	v_pk_fma_f16 v36, v10, v15, v8
	v_pk_fma_f16 v15, v11, v15, v9
	ds_load_b128 v[8:11], v35 offset:19408
	s_wait_dscnt 0x0
	v_lshrrev_b32_e32 v37, 16, v8
	v_and_b32_e32 v8, 0xffff, v8
	v_lshrrev_b32_e32 v38, 16, v9
	v_and_b32_e32 v39, 0xffff, v9
	v_lshrrev_b32_e32 v40, 16, v10
	v_lshrrev_b32_e32 v41, 16, v11
	v_and_b32_e32 v42, 0xffff, v10
	v_and_b32_e32 v43, 0xffff, v11
	v_mul_u32_u24_e32 v44, 0x10001, v8
	ds_load_2addr_b64 v[8:11], v47 offset0:64 offset1:96
	v_mul_u32_u24_e32 v37, 0x10001, v37
	s_wait_dscnt 0x0
	s_delay_alu instid0(VALU_DEP_1) | instskip(SKIP_4) | instid1(VALU_DEP_3)
	v_pk_fma_f16 v17, v8, v37, v17
	v_pk_fma_f16 v12, v9, v37, v12
	v_mul_u32_u24_e32 v37, 0x10001, v39
	v_pk_fma_f16 v16, v8, v44, v16
	v_pk_fma_f16 v13, v9, v44, v13
	v_pk_fma_f16 v18, v8, v37, v18
	v_pk_fma_f16 v14, v9, v37, v14
	v_mul_u32_u24_e32 v37, 0x10001, v38
	s_delay_alu instid0(VALU_DEP_1) | instskip(SKIP_2) | instid1(VALU_DEP_2)
	v_pk_fma_f16 v9, v9, v37, v15
	v_mul_u32_u24_e32 v15, 0x10001, v42
	v_pk_fma_f16 v8, v8, v37, v36
	v_pk_fma_f16 v16, v10, v15, v16
	v_pk_fma_f16 v13, v11, v15, v13
	v_mul_u32_u24_e32 v15, 0x10001, v40
	s_delay_alu instid0(VALU_DEP_1) | instskip(SKIP_2) | instid1(VALU_DEP_1)
	v_pk_fma_f16 v17, v10, v15, v17
	v_pk_fma_f16 v12, v11, v15, v12
	v_mul_u32_u24_e32 v15, 0x10001, v43
	v_pk_fma_f16 v18, v10, v15, v18
	v_pk_fma_f16 v14, v11, v15, v14
	v_mul_u32_u24_e32 v15, 0x10001, v41
	s_delay_alu instid0(VALU_DEP_1)
	v_pk_fma_f16 v36, v10, v15, v8
	v_pk_fma_f16 v15, v11, v15, v9
	ds_load_b128 v[8:11], v35 offset:19424
	s_wait_dscnt 0x0
	v_lshrrev_b32_e32 v37, 16, v8
	v_and_b32_e32 v8, 0xffff, v8
	v_lshrrev_b32_e32 v38, 16, v9
	v_and_b32_e32 v39, 0xffff, v9
	v_lshrrev_b32_e32 v40, 16, v10
	v_lshrrev_b32_e32 v41, 16, v11
	v_and_b32_e32 v42, 0xffff, v10
	v_and_b32_e32 v43, 0xffff, v11
	v_mul_u32_u24_e32 v44, 0x10001, v8
	ds_load_2addr_b64 v[8:11], v47 offset0:128 offset1:160
	;; [unrolled: 40-line block ×3, first 2 shown]
	v_mul_u32_u24_e32 v35, 0x10001, v35
	s_wait_loadcnt_dscnt 0x0
	s_barrier_signal -1
	s_barrier_wait -1
	global_inv scope:SCOPE_SE
	v_pk_fma_f16 v17, v8, v35, v17
	v_pk_fma_f16 v12, v9, v35, v12
	v_mul_u32_u24_e32 v35, 0x10001, v38
	v_pk_fma_f16 v13, v9, v43, v13
	v_pk_fma_f16 v16, v8, v43, v16
	s_delay_alu instid0(VALU_DEP_3) | instskip(SKIP_2) | instid1(VALU_DEP_1)
	v_pk_fma_f16 v18, v8, v35, v18
	v_pk_fma_f16 v14, v9, v35, v14
	v_mul_u32_u24_e32 v35, 0x10001, v37
	v_pk_fma_f16 v9, v9, v35, v15
	v_mul_u32_u24_e32 v15, 0x10001, v41
	v_pk_fma_f16 v8, v8, v35, v36
	s_delay_alu instid0(VALU_DEP_2) | instskip(SKIP_2) | instid1(VALU_DEP_2)
	v_pk_fma_f16 v49, v11, v15, v13
	v_mul_u32_u24_e32 v13, 0x10001, v39
	v_pk_fma_f16 v47, v10, v15, v16
	v_pk_fma_f16 v46, v11, v13, v12
	v_mul_u32_u24_e32 v12, 0x10001, v42
	v_pk_fma_f16 v45, v10, v13, v17
	s_delay_alu instid0(VALU_DEP_2) | instskip(SKIP_2) | instid1(VALU_DEP_1)
	v_pk_fma_f16 v42, v10, v12, v18
	v_pk_fma_f16 v43, v11, v12, v14
	v_mul_u32_u24_e32 v12, 0x10001, v40
	v_pk_fma_f16 v41, v10, v12, v8
	v_add_f32_e32 v8, v52, v61
	v_pk_fma_f16 v40, v11, v12, v9
	s_delay_alu instid0(VALU_DEP_2) | instskip(NEXT) | instid1(VALU_DEP_1)
	v_add_f32_e32 v8, v65, v8
	v_add_f32_e32 v8, v69, v8
	s_delay_alu instid0(VALU_DEP_1) | instskip(SKIP_1) | instid1(VALU_DEP_2)
	v_fmac_f32_e32 v8, v20, v0
	v_add_f32_e32 v0, v51, v60
	v_mov_b32_e32 v20, v8
	s_delay_alu instid0(VALU_DEP_2) | instskip(NEXT) | instid1(VALU_DEP_1)
	v_add_f32_e32 v0, v64, v0
	v_add_f32_e32 v0, v68, v0
	s_delay_alu instid0(VALU_DEP_1) | instskip(NEXT) | instid1(VALU_DEP_1)
	v_fmac_f32_e32 v0, v22, v1
	v_dual_add_f32 v1, v50, v54 :: v_dual_mov_b32 v22, v0
	s_delay_alu instid0(VALU_DEP_1) | instskip(NEXT) | instid1(VALU_DEP_1)
	v_add_f32_e32 v1, v63, v1
	v_add_f32_e32 v1, v67, v1
	s_delay_alu instid0(VALU_DEP_1) | instskip(NEXT) | instid1(VALU_DEP_1)
	v_dual_fmac_f32 v1, v23, v2 :: v_dual_add_f32 v2, v48, v53
	v_dual_mov_b32 v23, v1 :: v_dual_add_f32 v2, v62, v2
	s_delay_alu instid0(VALU_DEP_1) | instskip(NEXT) | instid1(VALU_DEP_1)
	v_add_f32_e32 v2, v66, v2
	v_fmac_f32_e32 v2, v21, v3
	s_delay_alu instid0(VALU_DEP_1)
	v_dual_mov_b32 v21, v2 :: v_dual_mov_b32 v0, v4
	v_dual_mov_b32 v1, v5 :: v_dual_mov_b32 v2, v6
	v_mov_b32_e32 v3, v7
.LBB56_128:
	v_cmp_lt_i32_e32 vcc_lo, v59, v58
	s_cmp_eq_u64 s[12:13], 0
	s_cselect_b32 s2, -1, 0
	s_cmp_lg_u32 s10, 0
	s_wait_alu 0xfffd
	v_cndmask_b32_e32 v4, v34, v59, vcc_lo
	v_cmp_lt_i32_e32 vcc_lo, v57, v58
	s_cselect_b32 s3, -1, 0
	s_wait_alu 0xfffe
	s_or_b32 s2, s3, s2
	v_lshlrev_b32_e32 v4, 2, v4
	ds_bpermute_b32 v7, v4, v23
	s_wait_dscnt 0x0
	v_add_f32_e32 v7, v23, v7
	ds_bpermute_b32 v5, v4, v20
	s_wait_alu 0xfffd
	v_cndmask_b32_e32 v8, v34, v57, vcc_lo
	ds_bpermute_b32 v6, v4, v22
	ds_bpermute_b32 v4, v4, v21
	v_cmp_lt_i32_e32 vcc_lo, v56, v58
	s_wait_alu 0xfffd
	v_cndmask_b32_e32 v12, v34, v56, vcc_lo
	v_cmp_lt_i32_e32 vcc_lo, v55, v58
	s_wait_dscnt 0x2
	s_delay_alu instid0(VALU_DEP_2)
	v_dual_add_f32 v5, v20, v5 :: v_dual_lshlrev_b32 v12, 2, v12
	v_lshlrev_b32_e32 v8, 2, v8
	ds_bpermute_b32 v9, v8, v5
	s_wait_dscnt 0x0
	v_add_f32_e32 v5, v5, v9
	ds_bpermute_b32 v11, v8, v7
	v_add_f32_e32 v6, v22, v6
	ds_bpermute_b32 v10, v8, v6
	s_wait_dscnt 0x1
	v_dual_add_f32 v7, v7, v11 :: v_dual_add_f32 v4, v21, v4
	ds_bpermute_b32 v8, v8, v4
	s_wait_dscnt 0x0
	v_add_f32_e32 v4, v4, v8
	ds_bpermute_b32 v8, v12, v5
	ds_bpermute_b32 v11, v12, v4
	s_wait_dscnt 0x1
	v_dual_add_f32 v5, v5, v8 :: v_dual_add_f32 v6, v6, v10
	ds_bpermute_b32 v10, v12, v7
	s_wait_dscnt 0x1
	v_add_f32_e32 v4, v4, v11
	ds_bpermute_b32 v9, v12, v6
	s_wait_alu 0xfffd
	v_cndmask_b32_e32 v12, v34, v55, vcc_lo
	v_cmp_lt_i32_e32 vcc_lo, v19, v58
	s_delay_alu instid0(VALU_DEP_2)
	v_lshlrev_b32_e32 v12, 2, v12
	ds_bpermute_b32 v8, v12, v5
	ds_bpermute_b32 v11, v12, v4
	s_wait_dscnt 0x3
	v_add_f32_e32 v7, v7, v10
	ds_bpermute_b32 v10, v12, v7
	s_wait_dscnt 0x2
	v_dual_add_f32 v5, v5, v8 :: v_dual_add_f32 v6, v6, v9
	s_wait_dscnt 0x1
	v_add_f32_e32 v8, v4, v11
	ds_bpermute_b32 v9, v12, v6
	s_wait_alu 0xfffd
	v_cndmask_b32_e32 v12, v34, v19, vcc_lo
	s_wait_alu 0xfffe
	s_and_b32 vcc_lo, exec_lo, s2
	s_wait_dscnt 0x1
	s_delay_alu instid0(VALU_DEP_1)
	v_dual_add_f32 v7, v7, v10 :: v_dual_lshlrev_b32 v12, 2, v12
	ds_bpermute_b32 v4, v12, v5
	ds_bpermute_b32 v10, v12, v7
	;; [unrolled: 1-line block ×3, first 2 shown]
	s_wait_dscnt 0x3
	v_add_f32_e32 v6, v6, v9
	ds_bpermute_b32 v9, v12, v6
	s_wait_dscnt 0x0
	v_dual_add_f32 v4, v5, v4 :: v_dual_add_f32 v5, v6, v9
	v_dual_add_f32 v6, v7, v10 :: v_dual_add_f32 v7, v8, v11
	s_wait_alu 0xfffe
	s_cbranch_vccnz .LBB56_131
; %bb.129:
	v_dual_mov_b32 v8, 0 :: v_dual_max_num_f32 v9, v0, v0
	s_lshl_b64 s[2:3], s[34:35], 2
	v_dual_max_num_f32 v14, v2, v2 :: v_dual_max_num_f32 v15, v3, v3
	s_wait_alu 0xfffe
	s_add_nc_u64 s[2:3], s[12:13], s[2:3]
	v_max_num_f32_e32 v11, v1, v1
	global_load_b32 v8, v8, s[2:3]
	s_wait_loadcnt 0x0
	v_max_num_f32_e32 v10, v8, v8
	s_delay_alu instid0(VALU_DEP_1) | instskip(NEXT) | instid1(VALU_DEP_1)
	v_max_num_f32_e32 v15, v15, v10
	v_dual_max_num_f32 v12, v9, v10 :: v_dual_sub_f32 v3, v3, v15
	s_delay_alu instid0(VALU_DEP_1) | instskip(SKIP_1) | instid1(VALU_DEP_2)
	v_dual_max_num_f32 v13, v11, v10 :: v_dual_sub_f32 v0, v0, v12
	v_dual_max_num_f32 v14, v14, v10 :: v_dual_sub_f32 v9, v8, v12
	v_sub_f32_e32 v1, v1, v13
	v_sub_f32_e32 v10, v8, v13
	s_delay_alu instid0(VALU_DEP_3) | instskip(NEXT) | instid1(VALU_DEP_4)
	v_sub_f32_e32 v11, v8, v14
	v_dual_sub_f32 v16, v8, v15 :: v_dual_mul_f32 v17, 0x3fb8aa3b, v9
	v_mul_f32_e32 v8, 0x3fb8aa3b, v0
	v_sub_f32_e32 v2, v2, v14
	v_dual_mul_f32 v18, 0x3fb8aa3b, v1 :: v_dual_mul_f32 v19, 0x3fb8aa3b, v10
	s_delay_alu instid0(VALU_DEP_4) | instskip(NEXT) | instid1(VALU_DEP_4)
	v_dual_mul_f32 v22, 0x3fb8aa3b, v3 :: v_dual_mul_f32 v23, 0x3fb8aa3b, v16
	v_fma_f32 v34, 0x3fb8aa3b, v0, -v8
	v_rndne_f32_e32 v35, v8
	v_fma_f32 v36, 0x3fb8aa3b, v9, -v17
	v_rndne_f32_e32 v37, v17
	;; [unrolled: 2-line block ×3, first 2 shown]
	v_rndne_f32_e32 v57, v23
	s_delay_alu instid0(VALU_DEP_4) | instskip(NEXT) | instid1(VALU_DEP_3)
	v_dual_fmac_f32 v34, 0x32a5705f, v0 :: v_dual_sub_f32 v17, v17, v37
	v_dual_sub_f32 v8, v8, v35 :: v_dual_sub_f32 v19, v19, v48
	v_dual_mul_f32 v20, 0x3fb8aa3b, v2 :: v_dual_mul_f32 v21, 0x3fb8aa3b, v11
	v_fma_f32 v38, 0x3fb8aa3b, v1, -v18
	v_rndne_f32_e32 v39, v18
	v_fma_f32 v56, 0x3fb8aa3b, v16, -v23
	v_dual_fmac_f32 v44, 0x32a5705f, v10 :: v_dual_sub_f32 v23, v23, v57
	v_fmac_f32_e32 v36, 0x32a5705f, v9
	v_add_f32_e32 v8, v8, v34
	v_rndne_f32_e32 v53, v21
	s_delay_alu instid0(VALU_DEP_4) | instskip(NEXT) | instid1(VALU_DEP_4)
	v_dual_sub_f32 v18, v18, v39 :: v_dual_add_f32 v19, v19, v44
	v_dual_fmac_f32 v38, 0x32a5705f, v1 :: v_dual_add_f32 v17, v17, v36
	s_delay_alu instid0(VALU_DEP_4) | instskip(SKIP_2) | instid1(VALU_DEP_3)
	v_exp_f32_e32 v8, v8
	v_fma_f32 v52, 0x3fb8aa3b, v11, -v21
	v_cvt_i32_f32_e32 v35, v35
	v_dual_sub_f32 v21, v21, v53 :: v_dual_add_f32 v18, v18, v38
	v_exp_f32_e32 v17, v17
	v_cvt_i32_f32_e32 v37, v37
	v_cmp_ngt_f32_e32 vcc_lo, 0xc2ce8ed0, v0
	v_cvt_i32_f32_e32 v39, v39
	v_exp_f32_e32 v18, v18
	s_delay_alu instid0(TRANS32_DEP_3)
	v_ldexp_f32 v8, v8, v35
	v_exp_f32_e32 v19, v19
	v_cvt_i32_f32_e32 v48, v48
	v_fma_f32 v50, 0x3fb8aa3b, v2, -v20
	v_rndne_f32_e32 v51, v20
	v_ldexp_f32 v17, v17, v37
	s_wait_alu 0xfffd
	v_cndmask_b32_e32 v8, 0, v8, vcc_lo
	v_cmp_ngt_f32_e32 vcc_lo, 0xc2ce8ed0, v9
	v_fmac_f32_e32 v52, 0x32a5705f, v11
	v_ldexp_f32 v18, v18, v39
	v_fma_f32 v54, 0x3fb8aa3b, v3, -v22
	v_ldexp_f32 v19, v19, v48
	s_wait_alu 0xfffd
	v_cndmask_b32_e32 v17, 0, v17, vcc_lo
	v_cmp_ngt_f32_e32 vcc_lo, 0xc2ce8ed0, v1
	v_dual_fmac_f32 v50, 0x32a5705f, v2 :: v_dual_add_f32 v21, v21, v52
	v_rndne_f32_e32 v55, v22
	v_cvt_i32_f32_e32 v53, v53
	s_wait_alu 0xfffd
	v_cndmask_b32_e32 v18, 0, v18, vcc_lo
	v_cmp_ngt_f32_e32 vcc_lo, 0xc2ce8ed0, v10
	v_fmac_f32_e32 v56, 0x32a5705f, v16
	v_exp_f32_e32 v21, v21
	v_sub_f32_e32 v22, v22, v55
	v_cvt_i32_f32_e32 v34, v55
	s_wait_alu 0xfffd
	v_cndmask_b32_e32 v19, 0, v19, vcc_lo
	v_dual_sub_f32 v20, v20, v51 :: v_dual_add_f32 v23, v23, v56
	v_cvt_i32_f32_e32 v51, v51
	v_cmp_ngt_f32_e32 vcc_lo, 0xc2ce8ed0, v2
	v_cvt_i32_f32_e32 v36, v57
	s_delay_alu instid0(VALU_DEP_4) | instskip(SKIP_2) | instid1(VALU_DEP_2)
	v_add_f32_e32 v20, v20, v50
	v_ldexp_f32 v21, v21, v53
	v_exp_f32_e32 v23, v23
	v_exp_f32_e32 v20, v20
	s_delay_alu instid0(TRANS32_DEP_2) | instskip(NEXT) | instid1(TRANS32_DEP_1)
	v_ldexp_f32 v23, v23, v36
	v_ldexp_f32 v20, v20, v51
	s_wait_alu 0xfffd
	s_delay_alu instid0(VALU_DEP_1) | instskip(SKIP_3) | instid1(VALU_DEP_1)
	v_cndmask_b32_e32 v20, 0, v20, vcc_lo
	v_cmp_ngt_f32_e32 vcc_lo, 0xc2ce8ed0, v11
	s_wait_alu 0xfffd
	v_dual_fmac_f32 v54, 0x32a5705f, v3 :: v_dual_cndmask_b32 v21, 0, v21
	v_add_f32_e32 v22, v22, v54
	v_cmp_ngt_f32_e32 vcc_lo, 0xc2ce8ed0, v3
	s_delay_alu instid0(VALU_DEP_2) | instskip(NEXT) | instid1(TRANS32_DEP_1)
	v_exp_f32_e32 v22, v22
	v_ldexp_f32 v22, v22, v34
	s_wait_alu 0xfffd
	s_delay_alu instid0(VALU_DEP_1)
	v_cndmask_b32_e32 v22, 0, v22, vcc_lo
	v_cmp_ngt_f32_e32 vcc_lo, 0xc2ce8ed0, v16
	s_wait_alu 0xfffd
	v_cndmask_b32_e32 v23, 0, v23, vcc_lo
	v_cmp_nlt_f32_e32 vcc_lo, 0x42b17218, v0
	s_wait_alu 0xfffd
	v_cndmask_b32_e32 v0, 0x7f800000, v8, vcc_lo
	v_cmp_nlt_f32_e32 vcc_lo, 0x42b17218, v9
	;; [unrolled: 3-line block ×3, first 2 shown]
	s_wait_alu 0xfffd
	s_delay_alu instid0(VALU_DEP_2)
	v_dual_fmac_f32 v8, v4, v0 :: v_dual_cndmask_b32 v1, 0x7f800000, v18
	v_cmp_nlt_f32_e32 vcc_lo, 0x42b17218, v10
	s_wait_alu 0xfffd
	v_cndmask_b32_e32 v9, 0x7f800000, v19, vcc_lo
	v_cmp_nlt_f32_e32 vcc_lo, 0x42b17218, v2
	s_wait_alu 0xfffd
	s_delay_alu instid0(VALU_DEP_2)
	v_dual_fmac_f32 v9, v5, v1 :: v_dual_cndmask_b32 v2, 0x7f800000, v20
	v_cmp_nlt_f32_e32 vcc_lo, 0x42b17218, v11
	v_cvt_f16_f32_e32 v1, v1
	s_wait_alu 0xfffd
	v_cndmask_b32_e32 v10, 0x7f800000, v21, vcc_lo
	v_cmp_nlt_f32_e32 vcc_lo, 0x42b17218, v3
	s_delay_alu instid0(VALU_DEP_2)
	v_dual_fmac_f32 v10, v6, v2 :: v_dual_and_b32 v1, 0xffff, v1
	s_wait_alu 0xfffd
	v_cndmask_b32_e32 v3, 0x7f800000, v22, vcc_lo
	v_cmp_nlt_f32_e32 vcc_lo, 0x42b17218, v16
	v_cvt_f16_f32_e32 v2, v2
	v_mul_u32_u24_e32 v1, 0x10001, v1
	s_delay_alu instid0(VALU_DEP_4)
	v_cvt_f16_f32_e32 v4, v3
	s_wait_alu 0xfffd
	v_cndmask_b32_e32 v11, 0x7f800000, v23, vcc_lo
	v_and_b32_e32 v2, 0xffff, v2
	v_pk_mul_f16 v45, v45, v1
	v_pk_mul_f16 v46, v46, v1
	s_delay_alu instid0(VALU_DEP_4) | instskip(SKIP_3) | instid1(VALU_DEP_4)
	v_fmac_f32_e32 v11, v7, v3
	v_dual_mov_b32 v4, v8 :: v_dual_and_b32 v3, 0xffff, v4
	v_mul_u32_u24_e32 v2, 0x10001, v2
	v_mov_b32_e32 v5, v9
	v_mov_b32_e32 v7, v11
	v_cvt_f16_f32_e32 v0, v0
	v_mul_u32_u24_e32 v3, 0x10001, v3
	v_pk_mul_f16 v42, v42, v2
	v_pk_mul_f16 v43, v43, v2
	v_mov_b32_e32 v6, v10
	v_and_b32_e32 v0, 0xffff, v0
	v_pk_mul_f16 v41, v41, v3
	v_pk_mul_f16 v40, v40, v3
	s_delay_alu instid0(VALU_DEP_3) | instskip(NEXT) | instid1(VALU_DEP_1)
	v_mul_u32_u24_e32 v0, 0x10001, v0
	v_pk_mul_f16 v47, v47, v0
	v_pk_mul_f16 v49, v49, v0
	v_dual_mov_b32 v0, v12 :: v_dual_mov_b32 v1, v13
	v_dual_mov_b32 v2, v14 :: v_dual_mov_b32 v3, v15
	s_mov_b32 s2, exec_lo
	v_cmpx_gt_i32_e64 s22, v32
	s_cbranch_execnz .LBB56_132
.LBB56_130:
	s_nop 0
	s_sendmsg sendmsg(MSG_DEALLOC_VGPRS)
	s_endpgm
.LBB56_131:
	s_delay_alu instid0(VALU_DEP_2) | instskip(NEXT) | instid1(VALU_DEP_2)
	v_dual_mov_b32 v8, v4 :: v_dual_mov_b32 v9, v5
	v_dual_mov_b32 v10, v6 :: v_dual_mov_b32 v11, v7
	s_mov_b32 s2, exec_lo
	v_cmpx_gt_i32_e64 s22, v32
	s_cbranch_execz .LBB56_130
.LBB56_132:
	s_load_b32 s1, s[0:1], 0xd4
	v_mov_b32_e32 v14, 1.0
	s_wait_kmcnt 0x0
	s_cmp_lg_u32 s1, 1
	s_cselect_b32 s4, -1, 0
	s_cmp_eq_u32 s1, 1
	s_cselect_b32 s3, -1, 0
	s_wait_alu 0xfffe
	s_and_b32 vcc_lo, exec_lo, s4
	s_wait_alu 0xfffe
	s_cbranch_vccnz .LBB56_134
; %bb.133:
	v_div_scale_f32 v12, null, v8, v8, 1.0
	s_delay_alu instid0(VALU_DEP_1) | instskip(NEXT) | instid1(TRANS32_DEP_1)
	v_rcp_f32_e32 v13, v12
	v_fma_f32 v14, -v12, v13, 1.0
	s_delay_alu instid0(VALU_DEP_1) | instskip(SKIP_1) | instid1(VALU_DEP_1)
	v_fmac_f32_e32 v13, v14, v13
	v_div_scale_f32 v14, vcc_lo, 1.0, v8, 1.0
	v_mul_f32_e32 v15, v14, v13
	s_delay_alu instid0(VALU_DEP_1) | instskip(NEXT) | instid1(VALU_DEP_1)
	v_fma_f32 v16, -v12, v15, v14
	v_fmac_f32_e32 v15, v16, v13
	s_delay_alu instid0(VALU_DEP_1) | instskip(SKIP_1) | instid1(VALU_DEP_1)
	v_fma_f32 v12, -v12, v15, v14
	s_wait_alu 0xfffd
	v_div_fmas_f32 v12, v12, v13, v15
	s_delay_alu instid0(VALU_DEP_1)
	v_div_fixup_f32 v14, v12, v8, 1.0
.LBB56_134:
	s_mul_i32 s2, s36, s22
	v_cvt_f32_f16_e32 v17, v47
	s_wait_alu 0xfffe
	s_add_co_i32 s2, s2, s11
	v_cvt_f32_f16_e32 v18, v49
	s_wait_alu 0xfffe
	v_add_nc_u32_e32 v8, s2, v30
	v_mov_b32_e32 v16, 0
	v_cmp_eq_u32_e32 vcc_lo, 0, v33
	s_delay_alu instid0(VALU_DEP_3) | instskip(SKIP_1) | instid1(VALU_DEP_1)
	v_mad_co_u64_u32 v[12:13], null, v8, s23, s[34:35]
	v_lshrrev_b32_e32 v8, 16, v47
	v_cvt_f32_f16_e32 v8, v8
	s_delay_alu instid0(VALU_DEP_3) | instskip(SKIP_1) | instid1(VALU_DEP_1)
	v_mad_co_u64_u32 v[12:13], null, s1, v12, s[10:11]
	v_lshrrev_b32_e32 v13, 16, v49
	v_cvt_f32_f16_e32 v13, v13
	s_delay_alu instid0(VALU_DEP_3) | instskip(NEXT) | instid1(VALU_DEP_1)
	v_lshl_add_u32 v15, v12, 7, v29
	v_lshlrev_b64_e32 v[19:20], 2, v[15:16]
	v_mul_f32_e32 v15, v14, v17
	v_mul_f32_e32 v17, v14, v18
	;; [unrolled: 1-line block ×4, first 2 shown]
	v_add_co_u32 v13, s0, s16, v19
	s_wait_alu 0xf1ff
	v_add_co_ci_u32_e64 v14, null, s17, v20, s0
	s_and_b32 s0, vcc_lo, s4
	global_store_b128 v[13:14], v[15:18], off
	s_wait_alu 0xfffe
	s_and_saveexec_b32 s4, s0
	s_cbranch_execz .LBB56_136
; %bb.135:
	v_ashrrev_i32_e32 v13, 31, v12
	v_dual_mov_b32 v14, v0 :: v_dual_mov_b32 v15, v4
	s_delay_alu instid0(VALU_DEP_2) | instskip(NEXT) | instid1(VALU_DEP_1)
	v_lshlrev_b64_e32 v[12:13], 3, v[12:13]
	v_add_co_u32 v12, vcc_lo, s18, v12
	s_wait_alu 0xfffd
	s_delay_alu instid0(VALU_DEP_2)
	v_add_co_ci_u32_e64 v13, null, s19, v13, vcc_lo
	global_store_b64 v[12:13], v[14:15], off
.LBB56_136:
	s_wait_alu 0xfffe
	s_or_b32 exec_lo, exec_lo, s4
	v_cmp_gt_i32_e32 vcc_lo, s22, v31
	s_and_b32 exec_lo, exec_lo, vcc_lo
	s_cbranch_execz .LBB56_130
; %bb.137:
	v_cndmask_b32_e64 v12, 0, 1, s3
	v_mov_b32_e32 v0, 1.0
	s_and_not1_b32 vcc_lo, exec_lo, s3
	s_wait_alu 0xfffe
	s_cbranch_vccnz .LBB56_139
; %bb.138:
	v_div_scale_f32 v0, null, v9, v9, 1.0
	s_delay_alu instid0(VALU_DEP_1) | instskip(NEXT) | instid1(TRANS32_DEP_1)
	v_rcp_f32_e32 v4, v0
	v_fma_f32 v8, -v0, v4, 1.0
	s_delay_alu instid0(VALU_DEP_1) | instskip(SKIP_1) | instid1(VALU_DEP_1)
	v_fmac_f32_e32 v4, v8, v4
	v_div_scale_f32 v8, vcc_lo, 1.0, v9, 1.0
	v_mul_f32_e32 v13, v8, v4
	s_delay_alu instid0(VALU_DEP_1) | instskip(NEXT) | instid1(VALU_DEP_1)
	v_fma_f32 v14, -v0, v13, v8
	v_fmac_f32_e32 v13, v14, v4
	s_delay_alu instid0(VALU_DEP_1) | instskip(SKIP_1) | instid1(VALU_DEP_1)
	v_fma_f32 v0, -v0, v13, v8
	s_wait_alu 0xfffd
	v_div_fmas_f32 v0, v0, v4, v13
	s_delay_alu instid0(VALU_DEP_1)
	v_div_fixup_f32 v0, v0, v9, 1.0
.LBB56_139:
	v_cvt_f32_f16_e32 v16, v46
	v_add_nc_u32_e32 v4, s2, v27
	v_cvt_f32_f16_e32 v15, v45
	v_mov_b32_e32 v14, 0
	s_delay_alu instid0(VALU_DEP_3) | instskip(SKIP_1) | instid1(VALU_DEP_1)
	v_mad_co_u64_u32 v[8:9], null, v4, s23, s[34:35]
	v_lshrrev_b32_e32 v4, 16, v45
	v_cvt_f32_f16_e32 v4, v4
	s_delay_alu instid0(VALU_DEP_3) | instskip(SKIP_1) | instid1(VALU_DEP_1)
	v_mad_co_u64_u32 v[8:9], null, s1, v8, s[10:11]
	v_lshrrev_b32_e32 v9, 16, v46
	v_cvt_f32_f16_e32 v9, v9
	s_delay_alu instid0(VALU_DEP_3) | instskip(NEXT) | instid1(VALU_DEP_1)
	v_lshl_add_u32 v13, v8, 7, v29
	v_lshlrev_b64_e32 v[17:18], 2, v[13:14]
	v_mul_f32_e32 v13, v0, v15
	v_mul_f32_e32 v15, v0, v16
	;; [unrolled: 1-line block ×4, first 2 shown]
	v_add_co_u32 v17, vcc_lo, s16, v17
	s_wait_alu 0xfffd
	v_add_co_ci_u32_e64 v18, null, s17, v18, vcc_lo
	global_store_b128 v[17:18], v[13:16], off
	s_and_saveexec_b32 s3, s0
	s_cbranch_execz .LBB56_141
; %bb.140:
	v_ashrrev_i32_e32 v9, 31, v8
	v_mov_b32_e32 v4, v1
	s_delay_alu instid0(VALU_DEP_2) | instskip(NEXT) | instid1(VALU_DEP_1)
	v_lshlrev_b64_e32 v[8:9], 3, v[8:9]
	v_add_co_u32 v8, vcc_lo, s18, v8
	s_wait_alu 0xfffd
	s_delay_alu instid0(VALU_DEP_2)
	v_add_co_ci_u32_e64 v9, null, s19, v9, vcc_lo
	global_store_b64 v[8:9], v[4:5], off
.LBB56_141:
	s_wait_alu 0xfffe
	s_or_b32 exec_lo, exec_lo, s3
	v_cmp_gt_i32_e32 vcc_lo, s22, v28
	s_and_b32 exec_lo, exec_lo, vcc_lo
	s_cbranch_execz .LBB56_130
; %bb.142:
	v_cmp_ne_u32_e32 vcc_lo, 1, v12
	v_mov_b32_e32 v4, 1.0
	s_cbranch_vccnz .LBB56_144
; %bb.143:
	v_div_scale_f32 v0, null, v10, v10, 1.0
	s_delay_alu instid0(VALU_DEP_1) | instskip(NEXT) | instid1(TRANS32_DEP_1)
	v_rcp_f32_e32 v1, v0
	v_fma_f32 v4, -v0, v1, 1.0
	s_delay_alu instid0(VALU_DEP_1) | instskip(SKIP_1) | instid1(VALU_DEP_1)
	v_fmac_f32_e32 v1, v4, v1
	v_div_scale_f32 v4, vcc_lo, 1.0, v10, 1.0
	v_mul_f32_e32 v5, v4, v1
	s_delay_alu instid0(VALU_DEP_1) | instskip(NEXT) | instid1(VALU_DEP_1)
	v_fma_f32 v8, -v0, v5, v4
	v_fmac_f32_e32 v5, v8, v1
	s_delay_alu instid0(VALU_DEP_1) | instskip(SKIP_1) | instid1(VALU_DEP_1)
	v_fma_f32 v0, -v0, v5, v4
	s_wait_alu 0xfffd
	v_div_fmas_f32 v0, v0, v1, v5
	s_delay_alu instid0(VALU_DEP_1)
	v_div_fixup_f32 v4, v0, v10, 1.0
.LBB56_144:
	v_dual_mov_b32 v9, 0 :: v_dual_add_nc_u32 v0, s2, v26
	v_lshrrev_b32_e32 v5, 16, v43
	v_cvt_f32_f16_e32 v10, v42
	v_cvt_f32_f16_e32 v14, v43
	s_delay_alu instid0(VALU_DEP_4) | instskip(NEXT) | instid1(VALU_DEP_4)
	v_mad_co_u64_u32 v[0:1], null, v0, s23, s[34:35]
	v_cvt_f32_f16_e32 v5, v5
	s_delay_alu instid0(VALU_DEP_4) | instskip(NEXT) | instid1(VALU_DEP_4)
	v_mul_f32_e32 v13, v4, v10
	v_mul_f32_e32 v15, v4, v14
	s_delay_alu instid0(VALU_DEP_3) | instskip(SKIP_2) | instid1(VALU_DEP_1)
	v_mul_f32_e32 v16, v4, v5
	v_mad_co_u64_u32 v[0:1], null, s1, v0, s[10:11]
	v_lshrrev_b32_e32 v1, 16, v42
	v_cvt_f32_f16_e32 v1, v1
	s_delay_alu instid0(VALU_DEP_3) | instskip(NEXT) | instid1(VALU_DEP_2)
	v_lshl_add_u32 v8, v0, 7, v29
	v_mul_f32_e32 v14, v4, v1
	s_delay_alu instid0(VALU_DEP_2) | instskip(NEXT) | instid1(VALU_DEP_1)
	v_lshlrev_b64_e32 v[8:9], 2, v[8:9]
	v_add_co_u32 v4, vcc_lo, s16, v8
	s_wait_alu 0xfffd
	s_delay_alu instid0(VALU_DEP_2)
	v_add_co_ci_u32_e64 v5, null, s17, v9, vcc_lo
	global_store_b128 v[4:5], v[13:16], off
	s_and_saveexec_b32 s3, s0
	s_cbranch_execz .LBB56_146
; %bb.145:
	v_ashrrev_i32_e32 v1, 31, v0
	v_mov_b32_e32 v5, v2
	s_delay_alu instid0(VALU_DEP_2) | instskip(NEXT) | instid1(VALU_DEP_1)
	v_lshlrev_b64_e32 v[0:1], 3, v[0:1]
	v_add_co_u32 v0, vcc_lo, s18, v0
	s_wait_alu 0xfffd
	s_delay_alu instid0(VALU_DEP_2)
	v_add_co_ci_u32_e64 v1, null, s19, v1, vcc_lo
	global_store_b64 v[0:1], v[5:6], off
.LBB56_146:
	s_wait_alu 0xfffe
	s_or_b32 exec_lo, exec_lo, s3
	v_cmp_gt_i32_e32 vcc_lo, s22, v25
	s_and_b32 exec_lo, exec_lo, vcc_lo
	s_cbranch_execz .LBB56_130
; %bb.147:
	v_cmp_ne_u32_e32 vcc_lo, 1, v12
	v_mov_b32_e32 v2, 1.0
	s_cbranch_vccnz .LBB56_149
; %bb.148:
	v_div_scale_f32 v0, null, v11, v11, 1.0
	s_delay_alu instid0(VALU_DEP_1) | instskip(NEXT) | instid1(TRANS32_DEP_1)
	v_rcp_f32_e32 v1, v0
	v_fma_f32 v2, -v0, v1, 1.0
	s_delay_alu instid0(VALU_DEP_1) | instskip(SKIP_1) | instid1(VALU_DEP_1)
	v_fmac_f32_e32 v1, v2, v1
	v_div_scale_f32 v2, vcc_lo, 1.0, v11, 1.0
	v_mul_f32_e32 v4, v2, v1
	s_delay_alu instid0(VALU_DEP_1) | instskip(NEXT) | instid1(VALU_DEP_1)
	v_fma_f32 v5, -v0, v4, v2
	v_fmac_f32_e32 v4, v5, v1
	s_delay_alu instid0(VALU_DEP_1) | instskip(SKIP_1) | instid1(VALU_DEP_1)
	v_fma_f32 v0, -v0, v4, v2
	s_wait_alu 0xfffd
	v_div_fmas_f32 v0, v0, v1, v4
	s_delay_alu instid0(VALU_DEP_1)
	v_div_fixup_f32 v2, v0, v11, 1.0
.LBB56_149:
	v_dual_mov_b32 v5, 0 :: v_dual_add_nc_u32 v0, s2, v24
	v_lshrrev_b32_e32 v6, 16, v40
	v_cvt_f32_f16_e32 v9, v40
	v_cvt_f32_f16_e32 v8, v41
	s_delay_alu instid0(VALU_DEP_4) | instskip(NEXT) | instid1(VALU_DEP_4)
	v_mad_co_u64_u32 v[0:1], null, v0, s23, s[34:35]
	v_cvt_f32_f16_e32 v6, v6
	s_delay_alu instid0(VALU_DEP_4) | instskip(NEXT) | instid1(VALU_DEP_4)
	v_mul_f32_e32 v10, v2, v9
	v_mul_f32_e32 v8, v2, v8
	s_delay_alu instid0(VALU_DEP_3) | instskip(SKIP_2) | instid1(VALU_DEP_1)
	v_mul_f32_e32 v11, v2, v6
	v_mad_co_u64_u32 v[0:1], null, s1, v0, s[10:11]
	v_lshrrev_b32_e32 v1, 16, v41
	v_cvt_f32_f16_e32 v1, v1
	s_delay_alu instid0(VALU_DEP_3) | instskip(NEXT) | instid1(VALU_DEP_2)
	v_lshl_add_u32 v4, v0, 7, v29
	v_mul_f32_e32 v9, v2, v1
	s_delay_alu instid0(VALU_DEP_2) | instskip(NEXT) | instid1(VALU_DEP_1)
	v_lshlrev_b64_e32 v[4:5], 2, v[4:5]
	v_add_co_u32 v1, vcc_lo, s16, v4
	s_wait_alu 0xfffd
	s_delay_alu instid0(VALU_DEP_2)
	v_add_co_ci_u32_e64 v2, null, s17, v5, vcc_lo
	global_store_b128 v[1:2], v[8:11], off
	s_and_b32 exec_lo, exec_lo, s0
	s_cbranch_execz .LBB56_130
; %bb.150:
	v_ashrrev_i32_e32 v1, 31, v0
	v_mov_b32_e32 v6, v3
	s_delay_alu instid0(VALU_DEP_2) | instskip(NEXT) | instid1(VALU_DEP_1)
	v_lshlrev_b64_e32 v[0:1], 3, v[0:1]
	v_add_co_u32 v0, vcc_lo, s18, v0
	s_wait_alu 0xfffd
	s_delay_alu instid0(VALU_DEP_2)
	v_add_co_ci_u32_e64 v1, null, s19, v1, vcc_lo
	global_store_b64 v[0:1], v[6:7], off
	s_nop 0
	s_sendmsg sendmsg(MSG_DEALLOC_VGPRS)
	s_endpgm
	.section	.rodata,"a",@progbits
	.p2align	6, 0x0
	.amdhsa_kernel _ZL15flash_attn_tileILi128ELi128ELi32ELi1ELb0EEvPKcS1_S1_S1_S1_PKiPfP15HIP_vector_typeIfLj2EEffffjfiS5_IjLj3EEiiiiiiiiiiiliiliiiiil
		.amdhsa_group_segment_fixed_size 34816
		.amdhsa_private_segment_fixed_size 32
		.amdhsa_kernarg_size 464
		.amdhsa_user_sgpr_count 2
		.amdhsa_user_sgpr_dispatch_ptr 0
		.amdhsa_user_sgpr_queue_ptr 0
		.amdhsa_user_sgpr_kernarg_segment_ptr 1
		.amdhsa_user_sgpr_dispatch_id 0
		.amdhsa_user_sgpr_private_segment_size 0
		.amdhsa_wavefront_size32 1
		.amdhsa_uses_dynamic_stack 0
		.amdhsa_enable_private_segment 1
		.amdhsa_system_sgpr_workgroup_id_x 1
		.amdhsa_system_sgpr_workgroup_id_y 1
		.amdhsa_system_sgpr_workgroup_id_z 1
		.amdhsa_system_sgpr_workgroup_info 0
		.amdhsa_system_vgpr_workitem_id 1
		.amdhsa_next_free_vgpr 217
		.amdhsa_next_free_sgpr 48
		.amdhsa_reserve_vcc 1
		.amdhsa_float_round_mode_32 0
		.amdhsa_float_round_mode_16_64 0
		.amdhsa_float_denorm_mode_32 3
		.amdhsa_float_denorm_mode_16_64 3
		.amdhsa_fp16_overflow 0
		.amdhsa_workgroup_processor_mode 1
		.amdhsa_memory_ordered 1
		.amdhsa_forward_progress 1
		.amdhsa_inst_pref_size 255
		.amdhsa_round_robin_scheduling 0
		.amdhsa_exception_fp_ieee_invalid_op 0
		.amdhsa_exception_fp_denorm_src 0
		.amdhsa_exception_fp_ieee_div_zero 0
		.amdhsa_exception_fp_ieee_overflow 0
		.amdhsa_exception_fp_ieee_underflow 0
		.amdhsa_exception_fp_ieee_inexact 0
		.amdhsa_exception_int_div_zero 0
	.end_amdhsa_kernel
	.section	.text._ZL15flash_attn_tileILi128ELi128ELi32ELi1ELb0EEvPKcS1_S1_S1_S1_PKiPfP15HIP_vector_typeIfLj2EEffffjfiS5_IjLj3EEiiiiiiiiiiiliiliiiiil,"axG",@progbits,_ZL15flash_attn_tileILi128ELi128ELi32ELi1ELb0EEvPKcS1_S1_S1_S1_PKiPfP15HIP_vector_typeIfLj2EEffffjfiS5_IjLj3EEiiiiiiiiiiiliiliiiiil,comdat
.Lfunc_end56:
	.size	_ZL15flash_attn_tileILi128ELi128ELi32ELi1ELb0EEvPKcS1_S1_S1_S1_PKiPfP15HIP_vector_typeIfLj2EEffffjfiS5_IjLj3EEiiiiiiiiiiiliiliiiiil, .Lfunc_end56-_ZL15flash_attn_tileILi128ELi128ELi32ELi1ELb0EEvPKcS1_S1_S1_S1_PKiPfP15HIP_vector_typeIfLj2EEffffjfiS5_IjLj3EEiiiiiiiiiiiliiliiiiil
                                        ; -- End function
	.set _ZL15flash_attn_tileILi128ELi128ELi32ELi1ELb0EEvPKcS1_S1_S1_S1_PKiPfP15HIP_vector_typeIfLj2EEffffjfiS5_IjLj3EEiiiiiiiiiiiliiliiiiil.num_vgpr, 185
	.set _ZL15flash_attn_tileILi128ELi128ELi32ELi1ELb0EEvPKcS1_S1_S1_S1_PKiPfP15HIP_vector_typeIfLj2EEffffjfiS5_IjLj3EEiiiiiiiiiiiliiliiiiil.num_agpr, 0
	.set _ZL15flash_attn_tileILi128ELi128ELi32ELi1ELb0EEvPKcS1_S1_S1_S1_PKiPfP15HIP_vector_typeIfLj2EEffffjfiS5_IjLj3EEiiiiiiiiiiiliiliiiiil.numbered_sgpr, 48
	.set _ZL15flash_attn_tileILi128ELi128ELi32ELi1ELb0EEvPKcS1_S1_S1_S1_PKiPfP15HIP_vector_typeIfLj2EEffffjfiS5_IjLj3EEiiiiiiiiiiiliiliiiiil.num_named_barrier, 0
	.set _ZL15flash_attn_tileILi128ELi128ELi32ELi1ELb0EEvPKcS1_S1_S1_S1_PKiPfP15HIP_vector_typeIfLj2EEffffjfiS5_IjLj3EEiiiiiiiiiiiliiliiiiil.private_seg_size, 32
	.set _ZL15flash_attn_tileILi128ELi128ELi32ELi1ELb0EEvPKcS1_S1_S1_S1_PKiPfP15HIP_vector_typeIfLj2EEffffjfiS5_IjLj3EEiiiiiiiiiiiliiliiiiil.uses_vcc, 1
	.set _ZL15flash_attn_tileILi128ELi128ELi32ELi1ELb0EEvPKcS1_S1_S1_S1_PKiPfP15HIP_vector_typeIfLj2EEffffjfiS5_IjLj3EEiiiiiiiiiiiliiliiiiil.uses_flat_scratch, 1
	.set _ZL15flash_attn_tileILi128ELi128ELi32ELi1ELb0EEvPKcS1_S1_S1_S1_PKiPfP15HIP_vector_typeIfLj2EEffffjfiS5_IjLj3EEiiiiiiiiiiiliiliiiiil.has_dyn_sized_stack, 0
	.set _ZL15flash_attn_tileILi128ELi128ELi32ELi1ELb0EEvPKcS1_S1_S1_S1_PKiPfP15HIP_vector_typeIfLj2EEffffjfiS5_IjLj3EEiiiiiiiiiiiliiliiiiil.has_recursion, 0
	.set _ZL15flash_attn_tileILi128ELi128ELi32ELi1ELb0EEvPKcS1_S1_S1_S1_PKiPfP15HIP_vector_typeIfLj2EEffffjfiS5_IjLj3EEiiiiiiiiiiiliiliiiiil.has_indirect_call, 0
	.section	.AMDGPU.csdata,"",@progbits
; Kernel info:
; codeLenInByte = 59036
; TotalNumSgprs: 50
; NumVgprs: 185
; ScratchSize: 32
; MemoryBound: 0
; FloatMode: 240
; IeeeMode: 1
; LDSByteSize: 34816 bytes/workgroup (compile time only)
; SGPRBlocks: 0
; VGPRBlocks: 27
; NumSGPRsForWavesPerEU: 50
; NumVGPRsForWavesPerEU: 217
; Occupancy: 6
; WaveLimiterHint : 0
; COMPUTE_PGM_RSRC2:SCRATCH_EN: 1
; COMPUTE_PGM_RSRC2:USER_SGPR: 2
; COMPUTE_PGM_RSRC2:TRAP_HANDLER: 0
; COMPUTE_PGM_RSRC2:TGID_X_EN: 1
; COMPUTE_PGM_RSRC2:TGID_Y_EN: 1
; COMPUTE_PGM_RSRC2:TGID_Z_EN: 1
; COMPUTE_PGM_RSRC2:TIDIG_COMP_CNT: 1
	.section	.text._ZL33flash_attn_stream_k_fixup_uniformILi128ELi32ELi1EEvPfPK15HIP_vector_typeIfLj2EEiiiiiiS1_IjLj3EES5_S5_,"axG",@progbits,_ZL33flash_attn_stream_k_fixup_uniformILi128ELi32ELi1EEvPfPK15HIP_vector_typeIfLj2EEiiiiiiS1_IjLj3EES5_S5_,comdat
	.globl	_ZL33flash_attn_stream_k_fixup_uniformILi128ELi32ELi1EEvPfPK15HIP_vector_typeIfLj2EEiiiiiiS1_IjLj3EES5_S5_ ; -- Begin function _ZL33flash_attn_stream_k_fixup_uniformILi128ELi32ELi1EEvPfPK15HIP_vector_typeIfLj2EEiiiiiiS1_IjLj3EES5_S5_
	.p2align	8
	.type	_ZL33flash_attn_stream_k_fixup_uniformILi128ELi32ELi1EEvPfPK15HIP_vector_typeIfLj2EEiiiiiiS1_IjLj3EES5_S5_,@function
_ZL33flash_attn_stream_k_fixup_uniformILi128ELi32ELi1EEvPfPK15HIP_vector_typeIfLj2EEiiiiiiS1_IjLj3EES5_S5_: ; @_ZL33flash_attn_stream_k_fixup_uniformILi128ELi32ELi1EEvPfPK15HIP_vector_typeIfLj2EEiiiiiiS1_IjLj3EES5_S5_
; %bb.0:
	s_clause 0x1
	s_load_b256 s[4:11], s[0:1], 0x1c
	s_load_b128 s[12:15], s[0:1], 0x3c
	s_wait_kmcnt 0x0
	s_mul_hi_u32 s2, s7, ttmp9
	s_delay_alu instid0(SALU_CYCLE_1) | instskip(NEXT) | instid1(SALU_CYCLE_1)
	s_add_co_i32 s2, ttmp9, s2
	s_lshr_b32 s2, s2, s8
	s_delay_alu instid0(SALU_CYCLE_1) | instskip(SKIP_2) | instid1(SALU_CYCLE_1)
	s_mul_i32 s3, s2, s9
	s_load_b64 s[8:9], s[0:1], 0x10
	s_sub_co_i32 s7, ttmp9, s3
	s_mul_hi_u32 s3, s7, s10
	s_delay_alu instid0(SALU_CYCLE_1) | instskip(NEXT) | instid1(SALU_CYCLE_1)
	s_add_co_i32 s3, s7, s3
	s_lshr_b32 s3, s3, s11
	s_delay_alu instid0(SALU_CYCLE_1) | instskip(NEXT) | instid1(SALU_CYCLE_1)
	s_mul_i32 s10, s3, s12
	s_sub_co_i32 s7, s7, s10
	s_delay_alu instid0(SALU_CYCLE_1) | instskip(NEXT) | instid1(SALU_CYCLE_1)
	s_mul_hi_u32 s10, s7, s13
	s_add_co_i32 s10, s7, s10
	s_delay_alu instid0(SALU_CYCLE_1) | instskip(NEXT) | instid1(SALU_CYCLE_1)
	s_lshr_b32 s11, s10, s14
	s_mul_i32 s10, s11, s15
	s_delay_alu instid0(SALU_CYCLE_1) | instskip(SKIP_2) | instid1(SALU_CYCLE_1)
	s_sub_co_i32 s12, s7, s10
	s_and_b32 s7, ttmp7, 0xffff
	s_lshl_b32 s10, s12, 5
	s_add_co_i32 s13, s10, s7
	s_lshr_b32 s10, ttmp7, 16
	s_wait_kmcnt 0x0
	s_cmp_lt_i32 s13, s8
	s_cselect_b32 s13, -1, 0
	s_add_co_i32 s14, s11, s10
	s_delay_alu instid0(SALU_CYCLE_1) | instskip(SKIP_1) | instid1(SALU_CYCLE_1)
	s_cmp_lt_i32 s14, s5
	s_cselect_b32 s14, -1, 0
	s_and_b32 s13, s13, s14
	s_delay_alu instid0(SALU_CYCLE_1)
	s_and_not1_b32 vcc_lo, exec_lo, s13
	s_cbranch_vccnz .LBB57_6
; %bb.1:
	s_mul_i32 s2, s2, s8
	s_mul_i32 s5, s3, s5
	s_add_co_i32 s2, s2, s7
	s_delay_alu instid0(SALU_CYCLE_1) | instskip(NEXT) | instid1(SALU_CYCLE_1)
	s_mul_i32 s2, s2, s9
	s_add_co_i32 s8, s2, s10
	s_load_b128 s[0:3], s[0:1], 0x0
	s_add_co_i32 s5, s8, s5
	s_mul_i32 s8, s9, s12
	s_add_co_i32 s5, s5, s11
	s_lshl_b32 s8, s8, 12
	s_lshl_b32 s5, s5, 7
	s_add_co_i32 s9, s7, s10
	s_add_co_i32 s8, s8, s5
	s_delay_alu instid0(SALU_CYCLE_1) | instskip(SKIP_3) | instid1(SALU_CYCLE_1)
	v_or_b32_e32 v1, s8, v0
	s_mul_i32 s8, s6, ttmp9
	s_wait_alu 0xfffe
	s_add_co_i32 s5, s8, s6
	s_add_co_i32 s7, s5, -2
	v_ashrrev_i32_e32 v2, 31, v1
	s_delay_alu instid0(VALU_DEP_1) | instskip(SKIP_1) | instid1(VALU_DEP_1)
	v_lshlrev_b64_e32 v[1:2], 2, v[1:2]
	s_wait_kmcnt 0x0
	v_add_co_u32 v1, vcc_lo, s0, v1
	s_delay_alu instid0(VALU_DEP_1)
	v_add_co_ci_u32_e64 v2, null, s1, v2, vcc_lo
	s_lshl_b32 s0, s5, 5
	s_wait_alu 0xfffe
	s_add_co_i32 s0, s9, s0
	global_load_b32 v5, v[1:2], off
	s_wait_alu 0xfffe
	s_sub_co_i32 s0, s0, 32
	s_wait_alu 0xfffe
	s_ashr_i32 s1, s0, 31
	s_wait_alu 0xfffe
	s_lshl_b64 s[0:1], s[0:1], 3
	s_cmp_lt_i32 s7, s8
	s_wait_alu 0xfffe
	s_add_nc_u64 s[0:1], s[2:3], s[0:1]
	s_load_b32 s10, s[0:1], 0x4
	s_cbranch_scc1 .LBB57_4
; %bb.2:
	s_load_b32 s0, s[0:1], 0x0
	s_add_co_i32 s7, ttmp9, 1
	s_wait_kmcnt 0x0
	v_mov_b32_e32 v6, s10
	s_mul_i32 s1, s6, s7
	s_lshl_b32 s7, s9, 7
	s_wait_alu 0xfffe
	s_lshl_b32 s11, s1, 12
	s_lshl_b32 s6, s4, 7
	s_wait_alu 0xfffe
	s_add_co_i32 s11, s7, s11
	s_lshl_b32 s1, s1, 5
	s_wait_alu 0xfffe
	v_or_b32_e32 v0, s11, v0
	s_ashr_i32 s7, s6, 31
	s_add_co_i32 s1, s9, s1
	s_lshl_b32 s4, s4, 5
	s_lshl_b64 s[6:7], s[6:7], 2
	v_add_nc_u32_e32 v3, 0xffffe000, v0
	s_wait_alu 0xfffe
	s_add_co_i32 s4, s1, s4
	s_add_nc_u64 s[6:7], s[2:3], s[6:7]
	s_add_co_i32 s1, s5, -1
	s_sub_co_i32 s4, s4, 64
.LBB57_3:                               ; =>This Inner Loop Header: Depth=1
	v_ashrrev_i32_e32 v4, 31, v3
	s_ashr_i32 s5, s4, 31
	v_mov_b32_e32 v10, v6
	s_lshl_b64 s[10:11], s[4:5], 3
	s_wait_loadcnt 0x0
	v_mov_b32_e32 v9, v5
	v_lshlrev_b64_e32 v[7:8], 2, v[3:4]
	s_wait_alu 0xfffe
	s_add_nc_u64 s[10:11], s[2:3], s[10:11]
	v_max_num_f32_e64 v4, s0, s0
	s_load_b64 s[10:11], s[10:11], 0x0
	v_add_nc_u32_e32 v3, 0xfffff000, v3
	v_add_co_u32 v7, vcc_lo, s6, v7
	s_wait_alu 0xfffd
	v_add_co_ci_u32_e64 v8, null, s7, v8, vcc_lo
	v_readfirstlane_b32 s5, v4
	global_load_b32 v0, v[7:8], off
	s_wait_kmcnt 0x0
	v_max_num_f32_e64 v4, s10, s10
	s_delay_alu instid0(VALU_DEP_1) | instskip(SKIP_1) | instid1(SALU_CYCLE_3)
	v_readfirstlane_b32 s9, v4
	s_max_num_f32 s5, s5, s9
	s_sub_f32 s0, s0, s5
	s_sub_f32 s9, s10, s5
	s_wait_alu 0xfffe
	s_delay_alu instid0(SALU_CYCLE_1) | instskip(NEXT) | instid1(SALU_CYCLE_1)
	s_mul_f32 s10, s0, 0x3fb8aa3b
	s_mul_f32 s12, s9, 0x3fb8aa3b
	s_wait_alu 0xfffe
	s_delay_alu instid0(SALU_CYCLE_1)
	s_xor_b32 s13, s10, 0x80000000
	s_rndne_f32 s14, s10
	s_fmamk_f32 s13, s0, 0x3fb8aa3b, s13
	s_cmp_nlt_f32 s0, 0xc2ce8ed0
	s_rndne_f32 s15, s12
	s_wait_alu 0xfffe
	s_sub_f32 s10, s10, s14
	s_fmamk_f32 s13, s0, 0x32a5705f, s13
	s_cvt_i32_f32 s14, s14
	s_cselect_b32 vcc_lo, -1, 0
	s_cmp_ngt_f32 s0, 0x42b17218
	s_wait_alu 0xfffe
	s_add_f32 s10, s10, s13
	s_sub_f32 s13, s12, s15
	s_wait_alu 0xfffe
	s_delay_alu instid0(SALU_CYCLE_1) | instskip(SKIP_1) | instid1(TRANS32_DEP_1)
	v_s_exp_f32 s10, s10
	s_wait_alu 0xf1ff
	v_ldexp_f32 v4, s10, s14
	s_cvt_i32_f32 s10, s15
	s_delay_alu instid0(VALU_DEP_1) | instskip(SKIP_3) | instid1(VALU_DEP_1)
	v_cndmask_b32_e32 v4, 0, v4, vcc_lo
	s_cselect_b32 vcc_lo, -1, 0
	s_cmp_ge_f32 s0, 0xc1a00000
	s_wait_alu 0xfffe
	v_cndmask_b32_e32 v4, 0x7f800000, v4, vcc_lo
	s_cselect_b32 vcc_lo, -1, 0
	s_xor_b32 s0, s12, 0x80000000
	s_cmp_nlt_f32 s9, 0xc2ce8ed0
	s_wait_alu 0xfffe
	s_fmamk_f32 s0, s9, 0x3fb8aa3b, s0
	s_wait_alu 0xfffe
	s_delay_alu instid0(SALU_CYCLE_2) | instskip(SKIP_1) | instid1(SALU_CYCLE_2)
	s_fmamk_f32 s0, s9, 0x32a5705f, s0
	s_wait_alu 0xfffe
	s_add_f32 s0, s13, s0
	s_wait_alu 0xfffe
	s_delay_alu instid0(SALU_CYCLE_2) | instskip(SKIP_1) | instid1(TRANS32_DEP_1)
	v_s_exp_f32 s0, s0
	s_wait_alu 0xf1ff
	v_ldexp_f32 v7, s0, s10
	s_cselect_b32 s0, -1, 0
	s_cmp_ngt_f32 s9, 0x42b17218
	s_wait_alu 0xfffe
	s_delay_alu instid0(VALU_DEP_1) | instskip(SKIP_3) | instid1(VALU_DEP_1)
	v_cndmask_b32_e64 v7, 0, v7, s0
	s_cselect_b32 s0, -1, 0
	s_cmp_ge_f32 s9, 0xc1a00000
	s_wait_alu 0xfffe
	v_cndmask_b32_e64 v7, 0x7f800000, v7, s0
	s_cselect_b32 s0, -1, 0
	s_add_co_i32 s1, s1, -1
	s_sub_co_i32 s4, s4, 32
	s_wait_alu 0xfffe
	s_cmp_le_i32 s1, s8
	v_cndmask_b32_e64 v7, 0, v7, s0
	s_mov_b32 s0, s5
	s_wait_loadcnt 0x0
	s_delay_alu instid0(VALU_DEP_1) | instskip(NEXT) | instid1(VALU_DEP_1)
	v_dual_mul_f32 v5, v0, v7 :: v_dual_cndmask_b32 v4, 0, v4
	v_dual_mul_f32 v8, s11, v7 :: v_dual_fmac_f32 v5, v9, v4
	s_delay_alu instid0(VALU_DEP_1) | instskip(NEXT) | instid1(VALU_DEP_1)
	v_mov_b32_e32 v6, v8
	v_fmac_f32_e32 v6, v10, v4
	s_cbranch_scc0 .LBB57_3
	s_branch .LBB57_5
.LBB57_4:
	s_wait_kmcnt 0x0
	v_mov_b32_e32 v6, s10
.LBB57_5:
	s_wait_loadcnt 0x0
	s_delay_alu instid0(VALU_DEP_1) | instskip(NEXT) | instid1(VALU_DEP_1)
	v_div_scale_f32 v0, null, v6, v6, v5
	v_rcp_f32_e32 v3, v0
	s_delay_alu instid0(TRANS32_DEP_1) | instskip(NEXT) | instid1(VALU_DEP_1)
	v_fma_f32 v4, -v0, v3, 1.0
	v_fmac_f32_e32 v3, v4, v3
	v_div_scale_f32 v4, vcc_lo, v5, v6, v5
	s_delay_alu instid0(VALU_DEP_1) | instskip(NEXT) | instid1(VALU_DEP_1)
	v_mul_f32_e32 v7, v4, v3
	v_fma_f32 v8, -v0, v7, v4
	s_delay_alu instid0(VALU_DEP_1) | instskip(NEXT) | instid1(VALU_DEP_1)
	v_fmac_f32_e32 v7, v8, v3
	v_fma_f32 v0, -v0, v7, v4
	s_wait_alu 0xfffd
	s_delay_alu instid0(VALU_DEP_1) | instskip(NEXT) | instid1(VALU_DEP_1)
	v_div_fmas_f32 v0, v0, v3, v7
	v_div_fixup_f32 v0, v0, v6, v5
	global_store_b32 v[1:2], v0, off
.LBB57_6:
	s_endpgm
	.section	.rodata,"a",@progbits
	.p2align	6, 0x0
	.amdhsa_kernel _ZL33flash_attn_stream_k_fixup_uniformILi128ELi32ELi1EEvPfPK15HIP_vector_typeIfLj2EEiiiiiiS1_IjLj3EES5_S5_
		.amdhsa_group_segment_fixed_size 0
		.amdhsa_private_segment_fixed_size 0
		.amdhsa_kernarg_size 76
		.amdhsa_user_sgpr_count 2
		.amdhsa_user_sgpr_dispatch_ptr 0
		.amdhsa_user_sgpr_queue_ptr 0
		.amdhsa_user_sgpr_kernarg_segment_ptr 1
		.amdhsa_user_sgpr_dispatch_id 0
		.amdhsa_user_sgpr_private_segment_size 0
		.amdhsa_wavefront_size32 1
		.amdhsa_uses_dynamic_stack 0
		.amdhsa_enable_private_segment 0
		.amdhsa_system_sgpr_workgroup_id_x 1
		.amdhsa_system_sgpr_workgroup_id_y 1
		.amdhsa_system_sgpr_workgroup_id_z 1
		.amdhsa_system_sgpr_workgroup_info 0
		.amdhsa_system_vgpr_workitem_id 0
		.amdhsa_next_free_vgpr 11
		.amdhsa_next_free_sgpr 16
		.amdhsa_reserve_vcc 1
		.amdhsa_float_round_mode_32 0
		.amdhsa_float_round_mode_16_64 0
		.amdhsa_float_denorm_mode_32 3
		.amdhsa_float_denorm_mode_16_64 3
		.amdhsa_fp16_overflow 0
		.amdhsa_workgroup_processor_mode 1
		.amdhsa_memory_ordered 1
		.amdhsa_forward_progress 1
		.amdhsa_inst_pref_size 9
		.amdhsa_round_robin_scheduling 0
		.amdhsa_exception_fp_ieee_invalid_op 0
		.amdhsa_exception_fp_denorm_src 0
		.amdhsa_exception_fp_ieee_div_zero 0
		.amdhsa_exception_fp_ieee_overflow 0
		.amdhsa_exception_fp_ieee_underflow 0
		.amdhsa_exception_fp_ieee_inexact 0
		.amdhsa_exception_int_div_zero 0
	.end_amdhsa_kernel
	.section	.text._ZL33flash_attn_stream_k_fixup_uniformILi128ELi32ELi1EEvPfPK15HIP_vector_typeIfLj2EEiiiiiiS1_IjLj3EES5_S5_,"axG",@progbits,_ZL33flash_attn_stream_k_fixup_uniformILi128ELi32ELi1EEvPfPK15HIP_vector_typeIfLj2EEiiiiiiS1_IjLj3EES5_S5_,comdat
.Lfunc_end57:
	.size	_ZL33flash_attn_stream_k_fixup_uniformILi128ELi32ELi1EEvPfPK15HIP_vector_typeIfLj2EEiiiiiiS1_IjLj3EES5_S5_, .Lfunc_end57-_ZL33flash_attn_stream_k_fixup_uniformILi128ELi32ELi1EEvPfPK15HIP_vector_typeIfLj2EEiiiiiiS1_IjLj3EES5_S5_
                                        ; -- End function
	.set _ZL33flash_attn_stream_k_fixup_uniformILi128ELi32ELi1EEvPfPK15HIP_vector_typeIfLj2EEiiiiiiS1_IjLj3EES5_S5_.num_vgpr, 11
	.set _ZL33flash_attn_stream_k_fixup_uniformILi128ELi32ELi1EEvPfPK15HIP_vector_typeIfLj2EEiiiiiiS1_IjLj3EES5_S5_.num_agpr, 0
	.set _ZL33flash_attn_stream_k_fixup_uniformILi128ELi32ELi1EEvPfPK15HIP_vector_typeIfLj2EEiiiiiiS1_IjLj3EES5_S5_.numbered_sgpr, 16
	.set _ZL33flash_attn_stream_k_fixup_uniformILi128ELi32ELi1EEvPfPK15HIP_vector_typeIfLj2EEiiiiiiS1_IjLj3EES5_S5_.num_named_barrier, 0
	.set _ZL33flash_attn_stream_k_fixup_uniformILi128ELi32ELi1EEvPfPK15HIP_vector_typeIfLj2EEiiiiiiS1_IjLj3EES5_S5_.private_seg_size, 0
	.set _ZL33flash_attn_stream_k_fixup_uniformILi128ELi32ELi1EEvPfPK15HIP_vector_typeIfLj2EEiiiiiiS1_IjLj3EES5_S5_.uses_vcc, 1
	.set _ZL33flash_attn_stream_k_fixup_uniformILi128ELi32ELi1EEvPfPK15HIP_vector_typeIfLj2EEiiiiiiS1_IjLj3EES5_S5_.uses_flat_scratch, 0
	.set _ZL33flash_attn_stream_k_fixup_uniformILi128ELi32ELi1EEvPfPK15HIP_vector_typeIfLj2EEiiiiiiS1_IjLj3EES5_S5_.has_dyn_sized_stack, 0
	.set _ZL33flash_attn_stream_k_fixup_uniformILi128ELi32ELi1EEvPfPK15HIP_vector_typeIfLj2EEiiiiiiS1_IjLj3EES5_S5_.has_recursion, 0
	.set _ZL33flash_attn_stream_k_fixup_uniformILi128ELi32ELi1EEvPfPK15HIP_vector_typeIfLj2EEiiiiiiS1_IjLj3EES5_S5_.has_indirect_call, 0
	.section	.AMDGPU.csdata,"",@progbits
; Kernel info:
; codeLenInByte = 1120
; TotalNumSgprs: 18
; NumVgprs: 11
; ScratchSize: 0
; MemoryBound: 0
; FloatMode: 240
; IeeeMode: 1
; LDSByteSize: 0 bytes/workgroup (compile time only)
; SGPRBlocks: 0
; VGPRBlocks: 1
; NumSGPRsForWavesPerEU: 18
; NumVGPRsForWavesPerEU: 11
; Occupancy: 16
; WaveLimiterHint : 0
; COMPUTE_PGM_RSRC2:SCRATCH_EN: 0
; COMPUTE_PGM_RSRC2:USER_SGPR: 2
; COMPUTE_PGM_RSRC2:TRAP_HANDLER: 0
; COMPUTE_PGM_RSRC2:TGID_X_EN: 1
; COMPUTE_PGM_RSRC2:TGID_Y_EN: 1
; COMPUTE_PGM_RSRC2:TGID_Z_EN: 1
; COMPUTE_PGM_RSRC2:TIDIG_COMP_CNT: 0
	.section	.text._ZL33flash_attn_stream_k_fixup_generalILi128ELi32ELi1EEvPfPK15HIP_vector_typeIfLj2EEiiiiS1_IjLj3EES5_S5_S5_,"axG",@progbits,_ZL33flash_attn_stream_k_fixup_generalILi128ELi32ELi1EEvPfPK15HIP_vector_typeIfLj2EEiiiiS1_IjLj3EES5_S5_S5_,comdat
	.globl	_ZL33flash_attn_stream_k_fixup_generalILi128ELi32ELi1EEvPfPK15HIP_vector_typeIfLj2EEiiiiS1_IjLj3EES5_S5_S5_ ; -- Begin function _ZL33flash_attn_stream_k_fixup_generalILi128ELi32ELi1EEvPfPK15HIP_vector_typeIfLj2EEiiiiS1_IjLj3EES5_S5_S5_
	.p2align	8
	.type	_ZL33flash_attn_stream_k_fixup_generalILi128ELi32ELi1EEvPfPK15HIP_vector_typeIfLj2EEiiiiS1_IjLj3EES5_S5_S5_,@function
_ZL33flash_attn_stream_k_fixup_generalILi128ELi32ELi1EEvPfPK15HIP_vector_typeIfLj2EEiiiiS1_IjLj3EES5_S5_S5_: ; @_ZL33flash_attn_stream_k_fixup_generalILi128ELi32ELi1EEvPfPK15HIP_vector_typeIfLj2EEiiiiS1_IjLj3EES5_S5_S5_
; %bb.0:
	s_clause 0x1
	s_load_b128 s[4:7], s[0:1], 0x10
	s_load_b32 s16, s[0:1], 0x50
	s_mov_b32 s2, ttmp9
	s_ashr_i32 s3, ttmp9, 31
	s_mov_b32 s17, 0
	s_delay_alu instid0(SALU_CYCLE_1) | instskip(SKIP_3) | instid1(SALU_CYCLE_1)
	s_mov_b32 s8, s17
	s_wait_kmcnt 0x0
	s_ashr_i32 s19, s7, 31
	s_mov_b32 s18, s7
	s_mul_u64 s[2:3], s[18:19], s[2:3]
	s_delay_alu instid0(SALU_CYCLE_1) | instskip(NEXT) | instid1(SALU_CYCLE_1)
	s_mov_b32 s9, s3
	s_cmp_lg_u64 s[8:9], 0
	s_cbranch_scc0 .LBB58_21
; %bb.1:
	s_add_nc_u64 s[8:9], s[16:17], 0
	s_mov_b32 s15, s17
	s_xor_b64 s[8:9], s[8:9], 0
	s_mov_b32 s23, s17
	s_cvt_f32_u32 s7, s8
	s_cvt_f32_u32 s10, s9
	s_sub_nc_u64 s[12:13], 0, s[8:9]
	s_delay_alu instid0(SALU_CYCLE_2) | instskip(NEXT) | instid1(SALU_CYCLE_3)
	s_fmamk_f32 s7, s10, 0x4f800000, s7
	v_s_rcp_f32 s7, s7
	s_delay_alu instid0(TRANS32_DEP_1) | instskip(SKIP_1) | instid1(SALU_CYCLE_2)
	s_mul_f32 s7, s7, 0x5f7ffffc
	s_wait_alu 0xfffe
	s_mul_f32 s10, s7, 0x2f800000
	s_delay_alu instid0(SALU_CYCLE_3) | instskip(NEXT) | instid1(SALU_CYCLE_3)
	s_trunc_f32 s10, s10
	s_fmamk_f32 s7, s10, 0xcf800000, s7
	s_cvt_u32_f32 s11, s10
	s_wait_alu 0xfffe
	s_delay_alu instid0(SALU_CYCLE_1) | instskip(NEXT) | instid1(SALU_CYCLE_3)
	s_cvt_u32_f32 s10, s7
	s_mul_u64 s[20:21], s[12:13], s[10:11]
	s_delay_alu instid0(SALU_CYCLE_1)
	s_mul_hi_u32 s25, s10, s21
	s_mul_i32 s24, s10, s21
	s_mul_hi_u32 s14, s10, s20
	s_mul_i32 s22, s11, s20
	s_add_nc_u64 s[14:15], s[14:15], s[24:25]
	s_mul_hi_u32 s7, s11, s20
	s_mul_hi_u32 s26, s11, s21
	s_add_co_u32 s14, s14, s22
	s_wait_alu 0xfffe
	s_add_co_ci_u32 s22, s15, s7
	s_mul_i32 s20, s11, s21
	s_add_co_ci_u32 s21, s26, 0
	s_delay_alu instid0(SALU_CYCLE_1)
	s_add_nc_u64 s[14:15], s[22:23], s[20:21]
	s_mov_b32 s21, s17
	s_add_co_u32 s10, s10, s14
	s_cselect_b32 s7, -1, 0
	s_wait_alu 0xfffe
	s_cmp_lg_u32 s7, 0
	s_add_co_ci_u32 s11, s11, s15
	s_mov_b32 s15, s17
	s_mul_u64 s[12:13], s[12:13], s[10:11]
	s_delay_alu instid0(SALU_CYCLE_1)
	s_mul_hi_u32 s23, s10, s13
	s_mul_i32 s22, s10, s13
	s_mul_hi_u32 s14, s10, s12
	s_mul_i32 s20, s11, s12
	s_add_nc_u64 s[14:15], s[14:15], s[22:23]
	s_mul_hi_u32 s7, s11, s12
	s_mul_hi_u32 s24, s11, s13
	s_mul_i32 s12, s11, s13
	s_add_co_u32 s13, s14, s20
	s_wait_alu 0xfffe
	s_add_co_ci_u32 s20, s15, s7
	s_add_co_ci_u32 s13, s24, 0
	s_mov_b32 s15, s17
	s_add_nc_u64 s[12:13], s[20:21], s[12:13]
	s_delay_alu instid0(SALU_CYCLE_1) | instskip(SKIP_1) | instid1(SALU_CYCLE_1)
	s_add_co_u32 s7, s10, s12
	s_cselect_b32 s10, -1, 0
	s_cmp_lg_u32 s10, 0
	s_add_co_ci_u32 s20, s11, s13
	s_ashr_i32 s10, s3, 31
	s_delay_alu instid0(SALU_CYCLE_1) | instskip(NEXT) | instid1(SALU_CYCLE_1)
	s_mov_b32 s11, s10
	s_add_nc_u64 s[12:13], s[2:3], s[10:11]
	s_delay_alu instid0(SALU_CYCLE_1) | instskip(NEXT) | instid1(SALU_CYCLE_1)
	s_xor_b64 s[12:13], s[12:13], s[10:11]
	s_mul_hi_u32 s23, s12, s20
	s_mul_i32 s22, s12, s20
	s_wait_alu 0xfffe
	s_mul_hi_u32 s14, s12, s7
	s_mul_hi_u32 s24, s13, s7
	s_mul_i32 s7, s13, s7
	s_add_nc_u64 s[14:15], s[14:15], s[22:23]
	s_mul_hi_u32 s3, s13, s20
	s_wait_alu 0xfffe
	s_add_co_u32 s7, s14, s7
	s_mul_i32 s22, s13, s20
	s_add_co_ci_u32 s20, s15, s24
	s_add_co_ci_u32 s23, s3, 0
	s_delay_alu instid0(SALU_CYCLE_1) | instskip(NEXT) | instid1(SALU_CYCLE_1)
	s_add_nc_u64 s[14:15], s[20:21], s[22:23]
	s_mul_u64 s[20:21], s[8:9], s[14:15]
	s_delay_alu instid0(SALU_CYCLE_1)
	s_sub_co_u32 s3, s12, s20
	s_cselect_b32 s7, -1, 0
	s_sub_co_i32 s12, s13, s21
	s_wait_alu 0xfffe
	s_cmp_lg_u32 s7, 0
	s_sub_co_ci_u32 s12, s12, s9
	s_sub_co_u32 s20, s3, s8
	s_cselect_b32 s22, -1, 0
	s_delay_alu instid0(SALU_CYCLE_1) | instskip(SKIP_2) | instid1(SALU_CYCLE_1)
	s_cmp_lg_u32 s22, 0
	s_add_nc_u64 s[22:23], s[14:15], 1
	s_sub_co_ci_u32 s12, s12, 0
	s_cmp_ge_u32 s12, s9
	s_cselect_b32 s24, -1, 0
	s_cmp_ge_u32 s20, s8
	s_cselect_b32 s20, -1, 0
	s_cmp_eq_u32 s12, s9
	s_cselect_b32 s12, s20, s24
	s_add_nc_u64 s[24:25], s[14:15], 2
	s_cmp_lg_u32 s12, 0
	s_cselect_b32 s12, s24, s22
	s_cselect_b32 s20, s25, s23
	s_cmp_lg_u32 s7, 0
	s_sub_co_ci_u32 s7, s13, s21
	s_wait_alu 0xfffe
	s_cmp_ge_u32 s7, s9
	s_cselect_b32 s13, -1, 0
	s_cmp_ge_u32 s3, s8
	s_cselect_b32 s3, -1, 0
	s_cmp_eq_u32 s7, s9
	s_cselect_b32 s3, s3, s13
	s_delay_alu instid0(SALU_CYCLE_1) | instskip(SKIP_4) | instid1(SALU_CYCLE_1)
	s_cmp_lg_u32 s3, 0
	s_mov_b32 s3, s17
	s_cselect_b32 s9, s20, s15
	s_cselect_b32 s8, s12, s14
	s_xor_b64 s[10:11], s[10:11], 0
	s_xor_b64 s[8:9], s[8:9], s[10:11]
	s_delay_alu instid0(SALU_CYCLE_1)
	s_sub_nc_u64 s[20:21], s[8:9], s[10:11]
	s_and_not1_b32 vcc_lo, exec_lo, s3
	s_cbranch_vccnz .LBB58_3
.LBB58_2:
	v_cvt_f32_u32_e32 v1, s16
	s_sub_co_i32 s7, 0, s16
	s_delay_alu instid0(VALU_DEP_1) | instskip(NEXT) | instid1(TRANS32_DEP_1)
	v_rcp_iflag_f32_e32 v1, v1
	v_mul_f32_e32 v1, 0x4f7ffffe, v1
	s_delay_alu instid0(VALU_DEP_1) | instskip(NEXT) | instid1(VALU_DEP_1)
	v_cvt_u32_f32_e32 v1, v1
	v_readfirstlane_b32 s3, v1
	s_wait_alu 0xfffe
	s_mul_i32 s7, s7, s3
	s_wait_alu 0xfffe
	s_mul_hi_u32 s7, s3, s7
	s_wait_alu 0xfffe
	s_add_co_i32 s3, s3, s7
	s_delay_alu instid0(SALU_CYCLE_1) | instskip(NEXT) | instid1(SALU_CYCLE_1)
	s_mul_hi_u32 s3, s2, s3
	s_mul_i32 s7, s3, s16
	s_wait_alu 0xfffe
	s_sub_co_i32 s2, s2, s7
	s_add_co_i32 s7, s3, 1
	s_sub_co_i32 s8, s2, s16
	s_cmp_ge_u32 s2, s16
	s_wait_alu 0xfffe
	s_cselect_b32 s3, s7, s3
	s_cselect_b32 s2, s8, s2
	s_add_co_i32 s7, s3, 1
	s_cmp_ge_u32 s2, s16
	s_wait_alu 0xfffe
	s_cselect_b32 s20, s7, s3
.LBB58_3:
	s_add_co_i32 s2, ttmp9, 1
	s_mov_b32 s8, 0
	s_ashr_i32 s3, s2, 31
	s_delay_alu instid0(SALU_CYCLE_1) | instskip(NEXT) | instid1(SALU_CYCLE_1)
	s_mul_u64 s[2:3], s[18:19], s[2:3]
	s_mov_b32 s9, s3
	s_delay_alu instid0(SALU_CYCLE_1)
	s_cmp_lg_u64 s[8:9], 0
	s_cbranch_scc0 .LBB58_22
; %bb.4:
	s_add_nc_u64 s[10:11], s[16:17], 0
	s_mov_b32 s23, s8
	s_xor_b64 s[10:11], s[10:11], 0
	s_mov_b32 s27, s8
	s_cvt_f32_u32 s7, s10
	s_cvt_f32_u32 s9, s11
	s_sub_nc_u64 s[14:15], 0, s[10:11]
	s_wait_alu 0xfffe
	s_delay_alu instid0(SALU_CYCLE_1) | instskip(SKIP_1) | instid1(SALU_CYCLE_2)
	s_fmamk_f32 s7, s9, 0x4f800000, s7
	s_wait_alu 0xfffe
	v_s_rcp_f32 s7, s7
	s_delay_alu instid0(TRANS32_DEP_1) | instskip(SKIP_1) | instid1(SALU_CYCLE_2)
	s_mul_f32 s7, s7, 0x5f7ffffc
	s_wait_alu 0xfffe
	s_mul_f32 s9, s7, 0x2f800000
	s_delay_alu instid0(SALU_CYCLE_3) | instskip(NEXT) | instid1(SALU_CYCLE_3)
	s_trunc_f32 s9, s9
	s_fmamk_f32 s7, s9, 0xcf800000, s7
	s_cvt_u32_f32 s13, s9
	s_wait_alu 0xfffe
	s_delay_alu instid0(SALU_CYCLE_1) | instskip(NEXT) | instid1(SALU_CYCLE_3)
	s_cvt_u32_f32 s12, s7
	s_mul_u64 s[24:25], s[14:15], s[12:13]
	s_delay_alu instid0(SALU_CYCLE_1)
	s_mul_hi_u32 s29, s12, s25
	s_mul_i32 s28, s12, s25
	s_mul_hi_u32 s22, s12, s24
	s_mul_i32 s9, s13, s24
	s_add_nc_u64 s[22:23], s[22:23], s[28:29]
	s_mul_hi_u32 s7, s13, s24
	s_mul_hi_u32 s21, s13, s25
	s_add_co_u32 s9, s22, s9
	s_wait_alu 0xfffe
	s_add_co_ci_u32 s26, s23, s7
	s_mul_i32 s24, s13, s25
	s_add_co_ci_u32 s25, s21, 0
	s_delay_alu instid0(SALU_CYCLE_1)
	s_add_nc_u64 s[22:23], s[26:27], s[24:25]
	s_mov_b32 s25, s8
	s_add_co_u32 s12, s12, s22
	s_cselect_b32 s7, -1, 0
	s_wait_alu 0xfffe
	s_cmp_lg_u32 s7, 0
	s_add_co_ci_u32 s13, s13, s23
	s_mov_b32 s23, s8
	s_mul_u64 s[14:15], s[14:15], s[12:13]
	s_delay_alu instid0(SALU_CYCLE_1)
	s_mul_hi_u32 s27, s12, s15
	s_mul_i32 s26, s12, s15
	s_mul_hi_u32 s22, s12, s14
	s_mul_i32 s9, s13, s14
	s_add_nc_u64 s[22:23], s[22:23], s[26:27]
	s_mul_hi_u32 s7, s13, s14
	s_mul_hi_u32 s21, s13, s15
	s_add_co_u32 s9, s22, s9
	s_wait_alu 0xfffe
	s_add_co_ci_u32 s24, s23, s7
	s_mul_i32 s14, s13, s15
	s_add_co_ci_u32 s15, s21, 0
	s_mov_b32 s23, s8
	s_add_nc_u64 s[14:15], s[24:25], s[14:15]
	s_delay_alu instid0(SALU_CYCLE_1) | instskip(SKIP_1) | instid1(SALU_CYCLE_1)
	s_add_co_u32 s7, s12, s14
	s_cselect_b32 s9, -1, 0
	s_cmp_lg_u32 s9, 0
	s_add_co_ci_u32 s9, s13, s15
	s_ashr_i32 s12, s3, 31
	s_delay_alu instid0(SALU_CYCLE_1) | instskip(NEXT) | instid1(SALU_CYCLE_1)
	s_mov_b32 s13, s12
	s_add_nc_u64 s[14:15], s[2:3], s[12:13]
	s_delay_alu instid0(SALU_CYCLE_1) | instskip(NEXT) | instid1(SALU_CYCLE_1)
	s_xor_b64 s[14:15], s[14:15], s[12:13]
	s_mul_hi_u32 s27, s14, s9
	s_mul_i32 s26, s14, s9
	s_wait_alu 0xfffe
	s_mul_hi_u32 s22, s14, s7
	s_mul_hi_u32 s21, s15, s7
	s_mul_i32 s7, s15, s7
	s_add_nc_u64 s[22:23], s[22:23], s[26:27]
	s_mul_hi_u32 s3, s15, s9
	s_wait_alu 0xfffe
	s_add_co_u32 s7, s22, s7
	s_add_co_ci_u32 s24, s23, s21
	s_mul_i32 s26, s15, s9
	s_add_co_ci_u32 s27, s3, 0
	s_delay_alu instid0(SALU_CYCLE_1) | instskip(NEXT) | instid1(SALU_CYCLE_1)
	s_add_nc_u64 s[22:23], s[24:25], s[26:27]
	s_mul_u64 s[24:25], s[10:11], s[22:23]
	s_add_nc_u64 s[26:27], s[22:23], 1
	s_sub_co_u32 s3, s14, s24
	s_cselect_b32 s7, -1, 0
	s_sub_co_i32 s9, s15, s25
	s_wait_alu 0xfffe
	s_cmp_lg_u32 s7, 0
	s_add_nc_u64 s[28:29], s[22:23], 2
	s_sub_co_ci_u32 s9, s9, s11
	s_sub_co_u32 s14, s3, s10
	s_cselect_b32 s21, -1, 0
	s_delay_alu instid0(SALU_CYCLE_1) | instskip(SKIP_1) | instid1(SALU_CYCLE_1)
	s_cmp_lg_u32 s21, 0
	s_sub_co_ci_u32 s9, s9, 0
	s_cmp_ge_u32 s9, s11
	s_cselect_b32 s21, -1, 0
	s_cmp_ge_u32 s14, s10
	s_cselect_b32 s14, -1, 0
	s_cmp_eq_u32 s9, s11
	s_cselect_b32 s9, s14, s21
	s_delay_alu instid0(SALU_CYCLE_1)
	s_cmp_lg_u32 s9, 0
	s_cselect_b32 s9, s28, s26
	s_cselect_b32 s14, s29, s27
	s_cmp_lg_u32 s7, 0
	s_sub_co_ci_u32 s7, s15, s25
	s_wait_alu 0xfffe
	s_cmp_ge_u32 s7, s11
	s_cselect_b32 s15, -1, 0
	s_cmp_ge_u32 s3, s10
	s_cselect_b32 s3, -1, 0
	s_cmp_eq_u32 s7, s11
	s_cselect_b32 s3, s3, s15
	s_delay_alu instid0(SALU_CYCLE_1) | instskip(SKIP_3) | instid1(SALU_CYCLE_1)
	s_cmp_lg_u32 s3, 0
	s_cselect_b32 s11, s14, s23
	s_cselect_b32 s10, s9, s22
	s_xor_b64 s[12:13], s[12:13], 0
	s_xor_b64 s[10:11], s[10:11], s[12:13]
	s_delay_alu instid0(SALU_CYCLE_1)
	s_sub_nc_u64 s[10:11], s[10:11], s[12:13]
	s_load_b96 s[12:14], s[0:1], 0x44
	s_and_not1_b32 vcc_lo, exec_lo, s8
	s_cbranch_vccnz .LBB58_6
.LBB58_5:
	v_cvt_f32_u32_e32 v1, s16
	s_sub_co_i32 s7, 0, s16
	s_delay_alu instid0(VALU_DEP_1) | instskip(NEXT) | instid1(TRANS32_DEP_1)
	v_rcp_iflag_f32_e32 v1, v1
	v_mul_f32_e32 v1, 0x4f7ffffe, v1
	s_delay_alu instid0(VALU_DEP_1) | instskip(NEXT) | instid1(VALU_DEP_1)
	v_cvt_u32_f32_e32 v1, v1
	v_readfirstlane_b32 s3, v1
	s_wait_alu 0xfffe
	s_mul_i32 s7, s7, s3
	s_wait_alu 0xfffe
	s_mul_hi_u32 s7, s3, s7
	s_wait_alu 0xfffe
	s_add_co_i32 s3, s3, s7
	s_delay_alu instid0(SALU_CYCLE_1) | instskip(NEXT) | instid1(SALU_CYCLE_1)
	s_mul_hi_u32 s3, s2, s3
	s_mul_i32 s7, s3, s16
	s_wait_alu 0xfffe
	s_sub_co_i32 s2, s2, s7
	s_add_co_i32 s7, s3, 1
	s_sub_co_i32 s8, s2, s16
	s_cmp_ge_u32 s2, s16
	s_wait_alu 0xfffe
	s_cselect_b32 s3, s7, s3
	s_cselect_b32 s2, s8, s2
	s_add_co_i32 s7, s3, 1
	s_cmp_ge_u32 s2, s16
	s_wait_alu 0xfffe
	s_cselect_b32 s10, s7, s3
.LBB58_6:
	s_mov_b32 s21, 0
	s_wait_kmcnt 0x0
	s_mov_b32 s22, s12
	s_mov_b32 s23, s21
	s_cmp_eq_u32 s20, s10
	s_mul_u64 s[2:3], s[20:21], s[22:23]
	s_cselect_b32 s7, -1, 0
	s_add_co_i32 s2, s3, s20
	s_mov_b32 s11, s21
	s_lshr_b32 s12, s2, s13
	s_mul_u64 s[2:3], s[10:11], s[22:23]
	s_mul_i32 s2, s12, s14
	s_delay_alu instid0(SALU_CYCLE_1) | instskip(SKIP_2) | instid1(SALU_CYCLE_1)
	s_cmp_eq_u32 s2, s20
	s_cselect_b32 s2, -1, 0
	s_add_co_i32 s3, s3, s10
	s_lshr_b32 s3, s3, s13
	s_delay_alu instid0(SALU_CYCLE_1)
	s_cmp_eq_u32 s12, s3
	s_mul_i32 s3, s3, s14
	s_cselect_b32 s8, -1, 0
	s_cmp_lg_u32 s3, s10
	s_cselect_b32 s3, -1, 0
	s_wait_alu 0xfffe
	s_or_b32 s2, s7, s2
	s_and_b32 s3, s8, s3
	s_delay_alu instid0(SALU_CYCLE_1) | instskip(NEXT) | instid1(SALU_CYCLE_1)
	s_or_b32 s2, s2, s3
	s_and_b32 vcc_lo, exec_lo, s2
	s_cbranch_vccnz .LBB58_24
; %bb.7:
	s_load_b256 s[24:31], s[0:1], 0x20
	s_mov_b32 s3, s21
	s_and_b32 s15, ttmp7, 0xffff
	s_wait_kmcnt 0x0
	s_mov_b32 s2, s24
	s_delay_alu instid0(SALU_CYCLE_1) | instskip(NEXT) | instid1(SALU_CYCLE_1)
	s_mul_u64 s[2:3], s[20:21], s[2:3]
	s_add_co_i32 s2, s3, s20
	s_delay_alu instid0(SALU_CYCLE_1) | instskip(SKIP_4) | instid1(SALU_CYCLE_1)
	s_lshr_b32 s3, s2, s25
	s_load_b32 s2, s[0:1], 0x40
	s_mul_i32 s7, s3, s26
	s_wait_alu 0xfffe
	s_sub_co_i32 s8, s20, s7
	s_mul_hi_u32 s7, s8, s27
	s_wait_alu 0xfffe
	s_add_co_i32 s7, s8, s7
	s_wait_alu 0xfffe
	s_lshr_b32 s7, s7, s28
	s_wait_alu 0xfffe
	s_mul_i32 s9, s7, s29
	s_delay_alu instid0(SALU_CYCLE_1) | instskip(NEXT) | instid1(SALU_CYCLE_1)
	s_sub_co_i32 s8, s8, s9
	s_mul_hi_u32 s9, s8, s30
	s_delay_alu instid0(SALU_CYCLE_1) | instskip(NEXT) | instid1(SALU_CYCLE_1)
	s_add_co_i32 s9, s8, s9
	s_lshr_b32 s24, s9, s31
	s_mov_b32 s9, s21
	s_wait_kmcnt 0x0
	s_mul_i32 s2, s24, s2
	s_delay_alu instid0(SALU_CYCLE_1) | instskip(NEXT) | instid1(SALU_CYCLE_1)
	s_sub_co_i32 s8, s8, s2
	s_mul_u64 s[10:11], s[8:9], s[22:23]
	s_delay_alu instid0(SALU_CYCLE_1) | instskip(NEXT) | instid1(SALU_CYCLE_1)
	s_add_co_i32 s2, s8, s11
	s_lshr_b32 s21, s2, s13
	s_delay_alu instid0(SALU_CYCLE_1) | instskip(NEXT) | instid1(SALU_CYCLE_1)
	s_lshl_b32 s2, s21, 5
	s_add_co_i32 s8, s2, s15
	s_lshr_b32 s2, ttmp7, 16
	s_cmp_lt_i32 s8, s4
	s_cselect_b32 s8, -1, 0
	s_add_co_i32 s9, s24, s2
	s_delay_alu instid0(SALU_CYCLE_1) | instskip(SKIP_1) | instid1(SALU_CYCLE_1)
	s_cmp_lt_i32 s9, s6
	s_cselect_b32 s9, -1, 0
	s_and_b32 s8, s8, s9
	s_delay_alu instid0(SALU_CYCLE_1)
	s_and_not1_b32 vcc_lo, exec_lo, s8
	s_cbranch_vccnz .LBB58_24
; %bb.8:
	s_mul_i32 s3, s3, s4
	s_mul_i32 s7, s7, s6
	s_add_co_i32 s3, s3, s15
	s_load_b128 s[8:11], s[0:1], 0x0
	s_mul_i32 s3, s3, s5
	s_mul_i32 s1, s5, s21
	s_add_co_i32 s3, s3, s2
	s_lshl_b32 s1, s1, 12
	s_add_co_i32 s0, s3, s7
	s_add_co_i32 s15, s15, s2
	;; [unrolled: 1-line block ×3, first 2 shown]
	v_cvt_f32_u32_e32 v4, s16
	s_lshl_b32 s0, s0, 7
	s_add_co_i32 s34, ttmp9, -1
	s_add_co_i32 s1, s1, s0
	s_delay_alu instid0(VALU_DEP_1)
	v_rcp_iflag_f32_e32 v4, v4
	v_or_b32_e32 v1, s1, v0
	s_add_nc_u64 s[0:1], s[16:17], 0
	v_lshl_or_b32 v0, s15, 7, v0
	s_wait_alu 0xfffe
	s_xor_b64 s[6:7], s[0:1], 0
	s_lshl_b32 s0, ttmp9, 5
	v_ashrrev_i32_e32 v2, 31, v1
	s_wait_alu 0xfffe
	s_cvt_f32_u32 s1, s6
	s_cvt_f32_u32 s2, s7
	s_add_co_i32 s0, s0, s15
	s_sub_nc_u64 s[30:31], 0, s[6:7]
	v_lshlrev_b64_e32 v[1:2], 2, v[1:2]
	s_wait_alu 0xfffe
	s_fmamk_f32 s2, s2, 0x4f800000, s1
	s_ashr_i32 s1, s0, 31
	s_wait_alu 0xfffe
	s_lshl_b64 s[0:1], s[0:1], 3
	v_s_rcp_f32 s2, s2
	s_wait_kmcnt 0x0
	v_add_co_u32 v1, vcc_lo, s8, v1
	s_delay_alu instid0(VALU_DEP_1)
	v_add_co_ci_u32_e64 v2, null, s9, v2, vcc_lo
	s_wait_alu 0xfffe
	s_add_nc_u64 s[0:1], s[10:11], s[0:1]
	s_mov_b32 s8, 0
	s_load_b64 s[26:27], s[0:1], 0x0
	global_load_b32 v3, v[1:2], off
	s_mul_f32 s2, s2, 0x5f7ffffc
	v_mul_f32_e32 v4, 0x4f7ffffe, v4
	s_lshl_b32 s0, s16, 7
	s_wait_alu 0xfffe
	s_mul_f32 s1, s2, 0x2f800000
	s_wait_alu 0xfffe
	s_delay_alu instid0(SALU_CYCLE_2)
	s_trunc_f32 s3, s1
	s_mov_b32 s1, s8
	s_wait_alu 0xfffe
	s_lshl_b64 s[0:1], s[0:1], 2
	s_fmamk_f32 s2, s3, 0xcf800000, s2
	s_cvt_u32_f32 s29, s3
	s_wait_alu 0xfffe
	s_add_nc_u64 s[24:25], s[10:11], s[0:1]
	s_cvt_u32_f32 s28, s2
	s_wait_kmcnt 0x0
	v_mov_b32_e32 v5, s27
	v_cvt_u32_f32_e32 v4, v4
.LBB58_9:                               ; =>This Inner Loop Header: Depth=1
	s_wait_alu 0xfffe
	s_ashr_i32 s35, s34, 31
	s_mov_b32 s2, -1
	s_wait_alu 0xfffe
	s_mul_u64 s[0:1], s[34:35], s[18:19]
                                        ; implicit-def: $sgpr38_sgpr39
	s_wait_alu 0xfffe
	s_mov_b32 s9, s1
	s_wait_alu 0xfffe
	s_cmp_lg_u64 s[8:9], 0
	s_cbranch_scc0 .LBB58_11
; %bb.10:                               ;   in Loop: Header=BB58_9 Depth=1
	s_mul_u64 s[2:3], s[30:31], s[28:29]
	s_mov_b32 s37, s8
	s_wait_alu 0xfffe
	s_mul_hi_u32 s5, s28, s3
	s_mul_i32 s4, s28, s3
	s_mul_hi_u32 s36, s28, s2
	s_mul_hi_u32 s9, s29, s2
	s_wait_alu 0xfffe
	s_add_nc_u64 s[4:5], s[36:37], s[4:5]
	s_mul_i32 s2, s29, s2
	s_mul_hi_u32 s17, s29, s3
	s_wait_alu 0xfffe
	s_add_co_u32 s2, s4, s2
	s_add_co_ci_u32 s2, s5, s9
	s_add_co_ci_u32 s5, s17, 0
	s_mul_i32 s4, s29, s3
	s_mov_b32 s3, s8
	s_mov_b32 s39, s8
	s_wait_alu 0xfffe
	s_add_nc_u64 s[2:3], s[2:3], s[4:5]
	s_wait_alu 0xfffe
	s_add_co_u32 s2, s28, s2
	s_cselect_b32 s4, -1, 0
	s_wait_alu 0xfffe
	s_cmp_lg_u32 s4, 0
	s_add_co_ci_u32 s3, s29, s3
	s_wait_alu 0xfffe
	s_mul_u64 s[4:5], s[30:31], s[2:3]
	s_wait_alu 0xfffe
	s_mul_hi_u32 s37, s2, s5
	s_mul_i32 s36, s2, s5
	s_mul_hi_u32 s38, s2, s4
	s_mul_hi_u32 s9, s3, s4
	s_mul_i32 s4, s3, s4
	s_wait_alu 0xfffe
	s_add_nc_u64 s[36:37], s[38:39], s[36:37]
	s_mul_hi_u32 s17, s3, s5
	s_wait_alu 0xfffe
	s_add_co_u32 s4, s36, s4
	s_add_co_ci_u32 s4, s37, s9
	s_add_co_ci_u32 s37, s17, 0
	s_mul_i32 s36, s3, s5
	s_mov_b32 s5, s8
	s_wait_alu 0xfffe
	s_add_nc_u64 s[4:5], s[4:5], s[36:37]
	s_mov_b32 s37, s8
	s_wait_alu 0xfffe
	s_add_co_u32 s9, s2, s4
	s_cselect_b32 s2, -1, 0
	s_wait_alu 0xfffe
	s_cmp_lg_u32 s2, 0
	s_add_co_ci_u32 s17, s3, s5
	s_ashr_i32 s2, s1, 31
	s_wait_alu 0xfffe
	s_mov_b32 s3, s2
	s_wait_alu 0xfffe
	s_add_nc_u64 s[4:5], s[0:1], s[2:3]
	s_wait_alu 0xfffe
	s_xor_b64 s[4:5], s[4:5], s[2:3]
	s_wait_alu 0xfffe
	s_mul_hi_u32 s39, s4, s17
	s_mul_i32 s38, s4, s17
	s_mul_hi_u32 s36, s4, s9
	s_mul_i32 s21, s5, s9
	s_wait_alu 0xfffe
	s_add_nc_u64 s[36:37], s[36:37], s[38:39]
	s_mul_hi_u32 s9, s5, s9
	s_mul_hi_u32 s1, s5, s17
	s_wait_alu 0xfffe
	s_add_co_u32 s21, s36, s21
	s_add_co_ci_u32 s36, s37, s9
	s_add_co_ci_u32 s39, s1, 0
	s_mul_i32 s38, s5, s17
	s_mov_b32 s37, s8
	s_wait_alu 0xfffe
	s_add_nc_u64 s[36:37], s[36:37], s[38:39]
	s_wait_alu 0xfffe
	s_mul_u64 s[38:39], s[6:7], s[36:37]
	s_add_nc_u64 s[40:41], s[36:37], 1
	s_sub_co_u32 s1, s4, s38
	s_cselect_b32 s4, -1, 0
	s_sub_co_i32 s9, s5, s39
	s_wait_alu 0xfffe
	s_cmp_lg_u32 s4, 0
	s_add_nc_u64 s[42:43], s[36:37], 2
	s_sub_co_ci_u32 s9, s9, s7
	s_sub_co_u32 s17, s1, s6
	s_cselect_b32 s21, -1, 0
	s_delay_alu instid0(SALU_CYCLE_1)
	s_cmp_lg_u32 s21, 0
	s_wait_alu 0xfffe
	s_sub_co_ci_u32 s9, s9, 0
	s_wait_alu 0xfffe
	s_cmp_ge_u32 s9, s7
	s_cselect_b32 s21, -1, 0
	s_cmp_ge_u32 s17, s6
	s_cselect_b32 s17, -1, 0
	s_cmp_eq_u32 s9, s7
	s_wait_alu 0xfffe
	s_cselect_b32 s9, s17, s21
	s_wait_alu 0xfffe
	s_cmp_lg_u32 s9, 0
	s_cselect_b32 s9, s42, s40
	s_cselect_b32 s17, s43, s41
	s_cmp_lg_u32 s4, 0
	s_sub_co_ci_u32 s4, s5, s39
	s_wait_alu 0xfffe
	s_cmp_ge_u32 s4, s7
	s_cselect_b32 s5, -1, 0
	s_cmp_ge_u32 s1, s6
	s_cselect_b32 s1, -1, 0
	s_cmp_eq_u32 s4, s7
	s_wait_alu 0xfffe
	s_cselect_b32 s1, s1, s5
	s_wait_alu 0xfffe
	s_cmp_lg_u32 s1, 0
	s_cselect_b32 s5, s17, s37
	s_cselect_b32 s4, s9, s36
	s_xor_b64 s[2:3], s[2:3], 0
	s_wait_alu 0xfffe
	s_xor_b64 s[4:5], s[4:5], s[2:3]
	s_wait_alu 0xfffe
	s_sub_nc_u64 s[38:39], s[4:5], s[2:3]
	s_mov_b32 s2, 0
.LBB58_11:                              ;   in Loop: Header=BB58_9 Depth=1
	s_wait_alu 0xfffe
	s_and_not1_b32 vcc_lo, exec_lo, s2
	s_wait_alu 0xfffe
	s_cbranch_vccnz .LBB58_13
; %bb.12:                               ;   in Loop: Header=BB58_9 Depth=1
	v_readfirstlane_b32 s1, v4
	s_sub_co_i32 s2, 0, s16
	s_wait_alu 0xfffe
	s_mul_i32 s2, s2, s1
	s_wait_alu 0xfffe
	s_mul_hi_u32 s2, s1, s2
	s_wait_alu 0xfffe
	s_add_co_i32 s1, s1, s2
	s_wait_alu 0xfffe
	s_mul_hi_u32 s1, s0, s1
	s_wait_alu 0xfffe
	s_mul_i32 s2, s1, s16
	s_wait_alu 0xfffe
	s_sub_co_i32 s0, s0, s2
	s_add_co_i32 s2, s1, 1
	s_wait_alu 0xfffe
	s_sub_co_i32 s3, s0, s16
	s_cmp_ge_u32 s0, s16
	s_cselect_b32 s1, s2, s1
	s_wait_alu 0xfffe
	s_cselect_b32 s0, s3, s0
	s_add_co_i32 s2, s1, 1
	s_wait_alu 0xfffe
	s_cmp_ge_u32 s0, s16
	s_cselect_b32 s38, s2, s1
.LBB58_13:                              ;   in Loop: Header=BB58_9 Depth=1
	v_readfirstlane_b32 s9, v0
	s_cmp_lg_u32 s20, s38
	s_mov_b32 s0, -1
                                        ; implicit-def: $sgpr21
                                        ; implicit-def: $vgpr6
                                        ; implicit-def: $vgpr7
                                        ; implicit-def: $sgpr17
                                        ; implicit-def: $sgpr27
	s_cbranch_scc1 .LBB58_16
; %bb.14:                               ;   in Loop: Header=BB58_9 Depth=1
	s_wait_alu 0xfffe
	s_and_not1_b32 vcc_lo, exec_lo, s0
	s_wait_alu 0xfffe
	s_cbranch_vccz .LBB58_19
.LBB58_15:                              ;   in Loop: Header=BB58_9 Depth=1
	s_and_not1_b32 vcc_lo, exec_lo, s21
	s_wait_alu 0xfffe
	s_cbranch_vccnz .LBB58_20
	s_branch .LBB58_23
.LBB58_16:                              ;   in Loop: Header=BB58_9 Depth=1
	s_add_co_i32 s0, s34, s16
	s_mov_b32 s1, s8
	s_wait_alu 0xfffe
	s_lshl_b32 s0, s0, 5
	v_max_num_f32_e64 v6, s26, s26
	s_wait_alu 0xfffe
	s_add_co_i32 s0, s0, s15
	s_mov_b32 s39, s8
	s_wait_alu 0xfffe
	s_lshl_b64 s[0:1], s[0:1], 3
	s_mul_u64 s[40:41], s[38:39], s[22:23]
	s_wait_alu 0xfffe
	s_add_nc_u64 s[0:1], s[10:11], s[0:1]
	s_mov_b32 s27, s20
	s_load_b64 s[36:37], s[0:1], 0x0
	v_readfirstlane_b32 s0, v6
	s_wait_kmcnt 0x0
	v_max_num_f32_e64 v7, s36, s36
	s_delay_alu instid0(VALU_DEP_1) | instskip(SKIP_2) | instid1(SALU_CYCLE_2)
	v_readfirstlane_b32 s1, v7
	s_max_num_f32 s9, s0, s1
	s_wait_alu 0xfffe
	s_sub_f32 s33, s26, s9
	s_sub_f32 s35, s36, s9
	s_wait_alu 0xfffe
	s_delay_alu instid0(SALU_CYCLE_1)
	s_cmp_nlt_f32 s33, 0xc2ce8ed0
	s_cselect_b32 s0, -1, 0
	s_cmp_ngt_f32 s33, 0x42b17218
	s_cselect_b32 s1, -1, 0
	s_cmp_ge_f32 s33, 0xc1a00000
	s_cselect_b32 s2, -1, 0
	s_cmp_nlt_f32 s35, 0xc2ce8ed0
	s_cselect_b32 s3, -1, 0
	s_cmp_ngt_f32 s35, 0x42b17218
	s_cselect_b32 s4, -1, 0
	s_cmp_ge_f32 s35, 0xc1a00000
	s_cselect_b32 s5, -1, 0
	s_add_co_i32 s17, s41, s38
	s_wait_alu 0xfffe
	s_lshr_b32 s17, s17, s13
	s_wait_alu 0xfffe
	s_mul_i32 s21, s17, s14
	s_delay_alu instid0(SALU_CYCLE_1)
	s_cmp_eq_u32 s21, s38
	s_cselect_b32 s21, -1, 0
	s_cmp_lt_u32 s17, s12
	s_cselect_b32 s17, -1, 0
	s_wait_alu 0xfffe
	s_or_b32 s17, s17, s21
	s_mov_b32 s21, -1
	s_wait_alu 0xfffe
	s_and_b32 vcc_lo, exec_lo, s17
	s_mov_b32 s17, s34
	s_wait_alu 0xfffe
	s_cbranch_vccnz .LBB58_18
; %bb.17:                               ;   in Loop: Header=BB58_9 Depth=1
	s_add_co_i32 s17, s34, -1
	s_mov_b32 s21, 0
	s_mov_b32 s27, s38
.LBB58_18:                              ;   in Loop: Header=BB58_9 Depth=1
	v_lshl_add_u32 v6, s34, 12, v0
	s_mul_f32 s36, s35, 0x3fb8aa3b
	s_mul_f32 s38, s33, 0x3fb8aa3b
	s_wait_alu 0xfffe
	s_delay_alu instid0(SALU_CYCLE_1)
	s_xor_b32 s39, s36, 0x80000000
	v_ashrrev_i32_e32 v7, 31, v6
	s_rndne_f32 s40, s36
	s_fmamk_f32 s39, s35, 0x3fb8aa3b, s39
	s_xor_b32 s41, s38, 0x80000000
	s_rndne_f32 s42, s38
	v_lshlrev_b64_e32 v[6:7], 2, v[6:7]
	s_sub_f32 s36, s36, s40
	s_fmamk_f32 s35, s35, 0x32a5705f, s39
	s_fmamk_f32 s39, s33, 0x3fb8aa3b, s41
	s_sub_f32 s38, s38, s42
	s_delay_alu instid0(VALU_DEP_1)
	v_add_co_u32 v6, vcc_lo, s24, v6
	s_wait_alu 0xfffd
	v_add_co_ci_u32_e64 v7, null, s25, v7, vcc_lo
	s_wait_alu 0xfffe
	s_add_f32 s35, s36, s35
	s_fmamk_f32 s33, s33, 0x32a5705f, s39
	s_cvt_i32_f32 s36, s40
	global_load_b32 v6, v[6:7], off
	s_wait_alu 0xfffe
	v_s_exp_f32 s35, s35
	s_add_f32 s33, s38, s33
	s_wait_alu 0xfffe
	s_delay_alu instid0(SALU_CYCLE_2) | instskip(NEXT) | instid1(TRANS32_DEP_2)
	v_s_exp_f32 s33, s33
	v_ldexp_f32 v7, s35, s36
	s_cvt_i32_f32 s35, s42
	s_wait_alu 0xf1fe
	s_delay_alu instid0(TRANS32_DEP_1) | instid1(SALU_CYCLE_2)
	v_ldexp_f32 v8, s33, s35
	s_delay_alu instid0(VALU_DEP_2) | instskip(NEXT) | instid1(VALU_DEP_2)
	v_cndmask_b32_e64 v7, 0, v7, s3
	v_cndmask_b32_e64 v8, 0, v8, s0
	s_delay_alu instid0(VALU_DEP_2) | instskip(NEXT) | instid1(VALU_DEP_2)
	v_cndmask_b32_e64 v7, 0x7f800000, v7, s4
	v_cndmask_b32_e64 v8, 0x7f800000, v8, s1
	s_delay_alu instid0(VALU_DEP_2) | instskip(NEXT) | instid1(VALU_DEP_2)
	v_cndmask_b32_e64 v7, 0, v7, s5
	v_cndmask_b32_e64 v8, 0, v8, s2
	s_wait_loadcnt 0x0
	s_delay_alu instid0(VALU_DEP_2) | instskip(SKIP_1) | instid1(VALU_DEP_1)
	v_mul_f32_e32 v6, v6, v7
	v_mul_f32_e32 v7, s37, v7
	v_fmac_f32_e32 v7, v5, v8
	s_delay_alu instid0(VALU_DEP_3)
	v_fmac_f32_e32 v6, v3, v8
	s_cbranch_execnz .LBB58_15
.LBB58_19:                              ;   in Loop: Header=BB58_9 Depth=1
	s_wait_loadcnt 0x0
	v_dual_mov_b32 v7, v5 :: v_dual_mov_b32 v6, v3
	s_add_co_i32 s17, s34, -1
	s_mov_b32 s27, s20
	s_mov_b32 s9, s26
	s_cbranch_execz .LBB58_23
.LBB58_20:                              ;   in Loop: Header=BB58_9 Depth=1
	v_mov_b32_e32 v5, v7
	s_wait_loadcnt 0x0
	v_mov_b32_e32 v3, v6
	s_wait_alu 0xfffe
	s_mov_b32 s20, s27
	s_mov_b32 s34, s17
	;; [unrolled: 1-line block ×3, first 2 shown]
	s_branch .LBB58_9
.LBB58_21:
                                        ; implicit-def: $sgpr20_sgpr21
	s_branch .LBB58_2
.LBB58_22:
                                        ; implicit-def: $sgpr10_sgpr11
	s_load_b96 s[12:14], s[0:1], 0x44
	s_branch .LBB58_5
.LBB58_23:
	v_div_scale_f32 v0, null, v7, v7, v6
	s_wait_loadcnt 0x0
	s_delay_alu instid0(VALU_DEP_1) | instskip(NEXT) | instid1(TRANS32_DEP_1)
	v_rcp_f32_e32 v3, v0
	v_fma_f32 v4, -v0, v3, 1.0
	s_delay_alu instid0(VALU_DEP_1) | instskip(SKIP_1) | instid1(VALU_DEP_1)
	v_fmac_f32_e32 v3, v4, v3
	v_div_scale_f32 v4, vcc_lo, v6, v7, v6
	v_mul_f32_e32 v5, v4, v3
	s_delay_alu instid0(VALU_DEP_1) | instskip(NEXT) | instid1(VALU_DEP_1)
	v_fma_f32 v8, -v0, v5, v4
	v_fmac_f32_e32 v5, v8, v3
	s_delay_alu instid0(VALU_DEP_1) | instskip(SKIP_1) | instid1(VALU_DEP_1)
	v_fma_f32 v0, -v0, v5, v4
	s_wait_alu 0xfffd
	v_div_fmas_f32 v0, v0, v3, v5
	s_delay_alu instid0(VALU_DEP_1)
	v_div_fixup_f32 v0, v0, v7, v6
	global_store_b32 v[1:2], v0, off
.LBB58_24:
	s_endpgm
	.section	.rodata,"a",@progbits
	.p2align	6, 0x0
	.amdhsa_kernel _ZL33flash_attn_stream_k_fixup_generalILi128ELi32ELi1EEvPfPK15HIP_vector_typeIfLj2EEiiiiS1_IjLj3EES5_S5_S5_
		.amdhsa_group_segment_fixed_size 0
		.amdhsa_private_segment_fixed_size 0
		.amdhsa_kernarg_size 336
		.amdhsa_user_sgpr_count 2
		.amdhsa_user_sgpr_dispatch_ptr 0
		.amdhsa_user_sgpr_queue_ptr 0
		.amdhsa_user_sgpr_kernarg_segment_ptr 1
		.amdhsa_user_sgpr_dispatch_id 0
		.amdhsa_user_sgpr_private_segment_size 0
		.amdhsa_wavefront_size32 1
		.amdhsa_uses_dynamic_stack 0
		.amdhsa_enable_private_segment 0
		.amdhsa_system_sgpr_workgroup_id_x 1
		.amdhsa_system_sgpr_workgroup_id_y 1
		.amdhsa_system_sgpr_workgroup_id_z 1
		.amdhsa_system_sgpr_workgroup_info 0
		.amdhsa_system_vgpr_workitem_id 0
		.amdhsa_next_free_vgpr 9
		.amdhsa_next_free_sgpr 44
		.amdhsa_reserve_vcc 1
		.amdhsa_float_round_mode_32 0
		.amdhsa_float_round_mode_16_64 0
		.amdhsa_float_denorm_mode_32 3
		.amdhsa_float_denorm_mode_16_64 3
		.amdhsa_fp16_overflow 0
		.amdhsa_workgroup_processor_mode 1
		.amdhsa_memory_ordered 1
		.amdhsa_forward_progress 1
		.amdhsa_inst_pref_size 28
		.amdhsa_round_robin_scheduling 0
		.amdhsa_exception_fp_ieee_invalid_op 0
		.amdhsa_exception_fp_denorm_src 0
		.amdhsa_exception_fp_ieee_div_zero 0
		.amdhsa_exception_fp_ieee_overflow 0
		.amdhsa_exception_fp_ieee_underflow 0
		.amdhsa_exception_fp_ieee_inexact 0
		.amdhsa_exception_int_div_zero 0
	.end_amdhsa_kernel
	.section	.text._ZL33flash_attn_stream_k_fixup_generalILi128ELi32ELi1EEvPfPK15HIP_vector_typeIfLj2EEiiiiS1_IjLj3EES5_S5_S5_,"axG",@progbits,_ZL33flash_attn_stream_k_fixup_generalILi128ELi32ELi1EEvPfPK15HIP_vector_typeIfLj2EEiiiiS1_IjLj3EES5_S5_S5_,comdat
.Lfunc_end58:
	.size	_ZL33flash_attn_stream_k_fixup_generalILi128ELi32ELi1EEvPfPK15HIP_vector_typeIfLj2EEiiiiS1_IjLj3EES5_S5_S5_, .Lfunc_end58-_ZL33flash_attn_stream_k_fixup_generalILi128ELi32ELi1EEvPfPK15HIP_vector_typeIfLj2EEiiiiS1_IjLj3EES5_S5_S5_
                                        ; -- End function
	.set _ZL33flash_attn_stream_k_fixup_generalILi128ELi32ELi1EEvPfPK15HIP_vector_typeIfLj2EEiiiiS1_IjLj3EES5_S5_S5_.num_vgpr, 9
	.set _ZL33flash_attn_stream_k_fixup_generalILi128ELi32ELi1EEvPfPK15HIP_vector_typeIfLj2EEiiiiS1_IjLj3EES5_S5_S5_.num_agpr, 0
	.set _ZL33flash_attn_stream_k_fixup_generalILi128ELi32ELi1EEvPfPK15HIP_vector_typeIfLj2EEiiiiS1_IjLj3EES5_S5_S5_.numbered_sgpr, 44
	.set _ZL33flash_attn_stream_k_fixup_generalILi128ELi32ELi1EEvPfPK15HIP_vector_typeIfLj2EEiiiiS1_IjLj3EES5_S5_S5_.num_named_barrier, 0
	.set _ZL33flash_attn_stream_k_fixup_generalILi128ELi32ELi1EEvPfPK15HIP_vector_typeIfLj2EEiiiiS1_IjLj3EES5_S5_S5_.private_seg_size, 0
	.set _ZL33flash_attn_stream_k_fixup_generalILi128ELi32ELi1EEvPfPK15HIP_vector_typeIfLj2EEiiiiS1_IjLj3EES5_S5_S5_.uses_vcc, 1
	.set _ZL33flash_attn_stream_k_fixup_generalILi128ELi32ELi1EEvPfPK15HIP_vector_typeIfLj2EEiiiiS1_IjLj3EES5_S5_S5_.uses_flat_scratch, 0
	.set _ZL33flash_attn_stream_k_fixup_generalILi128ELi32ELi1EEvPfPK15HIP_vector_typeIfLj2EEiiiiS1_IjLj3EES5_S5_S5_.has_dyn_sized_stack, 0
	.set _ZL33flash_attn_stream_k_fixup_generalILi128ELi32ELi1EEvPfPK15HIP_vector_typeIfLj2EEiiiiS1_IjLj3EES5_S5_S5_.has_recursion, 0
	.set _ZL33flash_attn_stream_k_fixup_generalILi128ELi32ELi1EEvPfPK15HIP_vector_typeIfLj2EEiiiiS1_IjLj3EES5_S5_S5_.has_indirect_call, 0
	.section	.AMDGPU.csdata,"",@progbits
; Kernel info:
; codeLenInByte = 3556
; TotalNumSgprs: 46
; NumVgprs: 9
; ScratchSize: 0
; MemoryBound: 0
; FloatMode: 240
; IeeeMode: 1
; LDSByteSize: 0 bytes/workgroup (compile time only)
; SGPRBlocks: 0
; VGPRBlocks: 1
; NumSGPRsForWavesPerEU: 46
; NumVGPRsForWavesPerEU: 9
; Occupancy: 16
; WaveLimiterHint : 0
; COMPUTE_PGM_RSRC2:SCRATCH_EN: 0
; COMPUTE_PGM_RSRC2:USER_SGPR: 2
; COMPUTE_PGM_RSRC2:TRAP_HANDLER: 0
; COMPUTE_PGM_RSRC2:TGID_X_EN: 1
; COMPUTE_PGM_RSRC2:TGID_Y_EN: 1
; COMPUTE_PGM_RSRC2:TGID_Z_EN: 1
; COMPUTE_PGM_RSRC2:TIDIG_COMP_CNT: 0
	.section	.text._ZL15flash_attn_tileILi128ELi128ELi16ELi1ELb0EEvPKcS1_S1_S1_S1_PKiPfP15HIP_vector_typeIfLj2EEffffjfiS5_IjLj3EEiiiiiiiiiiiliiliiiiil,"axG",@progbits,_ZL15flash_attn_tileILi128ELi128ELi16ELi1ELb0EEvPKcS1_S1_S1_S1_PKiPfP15HIP_vector_typeIfLj2EEffffjfiS5_IjLj3EEiiiiiiiiiiiliiliiiiil,comdat
	.globl	_ZL15flash_attn_tileILi128ELi128ELi16ELi1ELb0EEvPKcS1_S1_S1_S1_PKiPfP15HIP_vector_typeIfLj2EEffffjfiS5_IjLj3EEiiiiiiiiiiiliiliiiiil ; -- Begin function _ZL15flash_attn_tileILi128ELi128ELi16ELi1ELb0EEvPKcS1_S1_S1_S1_PKiPfP15HIP_vector_typeIfLj2EEffffjfiS5_IjLj3EEiiiiiiiiiiiliiliiiiil
	.p2align	8
	.type	_ZL15flash_attn_tileILi128ELi128ELi16ELi1ELb0EEvPKcS1_S1_S1_S1_PKiPfP15HIP_vector_typeIfLj2EEffffjfiS5_IjLj3EEiiiiiiiiiiiliiliiiiil,@function
_ZL15flash_attn_tileILi128ELi128ELi16ELi1ELb0EEvPKcS1_S1_S1_S1_PKiPfP15HIP_vector_typeIfLj2EEffffjfiS5_IjLj3EEiiiiiiiiiiiliiliiiiil: ; @_ZL15flash_attn_tileILi128ELi128ELi16ELi1ELb0EEvPKcS1_S1_S1_S1_PKiPfP15HIP_vector_typeIfLj2EEffffjfiS5_IjLj3EEiiiiiiiiiiiliiliiiiil
; %bb.0:
	s_clause 0x1
	s_load_b128 s[24:27], s[0:1], 0x5c
	s_load_b64 s[2:3], s[0:1], 0x80
	s_lshr_b32 s6, ttmp7, 16
	s_load_b64 s[38:39], s[0:1], 0xb8
	s_mov_b32 s35, 0
	s_mov_b64 s[36:37], 0
	s_wait_kmcnt 0x0
	s_cvt_f32_u32 s4, s27
	s_sub_co_i32 s5, 0, s27
	s_delay_alu instid0(SALU_CYCLE_2) | instskip(NEXT) | instid1(TRANS32_DEP_1)
	v_rcp_iflag_f32_e32 v1, s4
	v_readfirstlane_b32 s4, v1
	s_mul_f32 s4, s4, 0x4f7ffffe
	s_wait_alu 0xfffe
	s_delay_alu instid0(SALU_CYCLE_2) | instskip(SKIP_1) | instid1(SALU_CYCLE_2)
	s_cvt_u32_f32 s4, s4
	s_wait_alu 0xfffe
	s_mul_i32 s5, s5, s4
	s_wait_alu 0xfffe
	s_mul_hi_u32 s5, s4, s5
	s_wait_alu 0xfffe
	s_add_co_i32 s4, s4, s5
	s_wait_alu 0xfffe
	s_mul_hi_u32 s4, s6, s4
	s_wait_alu 0xfffe
	s_mul_i32 s5, s4, s27
	s_add_co_i32 s7, s4, 1
	s_wait_alu 0xfffe
	s_sub_co_i32 s5, s6, s5
	s_wait_alu 0xfffe
	s_sub_co_i32 s8, s5, s27
	s_cmp_ge_u32 s5, s27
	s_cselect_b32 s4, s7, s4
	s_cselect_b32 s5, s8, s5
	s_wait_alu 0xfffe
	s_add_co_i32 s7, s4, 1
	s_cmp_ge_u32 s5, s27
	s_cselect_b32 s30, s7, s4
	s_abs_i32 s4, s3
	s_abs_i32 s9, s27
	s_wait_alu 0xfffe
	s_cvt_f32_u32 s5, s4
	s_sub_co_i32 s7, 0, s4
	s_mul_i32 s8, s30, s27
	s_xor_b32 s3, s27, s3
	s_wait_alu 0xfffe
	v_rcp_iflag_f32_e32 v1, s5
	s_sub_co_i32 s28, s6, s8
	s_ashr_i32 s3, s3, 31
	s_delay_alu instid0(TRANS32_DEP_1) | instskip(SKIP_2) | instid1(SALU_CYCLE_2)
	v_readfirstlane_b32 s5, v1
	s_mul_f32 s5, s5, 0x4f7ffffe
	s_wait_alu 0xfffe
	s_cvt_u32_f32 s5, s5
	s_wait_alu 0xfffe
	s_delay_alu instid0(SALU_CYCLE_2) | instskip(NEXT) | instid1(SALU_CYCLE_1)
	s_mul_i32 s7, s7, s5
	s_mul_hi_u32 s7, s5, s7
	s_delay_alu instid0(SALU_CYCLE_1)
	s_add_co_i32 s5, s5, s7
	s_wait_alu 0xfffe
	s_mul_hi_u32 s5, s9, s5
	s_wait_alu 0xfffe
	s_mul_i32 s6, s5, s4
	s_add_co_i32 s7, s5, 1
	s_sub_co_i32 s6, s9, s6
	s_delay_alu instid0(SALU_CYCLE_1)
	s_sub_co_i32 s8, s6, s4
	s_cmp_ge_u32 s6, s4
	s_cselect_b32 s5, s7, s5
	s_cselect_b32 s6, s8, s6
	s_wait_alu 0xfffe
	s_add_co_i32 s7, s5, 1
	s_cmp_ge_u32 s6, s4
	s_load_b512 s[8:23], s[0:1], 0x0
	s_cselect_b32 s4, s7, s5
	s_abs_i32 s34, s28
	s_wait_alu 0xfffe
	s_xor_b32 s4, s4, s3
	s_wait_alu 0xfffe
	s_sub_co_i32 s31, s4, s3
	s_delay_alu instid0(SALU_CYCLE_1) | instskip(NEXT) | instid1(SALU_CYCLE_1)
	s_abs_i32 s3, s31
	s_cvt_f32_u32 s4, s3
	s_sub_co_i32 s5, 0, s3
	s_wait_alu 0xfffe
	s_delay_alu instid0(SALU_CYCLE_1) | instskip(NEXT) | instid1(TRANS32_DEP_1)
	v_rcp_iflag_f32_e32 v1, s4
	v_readfirstlane_b32 s4, v1
	s_mul_f32 s4, s4, 0x4f7ffffe
	s_wait_alu 0xfffe
	s_delay_alu instid0(SALU_CYCLE_2) | instskip(SKIP_1) | instid1(SALU_CYCLE_2)
	s_cvt_u32_f32 s4, s4
	s_wait_alu 0xfffe
	s_mul_i32 s5, s5, s4
	s_wait_alu 0xfffe
	s_mul_hi_u32 s5, s4, s5
	s_wait_alu 0xfffe
	s_add_co_i32 s40, s4, s5
	s_wait_kmcnt 0x0
	s_cmp_eq_u64 s[14:15], 0
	s_cbranch_scc1 .LBB59_2
; %bb.1:
	s_abs_i32 s6, s38
	s_delay_alu instid0(SALU_CYCLE_1) | instskip(SKIP_1) | instid1(SALU_CYCLE_2)
	s_cvt_f32_u32 s4, s6
	s_wait_alu 0xfffe
	v_rcp_iflag_f32_e32 v1, s4
	s_delay_alu instid0(TRANS32_DEP_1) | instskip(SKIP_2) | instid1(SALU_CYCLE_2)
	v_readfirstlane_b32 s4, v1
	s_mul_f32 s4, s4, 0x4f7ffffe
	s_wait_alu 0xfffe
	s_cvt_u32_f32 s7, s4
	s_sub_co_i32 s4, 0, s6
	s_wait_alu 0xfffe
	s_delay_alu instid0(SALU_CYCLE_1) | instskip(SKIP_4) | instid1(SALU_CYCLE_1)
	s_mul_i32 s4, s4, s7
	s_wait_alu 0xfffe
	s_mul_hi_u32 s29, s7, s4
	s_load_b64 s[4:5], s[0:1], 0xc8
	s_add_co_i32 s7, s7, s29
	s_mul_hi_u32 s7, s30, s7
	s_delay_alu instid0(SALU_CYCLE_1) | instskip(NEXT) | instid1(SALU_CYCLE_1)
	s_mul_i32 s7, s7, s6
	s_sub_co_i32 s7, s30, s7
	s_delay_alu instid0(SALU_CYCLE_1) | instskip(SKIP_2) | instid1(SALU_CYCLE_1)
	s_sub_co_i32 s29, s7, s6
	s_cmp_ge_u32 s7, s6
	s_cselect_b32 s7, s29, s7
	s_sub_co_i32 s29, s7, s6
	s_cmp_ge_u32 s7, s6
	s_cselect_b32 s6, s29, s7
	s_delay_alu instid0(SALU_CYCLE_1)
	s_ashr_i32 s7, s6, 31
	s_wait_kmcnt 0x0
	s_mul_u64 s[4:5], s[4:5], s[6:7]
	s_wait_alu 0xfffe
	s_add_nc_u64 s[36:37], s[14:15], s[4:5]
.LBB59_2:
	s_clause 0x1
	s_load_b128 s[4:7], s[0:1], 0x40
	s_load_b32 s14, s[0:1], 0x50
	v_mov_b32_e32 v37, 1.0
	s_mov_b32 s41, s35
	s_wait_kmcnt 0x0
	s_cmp_le_f32 s5, 0
	s_cbranch_scc1 .LBB59_4
; %bb.3:
	v_sub_co_u32 v1, s5, s28, s14
	s_and_b32 s15, s5, exec_lo
	s_cselect_b32 s7, s6, s7
	v_readfirstlane_b32 s14, v1
	s_lshl_b32 s6, s14, 1
	s_add_co_i32 s14, s28, 1
	s_or_b32 s6, s6, 1
	s_and_b32 s5, s5, exec_lo
	s_wait_alu 0xfffe
	s_cselect_b32 s5, s14, s6
	s_cmp_neq_f32 s7, 1.0
	s_wait_alu 0xfffe
	s_cvt_f32_i32 s5, s5
	s_wait_alu 0xfffe
	s_delay_alu instid0(SALU_CYCLE_2) | instskip(NEXT) | instid1(SALU_CYCLE_1)
	s_cselect_b32 s6, s5, 1.0
	s_cmp_neq_f32 s6, 0
	s_cselect_b32 s5, s7, 1.0
	s_wait_alu 0xfffe
	v_frexp_mant_f32_e64 v1, |s5|
	s_delay_alu instid0(VALU_DEP_1)
	v_readfirstlane_b32 s7, v1
	v_cvt_f64_f32_e64 v[1:2], |s5|
	s_cmp_lt_f32 s7, 0x3f2aaaab
	s_cselect_b32 s14, -1, 0
	s_wait_alu 0xfffe
	s_and_b32 s15, s14, exec_lo
	s_cselect_b32 s15, 2.0, 1.0
	s_wait_alu 0xfffe
	s_mul_f32 s7, s7, s15
	s_delay_alu instid0(SALU_CYCLE_3) | instskip(SKIP_2) | instid1(SALU_CYCLE_1)
	s_add_f32 s15, s7, 1.0
	s_add_f32 s33, s7, -1.0
	s_wait_alu 0xfffe
	v_s_rcp_f32 s29, s15
	s_add_f32 s43, s15, -1.0
	s_delay_alu instid0(SALU_CYCLE_3) | instskip(NEXT) | instid1(TRANS32_DEP_1)
	s_sub_f32 s7, s7, s43
	s_mul_f32 s38, s33, s29
	s_delay_alu instid0(SALU_CYCLE_3) | instskip(NEXT) | instid1(SALU_CYCLE_3)
	s_mul_f32 s42, s15, s38
	s_xor_b32 s44, s42, 0x80000000
	s_delay_alu instid0(VALU_DEP_1) | instskip(SKIP_1) | instid1(SALU_CYCLE_3)
	v_frexp_exp_i32_f64_e32 v1, v[1:2]
	s_fmac_f32 s44, s38, s15
	s_fmac_f32 s44, s38, s7
	s_delay_alu instid0(SALU_CYCLE_3) | instskip(NEXT) | instid1(SALU_CYCLE_3)
	s_add_f32 s7, s42, s44
	s_sub_f32 s15, s33, s7
	s_sub_f32 s42, s7, s42
	s_wait_alu 0xfffe
	s_delay_alu instid0(SALU_CYCLE_1) | instskip(NEXT) | instid1(SALU_CYCLE_1)
	s_sub_f32 s33, s33, s15
	s_sub_f32 s42, s42, s44
	s_delay_alu instid0(SALU_CYCLE_2) | instskip(NEXT) | instid1(SALU_CYCLE_3)
	s_sub_f32 s7, s33, s7
	s_add_f32 s7, s42, s7
	s_mov_b32 s42, 0x3e76c4e1
	s_delay_alu instid0(SALU_CYCLE_2) | instskip(NEXT) | instid1(SALU_CYCLE_3)
	s_add_f32 s7, s15, s7
	s_mul_f32 s7, s29, s7
	s_delay_alu instid0(SALU_CYCLE_3) | instskip(SKIP_1) | instid1(SALU_CYCLE_2)
	s_add_f32 s15, s38, s7
	s_wait_alu 0xfffe
	s_sub_f32 s29, s15, s38
	s_mul_f32 s33, s15, s15
	s_wait_alu 0xfffe
	s_delay_alu instid0(SALU_CYCLE_1) | instskip(NEXT) | instid1(SALU_CYCLE_1)
	s_sub_f32 s7, s7, s29
	s_xor_b32 s29, s33, 0x80000000
	s_wait_alu 0xfffe
	s_fmac_f32 s29, s15, s15
	s_add_f32 s38, s7, s7
	s_wait_alu 0xfffe
	s_delay_alu instid0(SALU_CYCLE_2) | instskip(SKIP_1) | instid1(SALU_CYCLE_2)
	s_fmac_f32 s29, s15, s38
	s_wait_alu 0xfffe
	s_add_f32 s38, s33, s29
	s_delay_alu instid0(SALU_CYCLE_3) | instskip(SKIP_1) | instid1(SALU_CYCLE_2)
	s_fmaak_f32 s42, s38, s42, 0x3e91f4c4
	s_sub_f32 s33, s38, s33
	s_fmaak_f32 s42, s38, s42, 0x3ecccdef
	s_delay_alu instid0(SALU_CYCLE_2) | instskip(SKIP_1) | instid1(SALU_CYCLE_1)
	s_sub_f32 s29, s29, s33
	s_mul_f32 s33, s15, s38
	s_mul_f32 s43, s38, s42
	s_delay_alu instid0(SALU_CYCLE_2) | instskip(NEXT) | instid1(SALU_CYCLE_2)
	s_xor_b32 s45, s33, 0x80000000
	s_xor_b32 s44, s43, 0x80000000
	s_fmac_f32 s45, s38, s15
	s_fmac_f32 s44, s38, s42
	s_delay_alu instid0(SALU_CYCLE_2) | instskip(SKIP_1) | instid1(SALU_CYCLE_1)
	s_fmac_f32 s45, s38, s7
	s_wait_alu 0xfffe
	s_fmac_f32 s44, s29, s42
	s_delay_alu instid0(SALU_CYCLE_1) | instskip(NEXT) | instid1(SALU_CYCLE_2)
	s_fmac_f32 s45, s29, s15
	s_add_f32 s42, s43, s44
	s_delay_alu instid0(SALU_CYCLE_3) | instskip(SKIP_1) | instid1(SALU_CYCLE_2)
	s_sub_f32 s43, s42, s43
	s_add_f32 s46, s42, 0x3f2aaaaa
	s_sub_f32 s43, s44, s43
	s_delay_alu instid0(SALU_CYCLE_2) | instskip(NEXT) | instid1(SALU_CYCLE_2)
	s_add_f32 s44, s46, 0xbf2aaaaa
	s_add_f32 s38, s43, 0x31739010
	s_delay_alu instid0(SALU_CYCLE_2) | instskip(NEXT) | instid1(SALU_CYCLE_3)
	s_sub_f32 s42, s42, s44
	s_add_f32 s29, s38, s42
	s_add_f32 s38, s33, s45
	s_wait_alu 0xfffe
	s_delay_alu instid0(SALU_CYCLE_1) | instskip(NEXT) | instid1(SALU_CYCLE_1)
	s_add_f32 s42, s46, s29
	s_sub_f32 s33, s38, s33
	s_delay_alu instid0(SALU_CYCLE_2) | instskip(SKIP_1) | instid1(SALU_CYCLE_1)
	s_mul_f32 s43, s38, s42
	s_sub_f32 s44, s46, s42
	s_sub_f32 s33, s45, s33
	s_delay_alu instid0(SALU_CYCLE_1) | instskip(NEXT) | instid1(SALU_CYCLE_1)
	s_xor_b32 s46, s43, 0x80000000
	s_add_f32 s29, s29, s44
	s_fmac_f32 s46, s38, s42
	v_readfirstlane_b32 s44, v1
	v_ldexp_f32 v1, s15, 1
	s_cmp_lg_u32 s14, 0
	s_wait_alu 0xfffe
	s_fmac_f32 s46, s38, s29
	s_sub_co_ci_u32 s14, s44, 0
	v_readfirstlane_b32 s15, v1
	s_delay_alu instid0(SALU_CYCLE_1)
	s_fmac_f32 s46, s33, s42
	s_wait_alu 0xfffe
	s_cvt_f32_i32 s14, s14
	v_ldexp_f32 v1, s7, 1
	s_add_f32 s29, s43, s46
	s_wait_alu 0xfffe
	s_mul_f32 s7, s14, 0x3f317218
	s_delay_alu instid0(VALU_DEP_1)
	v_readfirstlane_b32 s42, v1
	s_add_f32 s33, s15, s29
	s_sub_f32 s38, s29, s43
	s_wait_alu 0xfffe
	s_xor_b32 s43, s7, 0x80000000
	s_sub_f32 s15, s33, s15
	s_sub_f32 s38, s46, s38
	s_fmamk_f32 s43, s14, 0x3f317218, s43
	s_wait_alu 0xfffe
	s_sub_f32 s15, s29, s15
	s_add_f32 s29, s42, s38
	s_fmamk_f32 s14, s14, 0xb102e308, s43
	s_wait_alu 0xfffe
	s_delay_alu instid0(SALU_CYCLE_1) | instskip(NEXT) | instid1(SALU_CYCLE_1)
	s_add_f32 s15, s29, s15
	s_add_f32 s29, s7, s14
	s_wait_alu 0xfffe
	s_delay_alu instid0(SALU_CYCLE_1) | instskip(NEXT) | instid1(SALU_CYCLE_1)
	s_add_f32 s38, s33, s15
	s_sub_f32 s7, s29, s7
	s_delay_alu instid0(SALU_CYCLE_2)
	s_add_f32 s42, s29, s38
	s_sub_f32 s33, s38, s33
	s_wait_alu 0xfffe
	s_sub_f32 s7, s14, s7
	s_sub_f32 s43, s42, s29
	;; [unrolled: 1-line block ×3, first 2 shown]
	s_delay_alu instid0(SALU_CYCLE_2)
	s_sub_f32 s44, s42, s43
	s_sub_f32 s15, s38, s43
	s_wait_alu 0xfffe
	s_add_f32 s33, s7, s14
	s_sub_f32 s29, s29, s44
	s_wait_alu 0xfffe
	s_delay_alu instid0(SALU_CYCLE_2) | instskip(SKIP_2) | instid1(SALU_CYCLE_1)
	s_add_f32 s15, s15, s29
	s_sub_f32 s29, s33, s7
	s_wait_alu 0xfffe
	s_add_f32 s15, s33, s15
	s_delay_alu instid0(SALU_CYCLE_1) | instskip(SKIP_4) | instid1(SALU_CYCLE_2)
	s_sub_f32 s33, s33, s29
	s_sub_f32 s14, s14, s29
	s_wait_alu 0xfffe
	s_add_f32 s38, s42, s15
	s_sub_f32 s7, s7, s33
	s_sub_f32 s29, s38, s42
	s_wait_alu 0xfffe
	s_delay_alu instid0(SALU_CYCLE_1) | instskip(NEXT) | instid1(SALU_CYCLE_1)
	s_add_f32 s7, s14, s7
	s_sub_f32 s14, s15, s29
	s_wait_alu 0xfffe
	s_delay_alu instid0(SALU_CYCLE_2) | instskip(SKIP_1) | instid1(SALU_CYCLE_2)
	s_add_f32 s7, s7, s14
	s_wait_alu 0xfffe
	s_add_f32 s14, s38, s7
	s_wait_alu 0xfffe
	s_delay_alu instid0(SALU_CYCLE_2) | instskip(SKIP_2) | instid1(SALU_CYCLE_1)
	s_mul_f32 s15, s6, s14
	s_sub_f32 s29, s14, s38
	s_wait_alu 0xfffe
	s_xor_b32 s33, s15, 0x80000000
	s_delay_alu instid0(SALU_CYCLE_1) | instskip(SKIP_2) | instid1(SALU_CYCLE_2)
	s_sub_f32 s7, s7, s29
	s_fmac_f32 s33, s6, s14
	s_wait_alu 0xfffe
	s_fmac_f32 s33, s6, s7
	v_cmp_class_f32_e64 s7, s15, 0x204
	s_delay_alu instid0(SALU_CYCLE_2) | instskip(SKIP_2) | instid1(SALU_CYCLE_1)
	s_add_f32 s14, s15, s33
	s_and_b32 s7, s7, exec_lo
	s_wait_alu 0xfffe
	s_sub_f32 s7, s14, s15
	s_cselect_b32 s14, s15, s14
	s_wait_alu 0xfffe
	s_and_b32 s15, s14, 0x7fffffff
	s_sub_f32 s7, s33, s7
	s_wait_alu 0xfffe
	s_cmp_neq_f32 s15, 0x7f800000
	s_delay_alu instid0(SALU_CYCLE_1)
	s_cselect_b32 s7, s7, 0
	s_cmp_eq_f32 s14, 0x42b17218
	s_cselect_b32 s15, 0x37000000, 0
	s_wait_alu 0xfffe
	s_sub_f32 s14, s14, s15
	s_add_f32 s7, s15, s7
	s_wait_alu 0xfffe
	s_delay_alu instid0(SALU_CYCLE_1) | instskip(SKIP_1) | instid1(SALU_CYCLE_2)
	s_mul_f32 s29, s14, 0x3fb8aa3b
	s_wait_alu 0xfffe
	s_xor_b32 s33, s29, 0x80000000
	s_rndne_f32 s38, s29
	s_fmamk_f32 s33, s14, 0x3fb8aa3b, s33
	s_cmp_nlt_f32 s14, 0xc2ce8ed0
	s_delay_alu instid0(SALU_CYCLE_1) | instskip(NEXT) | instid1(SALU_CYCLE_1)
	s_sub_f32 s29, s29, s38
	s_fmamk_f32 s33, s14, 0x32a5705f, s33
	s_cselect_b32 vcc_lo, -1, 0
	s_cmp_ngt_f32 s14, 0x42b17218
	s_trunc_f32 s14, s6
	s_wait_alu 0xfffe
	s_add_f32 s29, s29, s33
	s_cvt_i32_f32 s33, s38
	s_wait_alu 0xfffe
	s_delay_alu instid0(SALU_CYCLE_1) | instskip(SKIP_1) | instid1(TRANS32_DEP_1)
	v_s_exp_f32 s29, s29
	s_wait_alu 0xf1ff
	v_ldexp_f32 v1, s29, s33
	s_mul_f32 s29, s6, 0.5
	s_delay_alu instid0(VALU_DEP_1)
	v_cndmask_b32_e32 v1, 0, v1, vcc_lo
	s_cselect_b32 vcc_lo, -1, 0
	s_cmp_eq_f32 s14, s6
	s_wait_alu 0xfffe
	s_trunc_f32 s33, s29
	v_cndmask_b32_e32 v1, 0x7f800000, v1, vcc_lo
	s_cselect_b32 s38, -1, 0
	s_wait_alu 0xfffe
	s_cmp_neq_f32 s33, s29
	s_delay_alu instid0(VALU_DEP_1)
	v_fma_f32 v2, s7, v1, v1
	v_cmp_class_f32_e64 vcc_lo, v1, 0x204
	s_cselect_b32 s15, -1, 0
	s_wait_alu 0xfffe
	s_and_b32 s7, s38, s15
	s_wait_alu 0xfffd
	v_cndmask_b32_e32 v1, v2, v1, vcc_lo
	s_wait_alu 0xfffe
	s_and_b32 s15, s7, exec_lo
	s_cselect_b32 s15, s5, 1.0
	s_cmp_eq_f32 s14, s6
	v_cmp_class_f32_e64 s14, s5, 0x204
	s_wait_alu 0xfffe
	v_bfi_b32 v1, 0x7fffffff, v1, s15
	s_cselect_b32 vcc_lo, -1, 0
	s_cmp_lt_f32 s5, 0
	s_wait_alu 0xfffe
	s_delay_alu instid0(VALU_DEP_1) | instskip(SKIP_3) | instid1(VALU_DEP_1)
	v_cndmask_b32_e32 v2, 0x7fc00000, v1, vcc_lo
	s_cselect_b32 vcc_lo, -1, 0
	s_cmp_eq_f32 s5, 0
	s_wait_alu 0xfffe
	v_cndmask_b32_e32 v1, v1, v2, vcc_lo
	s_cselect_b32 s15, -1, 0
	s_wait_alu 0xfffe
	s_or_b32 vcc_lo, s15, s14
	s_cmp_lt_f32 s6, 0
	s_cselect_b32 s6, -1, 0
	s_wait_alu 0xfffe
	s_xor_b32 s6, s6, s15
	s_wait_alu 0xfffe
	s_and_b32 s6, s6, exec_lo
	s_cselect_b32 s6, 0, 0x7f800000
	s_and_b32 s7, s7, exec_lo
	s_cselect_b32 s7, s5, 0
	s_cmp_o_f32 s5, s5
	s_wait_alu 0xfffe
	v_mov_b32_e32 v2, s7
	s_delay_alu instid0(VALU_DEP_1) | instskip(NEXT) | instid1(VALU_DEP_1)
	v_bfi_b32 v2, 0x7fffffff, s6, v2
	v_cndmask_b32_e32 v1, v1, v2, vcc_lo
	s_cselect_b32 vcc_lo, -1, 0
	s_wait_alu 0xfffe
	s_delay_alu instid0(VALU_DEP_1)
	v_cndmask_b32_e32 v37, 0x7fc00000, v1, vcc_lo
.LBB59_4:
	v_bfe_u32 v8, v0, 10, 10
	s_lshl_b32 s33, ttmp9, 4
	s_load_b96 s[44:46], s[0:1], 0x70
	v_and_b32_e32 v135, 0x3ff, v0
	s_ashr_i32 s29, s28, 31
	v_lshlrev_b32_e32 v169, 1, v8
	v_lshlrev_b32_e32 v137, 9, v8
	s_delay_alu instid0(VALU_DEP_3) | instskip(NEXT) | instid1(VALU_DEP_3)
	v_dual_mov_b32 v55, 0 :: v_dual_lshlrev_b32 v34, 3, v135
	v_or_b32_e32 v167, 1, v169
	s_delay_alu instid0(VALU_DEP_2) | instskip(NEXT) | instid1(VALU_DEP_2)
	v_add_nc_u32_e32 v8, 0x9800, v34
	v_add_nc_u32_e32 v168, s33, v167
	s_delay_alu instid0(VALU_DEP_2) | instskip(NEXT) | instid1(VALU_DEP_2)
	v_add_nc_u32_e32 v9, v8, v137
	v_mul_hi_u32 v2, v168, s24
	s_wait_kmcnt 0x0
	s_mul_i32 s6, s28, s45
	s_ashr_i32 s45, s44, 31
	s_wait_alu 0xfffe
	s_ashr_i32 s7, s6, 31
	s_lshr_b64 s[14:15], s[44:45], 2
	s_lshr_b32 s5, s45, 2
	v_add_nc_u32_e32 v2, v168, v2
	s_delay_alu instid0(VALU_DEP_1) | instskip(NEXT) | instid1(VALU_DEP_1)
	v_lshrrev_b32_e32 v2, s25, v2
	v_mul_lo_u32 v3, v2, s26
	s_delay_alu instid0(VALU_DEP_1) | instskip(SKIP_1) | instid1(VALU_DEP_1)
	v_sub_nc_u32_e32 v7, v168, v3
	s_wait_alu 0xfffe
	v_mad_co_u64_u32 v[3:4], null, s14, v7, 0
	v_add_nc_u32_e32 v171, s33, v169
	s_delay_alu instid0(VALU_DEP_1) | instskip(NEXT) | instid1(VALU_DEP_1)
	v_mul_hi_u32 v1, v171, s24
	v_add_nc_u32_e32 v1, v171, v1
	s_delay_alu instid0(VALU_DEP_1) | instskip(NEXT) | instid1(VALU_DEP_1)
	v_lshrrev_b32_e32 v1, s25, v1
	v_mul_lo_u32 v1, v1, s26
	s_delay_alu instid0(VALU_DEP_1) | instskip(NEXT) | instid1(VALU_DEP_1)
	v_sub_nc_u32_e32 v40, v171, v1
	v_mad_co_u64_u32 v[1:2], null, s14, v40, 0
	s_mul_i32 s14, s30, s46
	s_wait_alu 0xfffe
	s_ashr_i32 s15, s14, 31
	s_wait_alu 0xfffe
	s_add_nc_u64 s[8:9], s[8:9], s[14:15]
	s_ashr_i32 s15, s31, 31
	v_mov_b32_e32 v0, v2
	s_add_nc_u64 s[6:7], s[8:9], s[6:7]
	s_mul_u64 s[8:9], s[34:35], s[40:41]
	s_mov_b32 s31, 0
	s_cmp_eq_u64 s[18:19], 0
	v_mad_co_u64_u32 v[5:6], null, s5, v40, v[0:1]
	v_mov_b32_e32 v0, v4
	v_lshlrev_b32_e32 v6, 4, v135
	s_delay_alu instid0(VALU_DEP_3) | instskip(NEXT) | instid1(VALU_DEP_3)
	v_mov_b32_e32 v2, v5
	v_mad_co_u64_u32 v[4:5], null, s5, v7, v[0:1]
	s_wait_alu 0xfffe
	s_delay_alu instid0(VALU_DEP_3) | instskip(NEXT) | instid1(VALU_DEP_3)
	v_add_co_u32 v6, s5, s6, v6
	v_lshlrev_b64_e32 v[0:1], 2, v[1:2]
	s_wait_alu 0xf1ff
	v_add_co_ci_u32_e64 v7, null, s7, 0, s5
	s_delay_alu instid0(VALU_DEP_4) | instskip(NEXT) | instid1(VALU_DEP_3)
	v_lshlrev_b64_e32 v[4:5], 2, v[3:4]
	v_add_co_u32 v0, vcc_lo, v6, v0
	s_wait_alu 0xfffd
	s_delay_alu instid0(VALU_DEP_3) | instskip(NEXT) | instid1(VALU_DEP_3)
	v_add_co_ci_u32_e64 v1, null, v7, v1, vcc_lo
	v_add_co_u32 v4, vcc_lo, v6, v4
	s_wait_alu 0xfffd
	v_add_co_ci_u32_e64 v5, null, v7, v5, vcc_lo
	s_clause 0x1
	global_load_b128 v[0:3], v[0:1], off
	global_load_b128 v[4:7], v[4:5], off
	s_wait_loadcnt 0x1
	v_fma_mixlo_f16 v1, s4, v1, 0
	v_fma_mixlo_f16 v0, s4, v0, 0
	;; [unrolled: 1-line block ×3, first 2 shown]
	s_wait_loadcnt 0x0
	v_fma_mixlo_f16 v5, s4, v5, 0
	v_fma_mixlo_f16 v4, s4, v4, 0
	;; [unrolled: 1-line block ×3, first 2 shown]
	v_lshlrev_b32_e32 v1, 16, v1
	v_and_b32_e32 v0, 0xffff, v0
	v_fma_mixlo_f16 v6, s4, v6, 0
	v_fma_mixlo_f16 v7, s4, v7, 0
	v_lshlrev_b32_e32 v5, 16, v5
	v_and_b32_e32 v4, 0xffff, v4
	v_lshlrev_b32_e32 v3, 16, v3
	v_and_b32_e32 v2, 0xffff, v2
	v_or_b32_e32 v0, v1, v0
	v_lshlrev_b32_e32 v7, 16, v7
	v_and_b32_e32 v6, 0xffff, v6
	v_or_b32_e32 v4, v5, v4
	v_or3_b32 v1, v3, v2, 0
	v_or3_b32 v0, 0, 0, v0
	v_lshl_add_u32 v5, v167, 8, v8
	v_or3_b32 v3, v7, v6, 0
	v_or3_b32 v2, 0, 0, v4
	ds_store_b64 v9, v[0:1]
	ds_store_b64 v5, v[2:3]
	s_wait_dscnt 0x0
	s_barrier_signal -1
	s_barrier_wait -1
	global_inv scope:SCOPE_SE
	s_cbranch_scc1 .LBB59_6
; %bb.5:
	s_load_b32 s2, s[0:1], 0xd0
	s_mov_b32 s5, s31
	s_wait_kmcnt 0x0
	s_mul_i32 s2, s2, s30
	s_delay_alu instid0(SALU_CYCLE_1)
	s_add_co_i32 s4, s2, ttmp9
	s_wait_alu 0xfffe
	s_lshl_b64 s[4:5], s[4:5], 2
	s_wait_alu 0xfffe
	s_add_nc_u64 s[4:5], s[18:19], s[4:5]
	s_load_b32 s2, s[4:5], 0x0
.LBB59_6:
	s_clause 0x2
	s_load_b64 s[18:19], s[0:1], 0x8c
	s_load_b128 s[4:7], s[0:1], 0x98
	s_load_b64 s[40:41], s[0:1], 0xa8
	s_mul_i32 s8, s9, s3
	s_ashr_i32 s14, s39, 1
	s_sub_co_i32 s42, s34, s8
	s_xor_b32 s15, s29, s15
	s_add_co_i32 s35, s9, 1
	s_sub_co_i32 s43, s42, s3
	v_lshlrev_b32_e32 v170, 2, v135
	v_lshrrev_b32_e32 v43, 4, v135
	v_mul_u32_u24_e32 v41, 0x110, v135
	v_or_b32_e32 v39, 1, v171
	v_add_nc_u32_e32 v36, 0x8800, v137
	v_mbcnt_lo_u32_b32 v172, -1, 0
	v_and_b32_e32 v42, 60, v170
	s_wait_kmcnt 0x0
	s_ashr_i32 s8, s18, 2
	s_ashr_i32 s34, s6, 2
	s_cmp_ge_u32 s42, s3
	s_mul_u64 s[4:5], s[4:5], s[30:31]
	s_cselect_b32 s6, s35, s9
	s_cselect_b32 s9, s43, s42
	s_wait_alu 0xfffe
	s_add_co_i32 s18, s6, 1
	s_cmp_ge_u32 s9, s3
	s_mul_u64 s[38:39], s[40:41], s[30:31]
	s_cselect_b32 s3, s18, s6
	s_add_nc_u64 s[4:5], s[10:11], s[4:5]
	s_xor_b32 s6, s3, s15
	s_add_nc_u64 s[10:11], s[12:13], s[38:39]
	s_wait_alu 0xfffe
	s_sub_co_i32 s9, s6, s15
	s_and_b32 s18, ttmp7, 0xffff
	s_mul_i32 s6, s9, s19
	s_mul_i32 s12, s9, s7
	s_add_co_i32 s3, s2, 0xffffff80
	s_lshl_b32 s40, s18, 7
	s_wait_alu 0xfffe
	s_ashr_i32 s7, s6, 31
	s_ashr_i32 s13, s12, 31
	s_cmp_ge_i32 s40, s3
	s_wait_alu 0xfffe
	s_add_nc_u64 s[4:5], s[4:5], s[6:7]
	s_add_nc_u64 s[38:39], s[10:11], s[12:13]
	s_cbranch_scc1 .LBB59_27
; %bb.7:
	v_dual_mov_b32 v88, 0 :: v_dual_add_nc_u32 v1, v43, v169
	s_ashr_i32 s9, s8, 31
	s_lshl_b32 s6, s8, 4
	s_cmp_lg_u64 s[36:37], 0
	s_delay_alu instid0(VALU_DEP_1)
	v_mul_lo_u32 v0, s8, v1
	v_mul_lo_u32 v4, s34, v1
	s_cselect_b32 s10, -1, 0
	s_lshl_b32 s7, s34, 4
	v_mul_hi_u32 v5, s24, v39
	v_dual_mov_b32 v38, 0 :: v_dual_lshlrev_b32 v3, 2, v42
	v_mov_b32_e32 v68, 0xfeffffff
	s_wait_alu 0xfffe
	v_dual_mov_b32 v69, 0xfeffffff :: v_dual_add_nc_u32 v2, s6, v0
	v_add_nc_u32_e32 v20, s7, v4
	v_mad_u32_u24 v46, 0x110, v1, v3
	v_lshl_or_b32 v47, v1, 8, v3
	s_delay_alu instid0(VALU_DEP_4) | instskip(NEXT) | instid1(VALU_DEP_4)
	v_dual_mov_b32 v67, 0 :: v_dual_add_nc_u32 v6, s6, v2
	v_add_nc_u32_e32 v22, s7, v20
	v_add_nc_u32_e32 v1, v39, v5
	v_ashrrev_i32_e32 v5, 31, v4
	s_delay_alu instid0(VALU_DEP_4)
	v_add_nc_u32_e32 v8, s6, v6
	v_ashrrev_i32_e32 v3, 31, v2
	v_add_nc_u32_e32 v24, s7, v22
	v_lshrrev_b32_e32 v1, s25, v1
	v_ashrrev_i32_e32 v21, 31, v20
	v_add_nc_u32_e32 v10, s6, v8
	v_ashrrev_i32_e32 v9, 31, v8
	v_add_nc_u32_e32 v26, s7, v24
	v_mul_lo_u32 v7, v1, s26
	v_ashrrev_i32_e32 v1, 31, v0
	v_add_nc_u32_e32 v12, s6, v10
	v_ashrrev_i32_e32 v23, 31, v22
	v_add_nc_u32_e32 v28, s7, v26
	v_ashrrev_i32_e32 v25, 31, v24
	v_ashrrev_i32_e32 v27, 31, v26
	v_add_nc_u32_e32 v14, s6, v12
	v_sub_nc_u32_e32 v11, v39, v7
	v_add_nc_u32_e32 v30, s7, v28
	v_ashrrev_i32_e32 v7, 31, v6
	v_ashrrev_i32_e32 v13, 31, v12
	v_add_nc_u32_e32 v16, s6, v14
	v_mul_lo_u32 v57, v11, s14
	v_add_nc_u32_e32 v32, s7, v30
	v_ashrrev_i32_e32 v11, 31, v10
	v_ashrrev_i32_e32 v15, 31, v14
	;; [unrolled: 1-line block ×6, first 2 shown]
	v_mul_lo_u32 v45, v40, s14
	v_lshlrev_b64_e32 v[0:1], 2, v[0:1]
	v_lshlrev_b64_e32 v[2:3], 2, v[2:3]
	;; [unrolled: 1-line block ×16, first 2 shown]
	v_dual_mov_b32 v35, 0 :: v_dual_add_nc_u32 v44, 0x9800, v137
	v_dual_mov_b32 v89, 0 :: v_dual_add_nc_u32 v48, 0x1100, v46
	;; [unrolled: 1-line block ×3, first 2 shown]
	v_add_nc_u32_e32 v50, 0x3300, v46
	v_add_nc_u32_e32 v51, 0x4400, v46
	;; [unrolled: 1-line block ×12, first 2 shown]
	v_lshlrev_b32_e32 v64, 2, v42
	v_mbcnt_lo_u32_b32 v65, -1, 0
	s_ashr_i32 s35, s34, 31
	s_add_nc_u64 s[6:7], s[0:1], 0xd0
.LBB59_8:                               ; =>This Inner Loop Header: Depth=1
	s_ashr_i32 s41, s40, 31
	s_wait_alu 0xfffe
	s_mul_u64 s[12:13], s[40:41], s[8:9]
	s_wait_alu 0xfffe
	s_lshl_b64 s[12:13], s[12:13], 2
	s_wait_alu 0xfffe
	s_add_nc_u64 s[12:13], s[4:5], s[12:13]
	s_wait_alu 0xfffe
	v_add_co_u32 v4, vcc_lo, s12, v0
	s_wait_alu 0xfffd
	v_add_co_ci_u32_e64 v5, null, s13, v1, vcc_lo
	v_add_co_u32 v55, vcc_lo, s12, v2
	s_wait_alu 0xfffd
	v_add_co_ci_u32_e64 v70, null, s13, v3, vcc_lo
	;; [unrolled: 3-line block ×4, first 2 shown]
	s_clause 0x1
	global_load_b128 v[70:73], v[4:5], off
	global_load_b128 v[74:77], v[74:75], off
	v_add_co_u32 v4, vcc_lo, s12, v6
	s_wait_alu 0xfffd
	v_add_co_ci_u32_e64 v5, null, s13, v7, vcc_lo
	v_add_co_u32 v55, vcc_lo, s12, v8
	s_wait_alu 0xfffd
	v_add_co_ci_u32_e64 v78, null, s13, v9, vcc_lo
	;; [unrolled: 3-line block ×12, first 2 shown]
	s_clause 0x5
	global_load_b128 v[78:81], v[4:5], off
	global_load_b128 v[82:85], v[82:83], off
	;; [unrolled: 1-line block ×6, first 2 shown]
	v_mov_b32_e32 v55, 0
	s_and_not1_b32 vcc_lo, exec_lo, s10
	s_wait_loadcnt 0x7
	ds_store_b128 v46, v[70:73]
	s_wait_loadcnt 0x6
	ds_store_b128 v48, v[74:77]
	;; [unrolled: 2-line block ×8, first 2 shown]
	s_wait_dscnt 0x0
	s_barrier_signal -1
	s_barrier_wait -1
	global_inv scope:SCOPE_SE
	ds_load_b128 v[77:80], v41
	ds_load_b128 v[81:84], v44
	ds_load_b128 v[90:93], v44 offset:256
	ds_load_b128 v[94:97], v41 offset:8704
	v_dual_mov_b32 v73, 0 :: v_dual_mov_b32 v74, 0
	ds_load_b128 v[98:101], v41 offset:17408
	ds_load_b128 v[102:105], v41 offset:26112
	s_wait_dscnt 0x4
	;;#ASMSTART
	v_dot2_f32_f16 v73, v77, v81, v73
	;;#ASMEND
	;;#ASMSTART
	v_dot2_f32_f16 v73, v78, v82, v73
	;;#ASMEND
	;; [unrolled: 3-line block ×3, first 2 shown]
	v_mov_b32_e32 v70, 0
	;;#ASMSTART
	v_dot2_f32_f16 v73, v80, v84, v73
	;;#ASMEND
	s_wait_dscnt 0x3
	;;#ASMSTART
	v_dot2_f32_f16 v55, v77, v90, v55
	;;#ASMEND
	;;#ASMSTART
	v_dot2_f32_f16 v55, v78, v91, v55
	;;#ASMEND
	;;#ASMSTART
	v_dot2_f32_f16 v55, v79, v92, v55
	;;#ASMEND
	;;#ASMSTART
	v_dot2_f32_f16 v55, v80, v93, v55
	;;#ASMEND
	s_wait_dscnt 0x2
	;;#ASMSTART
	v_dot2_f32_f16 v74, v94, v81, v74
	;;#ASMEND
	;;#ASMSTART
	v_dot2_f32_f16 v74, v95, v82, v74
	;;#ASMEND
	;; [unrolled: 3-line block ×6, first 2 shown]
	v_dual_mov_b32 v75, 0 :: v_dual_mov_b32 v76, 0
	;;#ASMSTART
	v_dot2_f32_f16 v70, v96, v92, v70
	;;#ASMEND
	;;#ASMSTART
	v_dot2_f32_f16 v70, v97, v93, v70
	;;#ASMEND
	s_wait_dscnt 0x1
	;;#ASMSTART
	v_dot2_f32_f16 v75, v98, v81, v75
	;;#ASMEND
	;;#ASMSTART
	v_dot2_f32_f16 v75, v99, v82, v75
	;;#ASMEND
	v_dual_mov_b32 v71, 0 :: v_dual_mov_b32 v72, 0
	;;#ASMSTART
	v_dot2_f32_f16 v75, v100, v83, v75
	;;#ASMEND
	;;#ASMSTART
	v_dot2_f32_f16 v75, v101, v84, v75
	;;#ASMEND
	;; [unrolled: 3-line block ×6, first 2 shown]
	s_wait_dscnt 0x0
	;;#ASMSTART
	v_dot2_f32_f16 v76, v102, v81, v76
	;;#ASMEND
	;;#ASMSTART
	v_dot2_f32_f16 v76, v103, v82, v76
	;;#ASMEND
	;; [unrolled: 3-line block ×8, first 2 shown]
	ds_load_b128 v[77:80], v41 offset:16
	ds_load_b128 v[81:84], v44 offset:16
	;; [unrolled: 1-line block ×6, first 2 shown]
	s_wait_dscnt 0x4
	;;#ASMSTART
	v_dot2_f32_f16 v73, v77, v81, v73
	;;#ASMEND
	;;#ASMSTART
	v_dot2_f32_f16 v73, v78, v82, v73
	;;#ASMEND
	;;#ASMSTART
	v_dot2_f32_f16 v73, v79, v83, v73
	;;#ASMEND
	;;#ASMSTART
	v_dot2_f32_f16 v73, v80, v84, v73
	;;#ASMEND
	s_wait_dscnt 0x3
	;;#ASMSTART
	v_dot2_f32_f16 v55, v77, v90, v55
	;;#ASMEND
	;;#ASMSTART
	v_dot2_f32_f16 v55, v78, v91, v55
	;;#ASMEND
	;;#ASMSTART
	v_dot2_f32_f16 v55, v79, v92, v55
	;;#ASMEND
	;;#ASMSTART
	v_dot2_f32_f16 v55, v80, v93, v55
	;;#ASMEND
	;; [unrolled: 13-line block ×3, first 2 shown]
	;;#ASMSTART
	v_dot2_f32_f16 v70, v94, v90, v70
	;;#ASMEND
	;;#ASMSTART
	v_dot2_f32_f16 v70, v95, v91, v70
	;;#ASMEND
	;; [unrolled: 3-line block ×4, first 2 shown]
	s_wait_dscnt 0x1
	;;#ASMSTART
	v_dot2_f32_f16 v75, v98, v81, v75
	;;#ASMEND
	;;#ASMSTART
	v_dot2_f32_f16 v75, v99, v82, v75
	;;#ASMEND
	;;#ASMSTART
	v_dot2_f32_f16 v75, v100, v83, v75
	;;#ASMEND
	;;#ASMSTART
	v_dot2_f32_f16 v75, v101, v84, v75
	;;#ASMEND
	;;#ASMSTART
	v_dot2_f32_f16 v71, v98, v90, v71
	;;#ASMEND
	;;#ASMSTART
	v_dot2_f32_f16 v71, v99, v91, v71
	;;#ASMEND
	;;#ASMSTART
	v_dot2_f32_f16 v71, v100, v92, v71
	;;#ASMEND
	;;#ASMSTART
	v_dot2_f32_f16 v71, v101, v93, v71
	;;#ASMEND
	s_wait_dscnt 0x0
	;;#ASMSTART
	v_dot2_f32_f16 v76, v102, v81, v76
	;;#ASMEND
	;;#ASMSTART
	v_dot2_f32_f16 v76, v103, v82, v76
	;;#ASMEND
	;; [unrolled: 3-line block ×8, first 2 shown]
	ds_load_b128 v[77:80], v41 offset:32
	ds_load_b128 v[81:84], v44 offset:32
	;; [unrolled: 1-line block ×6, first 2 shown]
	s_wait_dscnt 0x4
	;;#ASMSTART
	v_dot2_f32_f16 v73, v77, v81, v73
	;;#ASMEND
	;;#ASMSTART
	v_dot2_f32_f16 v73, v78, v82, v73
	;;#ASMEND
	;;#ASMSTART
	v_dot2_f32_f16 v73, v79, v83, v73
	;;#ASMEND
	;;#ASMSTART
	v_dot2_f32_f16 v73, v80, v84, v73
	;;#ASMEND
	s_wait_dscnt 0x3
	;;#ASMSTART
	v_dot2_f32_f16 v55, v77, v90, v55
	;;#ASMEND
	;;#ASMSTART
	v_dot2_f32_f16 v55, v78, v91, v55
	;;#ASMEND
	;;#ASMSTART
	v_dot2_f32_f16 v55, v79, v92, v55
	;;#ASMEND
	;;#ASMSTART
	v_dot2_f32_f16 v55, v80, v93, v55
	;;#ASMEND
	;; [unrolled: 13-line block ×3, first 2 shown]
	;;#ASMSTART
	v_dot2_f32_f16 v70, v94, v90, v70
	;;#ASMEND
	;;#ASMSTART
	v_dot2_f32_f16 v70, v95, v91, v70
	;;#ASMEND
	;;#ASMSTART
	v_dot2_f32_f16 v70, v96, v92, v70
	;;#ASMEND
	;;#ASMSTART
	v_dot2_f32_f16 v70, v97, v93, v70
	;;#ASMEND
	s_wait_dscnt 0x1
	;;#ASMSTART
	v_dot2_f32_f16 v75, v98, v81, v75
	;;#ASMEND
	;;#ASMSTART
	v_dot2_f32_f16 v75, v99, v82, v75
	;;#ASMEND
	;; [unrolled: 3-line block ×8, first 2 shown]
	s_wait_dscnt 0x0
	;;#ASMSTART
	v_dot2_f32_f16 v76, v102, v81, v76
	;;#ASMEND
	;;#ASMSTART
	v_dot2_f32_f16 v76, v103, v82, v76
	;;#ASMEND
	;; [unrolled: 3-line block ×8, first 2 shown]
	ds_load_b128 v[77:80], v41 offset:48
	ds_load_b128 v[81:84], v44 offset:48
	;; [unrolled: 1-line block ×6, first 2 shown]
	s_wait_dscnt 0x4
	;;#ASMSTART
	v_dot2_f32_f16 v73, v77, v81, v73
	;;#ASMEND
	;;#ASMSTART
	v_dot2_f32_f16 v73, v78, v82, v73
	;;#ASMEND
	;;#ASMSTART
	v_dot2_f32_f16 v73, v79, v83, v73
	;;#ASMEND
	;;#ASMSTART
	v_dot2_f32_f16 v73, v80, v84, v73
	;;#ASMEND
	s_wait_dscnt 0x3
	;;#ASMSTART
	v_dot2_f32_f16 v55, v77, v90, v55
	;;#ASMEND
	;;#ASMSTART
	v_dot2_f32_f16 v55, v78, v91, v55
	;;#ASMEND
	;;#ASMSTART
	v_dot2_f32_f16 v55, v79, v92, v55
	;;#ASMEND
	;;#ASMSTART
	v_dot2_f32_f16 v55, v80, v93, v55
	;;#ASMEND
	;; [unrolled: 13-line block ×3, first 2 shown]
	;;#ASMSTART
	v_dot2_f32_f16 v70, v94, v90, v70
	;;#ASMEND
	;;#ASMSTART
	v_dot2_f32_f16 v70, v95, v91, v70
	;;#ASMEND
	;; [unrolled: 3-line block ×4, first 2 shown]
	s_wait_dscnt 0x1
	;;#ASMSTART
	v_dot2_f32_f16 v75, v98, v81, v75
	;;#ASMEND
	;;#ASMSTART
	v_dot2_f32_f16 v75, v99, v82, v75
	;;#ASMEND
	;; [unrolled: 3-line block ×8, first 2 shown]
	s_wait_dscnt 0x0
	;;#ASMSTART
	v_dot2_f32_f16 v76, v102, v81, v76
	;;#ASMEND
	;;#ASMSTART
	v_dot2_f32_f16 v76, v103, v82, v76
	;;#ASMEND
	;; [unrolled: 3-line block ×8, first 2 shown]
	ds_load_b128 v[77:80], v41 offset:64
	ds_load_b128 v[81:84], v44 offset:64
	;; [unrolled: 1-line block ×6, first 2 shown]
	s_wait_dscnt 0x4
	;;#ASMSTART
	v_dot2_f32_f16 v73, v77, v81, v73
	;;#ASMEND
	;;#ASMSTART
	v_dot2_f32_f16 v73, v78, v82, v73
	;;#ASMEND
	;;#ASMSTART
	v_dot2_f32_f16 v73, v79, v83, v73
	;;#ASMEND
	;;#ASMSTART
	v_dot2_f32_f16 v73, v80, v84, v73
	;;#ASMEND
	s_wait_dscnt 0x3
	;;#ASMSTART
	v_dot2_f32_f16 v55, v77, v90, v55
	;;#ASMEND
	;;#ASMSTART
	v_dot2_f32_f16 v55, v78, v91, v55
	;;#ASMEND
	;;#ASMSTART
	v_dot2_f32_f16 v55, v79, v92, v55
	;;#ASMEND
	;;#ASMSTART
	v_dot2_f32_f16 v55, v80, v93, v55
	;;#ASMEND
	;; [unrolled: 13-line block ×3, first 2 shown]
	;;#ASMSTART
	v_dot2_f32_f16 v70, v94, v90, v70
	;;#ASMEND
	;;#ASMSTART
	v_dot2_f32_f16 v70, v95, v91, v70
	;;#ASMEND
	;;#ASMSTART
	v_dot2_f32_f16 v70, v96, v92, v70
	;;#ASMEND
	;;#ASMSTART
	v_dot2_f32_f16 v70, v97, v93, v70
	;;#ASMEND
	s_wait_dscnt 0x1
	;;#ASMSTART
	v_dot2_f32_f16 v75, v98, v81, v75
	;;#ASMEND
	;;#ASMSTART
	v_dot2_f32_f16 v75, v99, v82, v75
	;;#ASMEND
	;; [unrolled: 3-line block ×8, first 2 shown]
	s_wait_dscnt 0x0
	;;#ASMSTART
	v_dot2_f32_f16 v76, v102, v81, v76
	;;#ASMEND
	;;#ASMSTART
	v_dot2_f32_f16 v76, v103, v82, v76
	;;#ASMEND
	;; [unrolled: 3-line block ×8, first 2 shown]
	ds_load_b128 v[77:80], v41 offset:80
	ds_load_b128 v[81:84], v44 offset:80
	;; [unrolled: 1-line block ×6, first 2 shown]
	s_wait_dscnt 0x4
	;;#ASMSTART
	v_dot2_f32_f16 v73, v77, v81, v73
	;;#ASMEND
	;;#ASMSTART
	v_dot2_f32_f16 v73, v78, v82, v73
	;;#ASMEND
	;;#ASMSTART
	v_dot2_f32_f16 v73, v79, v83, v73
	;;#ASMEND
	;;#ASMSTART
	v_dot2_f32_f16 v73, v80, v84, v73
	;;#ASMEND
	s_wait_dscnt 0x3
	;;#ASMSTART
	v_dot2_f32_f16 v55, v77, v90, v55
	;;#ASMEND
	;;#ASMSTART
	v_dot2_f32_f16 v55, v78, v91, v55
	;;#ASMEND
	;;#ASMSTART
	v_dot2_f32_f16 v55, v79, v92, v55
	;;#ASMEND
	;;#ASMSTART
	v_dot2_f32_f16 v55, v80, v93, v55
	;;#ASMEND
	;; [unrolled: 13-line block ×3, first 2 shown]
	;;#ASMSTART
	v_dot2_f32_f16 v70, v94, v90, v70
	;;#ASMEND
	;;#ASMSTART
	v_dot2_f32_f16 v70, v95, v91, v70
	;;#ASMEND
	;; [unrolled: 3-line block ×4, first 2 shown]
	s_wait_dscnt 0x1
	;;#ASMSTART
	v_dot2_f32_f16 v75, v98, v81, v75
	;;#ASMEND
	;;#ASMSTART
	v_dot2_f32_f16 v75, v99, v82, v75
	;;#ASMEND
	;; [unrolled: 3-line block ×8, first 2 shown]
	s_wait_dscnt 0x0
	;;#ASMSTART
	v_dot2_f32_f16 v76, v102, v81, v76
	;;#ASMEND
	;;#ASMSTART
	v_dot2_f32_f16 v76, v103, v82, v76
	;;#ASMEND
	;; [unrolled: 3-line block ×8, first 2 shown]
	ds_load_b128 v[77:80], v41 offset:96
	ds_load_b128 v[81:84], v44 offset:96
	;; [unrolled: 1-line block ×6, first 2 shown]
	s_wait_dscnt 0x4
	;;#ASMSTART
	v_dot2_f32_f16 v73, v77, v81, v73
	;;#ASMEND
	;;#ASMSTART
	v_dot2_f32_f16 v73, v78, v82, v73
	;;#ASMEND
	;;#ASMSTART
	v_dot2_f32_f16 v73, v79, v83, v73
	;;#ASMEND
	;;#ASMSTART
	v_dot2_f32_f16 v73, v80, v84, v73
	;;#ASMEND
	s_wait_dscnt 0x3
	;;#ASMSTART
	v_dot2_f32_f16 v55, v77, v90, v55
	;;#ASMEND
	;;#ASMSTART
	v_dot2_f32_f16 v55, v78, v91, v55
	;;#ASMEND
	;;#ASMSTART
	v_dot2_f32_f16 v55, v79, v92, v55
	;;#ASMEND
	;;#ASMSTART
	v_dot2_f32_f16 v55, v80, v93, v55
	;;#ASMEND
	;; [unrolled: 13-line block ×3, first 2 shown]
	;;#ASMSTART
	v_dot2_f32_f16 v70, v94, v90, v70
	;;#ASMEND
	;;#ASMSTART
	v_dot2_f32_f16 v70, v95, v91, v70
	;;#ASMEND
	;;#ASMSTART
	v_dot2_f32_f16 v70, v96, v92, v70
	;;#ASMEND
	;;#ASMSTART
	v_dot2_f32_f16 v70, v97, v93, v70
	;;#ASMEND
	s_wait_dscnt 0x1
	;;#ASMSTART
	v_dot2_f32_f16 v75, v98, v81, v75
	;;#ASMEND
	;;#ASMSTART
	v_dot2_f32_f16 v75, v99, v82, v75
	;;#ASMEND
	;; [unrolled: 3-line block ×8, first 2 shown]
	s_wait_dscnt 0x0
	;;#ASMSTART
	v_dot2_f32_f16 v76, v102, v81, v76
	;;#ASMEND
	;;#ASMSTART
	v_dot2_f32_f16 v76, v103, v82, v76
	;;#ASMEND
	;; [unrolled: 3-line block ×8, first 2 shown]
	ds_load_b128 v[77:80], v41 offset:112
	ds_load_b128 v[81:84], v44 offset:112
	;; [unrolled: 1-line block ×6, first 2 shown]
	s_wait_dscnt 0x4
	;;#ASMSTART
	v_dot2_f32_f16 v73, v77, v81, v73
	;;#ASMEND
	;;#ASMSTART
	v_dot2_f32_f16 v73, v78, v82, v73
	;;#ASMEND
	;;#ASMSTART
	v_dot2_f32_f16 v73, v79, v83, v73
	;;#ASMEND
	;;#ASMSTART
	v_dot2_f32_f16 v73, v80, v84, v73
	;;#ASMEND
	s_wait_dscnt 0x3
	;;#ASMSTART
	v_dot2_f32_f16 v55, v77, v90, v55
	;;#ASMEND
	;;#ASMSTART
	v_dot2_f32_f16 v55, v78, v91, v55
	;;#ASMEND
	;;#ASMSTART
	v_dot2_f32_f16 v55, v79, v92, v55
	;;#ASMEND
	;;#ASMSTART
	v_dot2_f32_f16 v55, v80, v93, v55
	;;#ASMEND
	;; [unrolled: 13-line block ×3, first 2 shown]
	;;#ASMSTART
	v_dot2_f32_f16 v70, v94, v90, v70
	;;#ASMEND
	;;#ASMSTART
	v_dot2_f32_f16 v70, v95, v91, v70
	;;#ASMEND
	;; [unrolled: 3-line block ×4, first 2 shown]
	s_wait_dscnt 0x1
	;;#ASMSTART
	v_dot2_f32_f16 v75, v98, v81, v75
	;;#ASMEND
	;;#ASMSTART
	v_dot2_f32_f16 v75, v99, v82, v75
	;;#ASMEND
	;; [unrolled: 3-line block ×8, first 2 shown]
	s_wait_dscnt 0x0
	;;#ASMSTART
	v_dot2_f32_f16 v76, v102, v81, v76
	;;#ASMEND
	;;#ASMSTART
	v_dot2_f32_f16 v76, v103, v82, v76
	;;#ASMEND
	;; [unrolled: 3-line block ×8, first 2 shown]
	ds_load_b128 v[77:80], v41 offset:128
	ds_load_b128 v[81:84], v44 offset:128
	;; [unrolled: 1-line block ×6, first 2 shown]
	s_wait_dscnt 0x4
	;;#ASMSTART
	v_dot2_f32_f16 v73, v77, v81, v73
	;;#ASMEND
	;;#ASMSTART
	v_dot2_f32_f16 v73, v78, v82, v73
	;;#ASMEND
	;;#ASMSTART
	v_dot2_f32_f16 v73, v79, v83, v73
	;;#ASMEND
	;;#ASMSTART
	v_dot2_f32_f16 v73, v80, v84, v73
	;;#ASMEND
	s_wait_dscnt 0x3
	;;#ASMSTART
	v_dot2_f32_f16 v55, v77, v90, v55
	;;#ASMEND
	;;#ASMSTART
	v_dot2_f32_f16 v55, v78, v91, v55
	;;#ASMEND
	;;#ASMSTART
	v_dot2_f32_f16 v55, v79, v92, v55
	;;#ASMEND
	;;#ASMSTART
	v_dot2_f32_f16 v55, v80, v93, v55
	;;#ASMEND
	;; [unrolled: 13-line block ×3, first 2 shown]
	;;#ASMSTART
	v_dot2_f32_f16 v70, v94, v90, v70
	;;#ASMEND
	;;#ASMSTART
	v_dot2_f32_f16 v70, v95, v91, v70
	;;#ASMEND
	;; [unrolled: 3-line block ×4, first 2 shown]
	s_wait_dscnt 0x1
	;;#ASMSTART
	v_dot2_f32_f16 v75, v98, v81, v75
	;;#ASMEND
	;;#ASMSTART
	v_dot2_f32_f16 v75, v99, v82, v75
	;;#ASMEND
	;; [unrolled: 3-line block ×8, first 2 shown]
	s_wait_dscnt 0x0
	;;#ASMSTART
	v_dot2_f32_f16 v76, v102, v81, v76
	;;#ASMEND
	;;#ASMSTART
	v_dot2_f32_f16 v76, v103, v82, v76
	;;#ASMEND
	;; [unrolled: 3-line block ×8, first 2 shown]
	ds_load_b128 v[77:80], v41 offset:144
	ds_load_b128 v[81:84], v44 offset:144
	;; [unrolled: 1-line block ×6, first 2 shown]
	s_wait_dscnt 0x4
	;;#ASMSTART
	v_dot2_f32_f16 v73, v77, v81, v73
	;;#ASMEND
	;;#ASMSTART
	v_dot2_f32_f16 v73, v78, v82, v73
	;;#ASMEND
	;;#ASMSTART
	v_dot2_f32_f16 v73, v79, v83, v73
	;;#ASMEND
	;;#ASMSTART
	v_dot2_f32_f16 v73, v80, v84, v73
	;;#ASMEND
	s_wait_dscnt 0x3
	;;#ASMSTART
	v_dot2_f32_f16 v55, v77, v90, v55
	;;#ASMEND
	;;#ASMSTART
	v_dot2_f32_f16 v55, v78, v91, v55
	;;#ASMEND
	;;#ASMSTART
	v_dot2_f32_f16 v55, v79, v92, v55
	;;#ASMEND
	;;#ASMSTART
	v_dot2_f32_f16 v55, v80, v93, v55
	;;#ASMEND
	;; [unrolled: 13-line block ×3, first 2 shown]
	;;#ASMSTART
	v_dot2_f32_f16 v70, v94, v90, v70
	;;#ASMEND
	;;#ASMSTART
	v_dot2_f32_f16 v70, v95, v91, v70
	;;#ASMEND
	;; [unrolled: 3-line block ×4, first 2 shown]
	s_wait_dscnt 0x1
	;;#ASMSTART
	v_dot2_f32_f16 v75, v98, v81, v75
	;;#ASMEND
	;;#ASMSTART
	v_dot2_f32_f16 v75, v99, v82, v75
	;;#ASMEND
	;; [unrolled: 3-line block ×8, first 2 shown]
	s_wait_dscnt 0x0
	;;#ASMSTART
	v_dot2_f32_f16 v76, v102, v81, v76
	;;#ASMEND
	;;#ASMSTART
	v_dot2_f32_f16 v76, v103, v82, v76
	;;#ASMEND
	;; [unrolled: 3-line block ×8, first 2 shown]
	ds_load_b128 v[77:80], v41 offset:160
	ds_load_b128 v[81:84], v44 offset:160
	;; [unrolled: 1-line block ×6, first 2 shown]
	s_wait_dscnt 0x4
	;;#ASMSTART
	v_dot2_f32_f16 v73, v77, v81, v73
	;;#ASMEND
	;;#ASMSTART
	v_dot2_f32_f16 v73, v78, v82, v73
	;;#ASMEND
	;;#ASMSTART
	v_dot2_f32_f16 v73, v79, v83, v73
	;;#ASMEND
	;;#ASMSTART
	v_dot2_f32_f16 v73, v80, v84, v73
	;;#ASMEND
	s_wait_dscnt 0x3
	;;#ASMSTART
	v_dot2_f32_f16 v55, v77, v90, v55
	;;#ASMEND
	;;#ASMSTART
	v_dot2_f32_f16 v55, v78, v91, v55
	;;#ASMEND
	;;#ASMSTART
	v_dot2_f32_f16 v55, v79, v92, v55
	;;#ASMEND
	;;#ASMSTART
	v_dot2_f32_f16 v55, v80, v93, v55
	;;#ASMEND
	s_wait_dscnt 0x2
	;;#ASMSTART
	v_dot2_f32_f16 v74, v94, v81, v74
	;;#ASMEND
	;;#ASMSTART
	v_dot2_f32_f16 v74, v95, v82, v74
	;;#ASMEND
	;;#ASMSTART
	v_dot2_f32_f16 v74, v96, v83, v74
	;;#ASMEND
	;;#ASMSTART
	v_dot2_f32_f16 v74, v97, v84, v74
	;;#ASMEND
	;;#ASMSTART
	v_dot2_f32_f16 v70, v94, v90, v70
	;;#ASMEND
	;;#ASMSTART
	v_dot2_f32_f16 v70, v95, v91, v70
	;;#ASMEND
	;; [unrolled: 3-line block ×4, first 2 shown]
	s_wait_dscnt 0x1
	;;#ASMSTART
	v_dot2_f32_f16 v75, v98, v81, v75
	;;#ASMEND
	;;#ASMSTART
	v_dot2_f32_f16 v75, v99, v82, v75
	;;#ASMEND
	;; [unrolled: 3-line block ×8, first 2 shown]
	s_wait_dscnt 0x0
	;;#ASMSTART
	v_dot2_f32_f16 v76, v102, v81, v76
	;;#ASMEND
	;;#ASMSTART
	v_dot2_f32_f16 v76, v103, v82, v76
	;;#ASMEND
	;; [unrolled: 3-line block ×8, first 2 shown]
	ds_load_b128 v[77:80], v41 offset:176
	ds_load_b128 v[81:84], v44 offset:176
	;; [unrolled: 1-line block ×6, first 2 shown]
	s_wait_dscnt 0x4
	;;#ASMSTART
	v_dot2_f32_f16 v73, v77, v81, v73
	;;#ASMEND
	;;#ASMSTART
	v_dot2_f32_f16 v73, v78, v82, v73
	;;#ASMEND
	;;#ASMSTART
	v_dot2_f32_f16 v73, v79, v83, v73
	;;#ASMEND
	;;#ASMSTART
	v_dot2_f32_f16 v73, v80, v84, v73
	;;#ASMEND
	s_wait_dscnt 0x3
	;;#ASMSTART
	v_dot2_f32_f16 v55, v77, v90, v55
	;;#ASMEND
	;;#ASMSTART
	v_dot2_f32_f16 v55, v78, v91, v55
	;;#ASMEND
	;;#ASMSTART
	v_dot2_f32_f16 v55, v79, v92, v55
	;;#ASMEND
	;;#ASMSTART
	v_dot2_f32_f16 v55, v80, v93, v55
	;;#ASMEND
	;; [unrolled: 13-line block ×3, first 2 shown]
	;;#ASMSTART
	v_dot2_f32_f16 v70, v94, v90, v70
	;;#ASMEND
	;;#ASMSTART
	v_dot2_f32_f16 v70, v95, v91, v70
	;;#ASMEND
	;; [unrolled: 3-line block ×4, first 2 shown]
	s_wait_dscnt 0x1
	;;#ASMSTART
	v_dot2_f32_f16 v75, v98, v81, v75
	;;#ASMEND
	;;#ASMSTART
	v_dot2_f32_f16 v75, v99, v82, v75
	;;#ASMEND
	;; [unrolled: 3-line block ×8, first 2 shown]
	s_wait_dscnt 0x0
	;;#ASMSTART
	v_dot2_f32_f16 v76, v102, v81, v76
	;;#ASMEND
	;;#ASMSTART
	v_dot2_f32_f16 v76, v103, v82, v76
	;;#ASMEND
	;; [unrolled: 3-line block ×8, first 2 shown]
	ds_load_b128 v[77:80], v41 offset:192
	ds_load_b128 v[81:84], v44 offset:192
	ds_load_b128 v[90:93], v44 offset:448
	ds_load_b128 v[94:97], v41 offset:8896
	ds_load_b128 v[98:101], v41 offset:17600
	ds_load_b128 v[102:105], v41 offset:26304
	s_wait_dscnt 0x4
	;;#ASMSTART
	v_dot2_f32_f16 v73, v77, v81, v73
	;;#ASMEND
	;;#ASMSTART
	v_dot2_f32_f16 v73, v78, v82, v73
	;;#ASMEND
	;;#ASMSTART
	v_dot2_f32_f16 v73, v79, v83, v73
	;;#ASMEND
	;;#ASMSTART
	v_dot2_f32_f16 v73, v80, v84, v73
	;;#ASMEND
	s_wait_dscnt 0x3
	;;#ASMSTART
	v_dot2_f32_f16 v55, v77, v90, v55
	;;#ASMEND
	;;#ASMSTART
	v_dot2_f32_f16 v55, v78, v91, v55
	;;#ASMEND
	;;#ASMSTART
	v_dot2_f32_f16 v55, v79, v92, v55
	;;#ASMEND
	;;#ASMSTART
	v_dot2_f32_f16 v55, v80, v93, v55
	;;#ASMEND
	s_wait_dscnt 0x2
	;;#ASMSTART
	v_dot2_f32_f16 v74, v94, v81, v74
	;;#ASMEND
	;;#ASMSTART
	v_dot2_f32_f16 v74, v95, v82, v74
	;;#ASMEND
	;;#ASMSTART
	v_dot2_f32_f16 v74, v96, v83, v74
	;;#ASMEND
	;;#ASMSTART
	v_dot2_f32_f16 v74, v97, v84, v74
	;;#ASMEND
	;;#ASMSTART
	v_dot2_f32_f16 v70, v94, v90, v70
	;;#ASMEND
	;;#ASMSTART
	v_dot2_f32_f16 v70, v95, v91, v70
	;;#ASMEND
	;; [unrolled: 3-line block ×4, first 2 shown]
	s_wait_dscnt 0x1
	;;#ASMSTART
	v_dot2_f32_f16 v75, v98, v81, v75
	;;#ASMEND
	;;#ASMSTART
	v_dot2_f32_f16 v75, v99, v82, v75
	;;#ASMEND
	;;#ASMSTART
	v_dot2_f32_f16 v75, v100, v83, v75
	;;#ASMEND
	;;#ASMSTART
	v_dot2_f32_f16 v75, v101, v84, v75
	;;#ASMEND
	;;#ASMSTART
	v_dot2_f32_f16 v71, v98, v90, v71
	;;#ASMEND
	;;#ASMSTART
	v_dot2_f32_f16 v71, v99, v91, v71
	;;#ASMEND
	;;#ASMSTART
	v_dot2_f32_f16 v71, v100, v92, v71
	;;#ASMEND
	;;#ASMSTART
	v_dot2_f32_f16 v71, v101, v93, v71
	;;#ASMEND
	s_wait_dscnt 0x0
	;;#ASMSTART
	v_dot2_f32_f16 v76, v102, v81, v76
	;;#ASMEND
	;;#ASMSTART
	v_dot2_f32_f16 v76, v103, v82, v76
	;;#ASMEND
	;; [unrolled: 3-line block ×8, first 2 shown]
	ds_load_b128 v[77:80], v41 offset:208
	ds_load_b128 v[81:84], v44 offset:208
	;; [unrolled: 1-line block ×6, first 2 shown]
	s_wait_dscnt 0x4
	;;#ASMSTART
	v_dot2_f32_f16 v73, v77, v81, v73
	;;#ASMEND
	;;#ASMSTART
	v_dot2_f32_f16 v73, v78, v82, v73
	;;#ASMEND
	;;#ASMSTART
	v_dot2_f32_f16 v73, v79, v83, v73
	;;#ASMEND
	;;#ASMSTART
	v_dot2_f32_f16 v73, v80, v84, v73
	;;#ASMEND
	s_wait_dscnt 0x3
	;;#ASMSTART
	v_dot2_f32_f16 v55, v77, v90, v55
	;;#ASMEND
	;;#ASMSTART
	v_dot2_f32_f16 v55, v78, v91, v55
	;;#ASMEND
	;;#ASMSTART
	v_dot2_f32_f16 v55, v79, v92, v55
	;;#ASMEND
	;;#ASMSTART
	v_dot2_f32_f16 v55, v80, v93, v55
	;;#ASMEND
	;; [unrolled: 13-line block ×3, first 2 shown]
	;;#ASMSTART
	v_dot2_f32_f16 v70, v94, v90, v70
	;;#ASMEND
	;;#ASMSTART
	v_dot2_f32_f16 v70, v95, v91, v70
	;;#ASMEND
	;; [unrolled: 3-line block ×4, first 2 shown]
	s_wait_dscnt 0x1
	;;#ASMSTART
	v_dot2_f32_f16 v75, v98, v81, v75
	;;#ASMEND
	;;#ASMSTART
	v_dot2_f32_f16 v75, v99, v82, v75
	;;#ASMEND
	;; [unrolled: 3-line block ×8, first 2 shown]
	s_wait_dscnt 0x0
	;;#ASMSTART
	v_dot2_f32_f16 v76, v102, v81, v76
	;;#ASMEND
	;;#ASMSTART
	v_dot2_f32_f16 v76, v103, v82, v76
	;;#ASMEND
	;;#ASMSTART
	v_dot2_f32_f16 v76, v104, v83, v76
	;;#ASMEND
	;;#ASMSTART
	v_dot2_f32_f16 v76, v105, v84, v76
	;;#ASMEND
	;;#ASMSTART
	v_dot2_f32_f16 v72, v102, v90, v72
	;;#ASMEND
	;;#ASMSTART
	v_dot2_f32_f16 v72, v103, v91, v72
	;;#ASMEND
	;;#ASMSTART
	v_dot2_f32_f16 v72, v104, v92, v72
	;;#ASMEND
	;;#ASMSTART
	v_dot2_f32_f16 v72, v105, v93, v72
	;;#ASMEND
	ds_load_b128 v[77:80], v41 offset:224
	ds_load_b128 v[81:84], v44 offset:224
	;; [unrolled: 1-line block ×6, first 2 shown]
	s_wait_dscnt 0x4
	;;#ASMSTART
	v_dot2_f32_f16 v73, v77, v81, v73
	;;#ASMEND
	;;#ASMSTART
	v_dot2_f32_f16 v73, v78, v82, v73
	;;#ASMEND
	;;#ASMSTART
	v_dot2_f32_f16 v73, v79, v83, v73
	;;#ASMEND
	;;#ASMSTART
	v_dot2_f32_f16 v73, v80, v84, v73
	;;#ASMEND
	s_wait_dscnt 0x3
	;;#ASMSTART
	v_dot2_f32_f16 v55, v77, v90, v55
	;;#ASMEND
	;;#ASMSTART
	v_dot2_f32_f16 v55, v78, v91, v55
	;;#ASMEND
	;;#ASMSTART
	v_dot2_f32_f16 v55, v79, v92, v55
	;;#ASMEND
	;;#ASMSTART
	v_dot2_f32_f16 v55, v80, v93, v55
	;;#ASMEND
	s_wait_dscnt 0x2
	;;#ASMSTART
	v_dot2_f32_f16 v74, v94, v81, v74
	;;#ASMEND
	;;#ASMSTART
	v_dot2_f32_f16 v74, v95, v82, v74
	;;#ASMEND
	;;#ASMSTART
	v_dot2_f32_f16 v74, v96, v83, v74
	;;#ASMEND
	;;#ASMSTART
	v_dot2_f32_f16 v74, v97, v84, v74
	;;#ASMEND
	;;#ASMSTART
	v_dot2_f32_f16 v70, v94, v90, v70
	;;#ASMEND
	;;#ASMSTART
	v_dot2_f32_f16 v70, v95, v91, v70
	;;#ASMEND
	;; [unrolled: 3-line block ×4, first 2 shown]
	s_wait_dscnt 0x1
	;;#ASMSTART
	v_dot2_f32_f16 v75, v98, v81, v75
	;;#ASMEND
	;;#ASMSTART
	v_dot2_f32_f16 v75, v99, v82, v75
	;;#ASMEND
	;; [unrolled: 3-line block ×8, first 2 shown]
	s_wait_dscnt 0x0
	;;#ASMSTART
	v_dot2_f32_f16 v76, v102, v81, v76
	;;#ASMEND
	;;#ASMSTART
	v_dot2_f32_f16 v76, v103, v82, v76
	;;#ASMEND
	;; [unrolled: 3-line block ×8, first 2 shown]
	ds_load_b128 v[78:81], v41 offset:240
	ds_load_b128 v[90:93], v44 offset:240
	;; [unrolled: 1-line block ×6, first 2 shown]
	s_wait_dscnt 0x4
	;;#ASMSTART
	v_dot2_f32_f16 v73, v78, v90, v73
	;;#ASMEND
	;;#ASMSTART
	v_dot2_f32_f16 v73, v79, v91, v73
	;;#ASMEND
	;;#ASMSTART
	v_dot2_f32_f16 v73, v80, v92, v73
	;;#ASMEND
	;;#ASMSTART
	v_dot2_f32_f16 v73, v81, v93, v73
	;;#ASMEND
	s_wait_dscnt 0x3
	;;#ASMSTART
	v_dot2_f32_f16 v55, v78, v94, v55
	;;#ASMEND
	;;#ASMSTART
	v_dot2_f32_f16 v55, v79, v95, v55
	;;#ASMEND
	;; [unrolled: 3-line block ×4, first 2 shown]
	s_wait_dscnt 0x2
	;;#ASMSTART
	v_dot2_f32_f16 v74, v98, v90, v74
	;;#ASMEND
	;;#ASMSTART
	v_dot2_f32_f16 v74, v99, v91, v74
	;;#ASMEND
	;;#ASMSTART
	v_dot2_f32_f16 v74, v100, v92, v74
	;;#ASMEND
	v_add_nc_u32_e32 v85, s40, v135
	;;#ASMSTART
	v_dot2_f32_f16 v74, v101, v93, v74
	;;#ASMEND
	;;#ASMSTART
	v_dot2_f32_f16 v70, v98, v94, v70
	;;#ASMEND
	;; [unrolled: 3-line block ×5, first 2 shown]
	s_wait_dscnt 0x1
	;;#ASMSTART
	v_dot2_f32_f16 v75, v102, v90, v75
	;;#ASMEND
	;;#ASMSTART
	v_dot2_f32_f16 v75, v103, v91, v75
	;;#ASMEND
	v_dual_mov_b32 v77, 0 :: v_dual_add_nc_u32 v4, v85, v45
	;;#ASMSTART
	v_dot2_f32_f16 v75, v104, v92, v75
	;;#ASMEND
	;;#ASMSTART
	v_dot2_f32_f16 v75, v105, v93, v75
	;;#ASMEND
	;;#ASMSTART
	v_dot2_f32_f16 v71, v102, v94, v71
	;;#ASMEND
	;;#ASMSTART
	v_dot2_f32_f16 v71, v103, v95, v71
	;;#ASMEND
	;;#ASMSTART
	v_dot2_f32_f16 v71, v104, v96, v71
	;;#ASMEND
	;;#ASMSTART
	v_dot2_f32_f16 v71, v105, v97, v71
	;;#ASMEND
	s_wait_dscnt 0x0
	;;#ASMSTART
	v_dot2_f32_f16 v76, v106, v90, v76
	;;#ASMEND
	v_ashrrev_i32_e32 v5, 31, v4
	;;#ASMSTART
	v_dot2_f32_f16 v76, v107, v91, v76
	;;#ASMEND
	;;#ASMSTART
	v_dot2_f32_f16 v76, v108, v92, v76
	;;#ASMEND
	;; [unrolled: 3-line block ×7, first 2 shown]
	s_wait_alu 0xfffe
	s_cbranch_vccnz .LBB59_10
; %bb.9:                                ;   in Loop: Header=BB59_8 Depth=1
	v_lshlrev_b64_e32 v[77:78], 1, v[4:5]
	s_delay_alu instid0(VALU_DEP_1) | instskip(SKIP_1) | instid1(VALU_DEP_2)
	v_add_co_u32 v77, vcc_lo, s36, v77
	s_wait_alu 0xfffd
	v_add_co_ci_u32_e64 v78, null, s37, v78, vcc_lo
	global_load_u16 v77, v[77:78], off
	s_wait_loadcnt 0x0
	v_cvt_f32_f16_e32 v77, v77
	s_delay_alu instid0(VALU_DEP_1)
	v_mul_f32_e32 v77, v37, v77
.LBB59_10:                              ;   in Loop: Header=BB59_8 Depth=1
	v_mov_b32_e32 v78, 0
	v_mov_b32_e32 v80, 0
	s_and_not1_b32 vcc_lo, exec_lo, s10
	s_wait_alu 0xfffe
	s_cbranch_vccnz .LBB59_12
; %bb.11:                               ;   in Loop: Header=BB59_8 Depth=1
	v_lshlrev_b64_e32 v[79:80], 1, v[4:5]
	s_delay_alu instid0(VALU_DEP_1) | instskip(SKIP_1) | instid1(VALU_DEP_2)
	v_add_co_u32 v79, vcc_lo, s36, v79
	s_wait_alu 0xfffd
	v_add_co_ci_u32_e64 v80, null, s37, v80, vcc_lo
	global_load_u16 v79, v[79:80], off offset:64
	s_wait_loadcnt 0x0
	v_cvt_f32_f16_e32 v79, v79
	s_delay_alu instid0(VALU_DEP_1)
	v_mul_f32_e32 v80, v37, v79
.LBB59_12:                              ;   in Loop: Header=BB59_8 Depth=1
	s_and_not1_b32 vcc_lo, exec_lo, s10
	s_wait_alu 0xfffe
	s_cbranch_vccnz .LBB59_14
; %bb.13:                               ;   in Loop: Header=BB59_8 Depth=1
	v_lshlrev_b64_e32 v[78:79], 1, v[4:5]
	s_delay_alu instid0(VALU_DEP_1) | instskip(SKIP_1) | instid1(VALU_DEP_2)
	v_add_co_u32 v78, vcc_lo, s36, v78
	s_wait_alu 0xfffd
	v_add_co_ci_u32_e64 v79, null, s37, v79, vcc_lo
	global_load_u16 v78, v[78:79], off offset:128
	s_wait_loadcnt 0x0
	v_cvt_f32_f16_e32 v78, v78
	s_delay_alu instid0(VALU_DEP_1)
	v_mul_f32_e32 v78, v37, v78
.LBB59_14:                              ;   in Loop: Header=BB59_8 Depth=1
	v_mov_b32_e32 v79, 0
	v_mov_b32_e32 v81, 0
	s_and_not1_b32 vcc_lo, exec_lo, s10
	s_wait_alu 0xfffe
	s_cbranch_vccnz .LBB59_16
; %bb.15:                               ;   in Loop: Header=BB59_8 Depth=1
	v_lshlrev_b64_e32 v[4:5], 1, v[4:5]
	s_delay_alu instid0(VALU_DEP_1) | instskip(SKIP_1) | instid1(VALU_DEP_2)
	v_add_co_u32 v4, vcc_lo, s36, v4
	s_wait_alu 0xfffd
	v_add_co_ci_u32_e64 v5, null, s37, v5, vcc_lo
	global_load_u16 v4, v[4:5], off offset:192
	s_wait_loadcnt 0x0
	v_cvt_f32_f16_e32 v4, v4
	s_delay_alu instid0(VALU_DEP_1)
	v_mul_f32_e32 v81, v37, v4
.LBB59_16:                              ;   in Loop: Header=BB59_8 Depth=1
	v_xor_b32_e32 v4, 16, v65
	v_dual_add_f32 v73, v73, v77 :: v_dual_add_f32 v74, v74, v80
	s_delay_alu instid0(VALU_DEP_2) | instskip(SKIP_1) | instid1(VALU_DEP_3)
	v_cmp_gt_i32_e32 vcc_lo, 32, v4
	v_add_f32_e32 v75, v75, v78
	v_dual_add_f32 v5, 0x40051340, v73 :: v_dual_add_f32 v78, 0x40051340, v74
	s_wait_alu 0xfffd
	v_dual_cndmask_b32 v4, v65, v4 :: v_dual_add_f32 v77, v76, v81
	s_delay_alu instid0(VALU_DEP_3) | instskip(NEXT) | instid1(VALU_DEP_3)
	v_add_f32_e32 v76, 0x40051340, v75
	v_max3_num_f32 v5, v69, v5, v78
	s_delay_alu instid0(VALU_DEP_3) | instskip(NEXT) | instid1(VALU_DEP_4)
	v_lshlrev_b32_e32 v80, 2, v4
	v_add_f32_e32 v78, 0x40051340, v77
	s_delay_alu instid0(VALU_DEP_1)
	v_max3_num_f32 v4, v5, v76, v78
	v_xor_b32_e32 v76, 8, v65
	ds_bpermute_b32 v5, v80, v4
	v_cmp_gt_i32_e32 vcc_lo, 32, v76
	s_wait_alu 0xfffd
	v_cndmask_b32_e32 v76, v65, v76, vcc_lo
	s_delay_alu instid0(VALU_DEP_1) | instskip(SKIP_1) | instid1(VALU_DEP_1)
	v_lshlrev_b32_e32 v81, 2, v76
	v_xor_b32_e32 v76, 4, v65
	v_cmp_gt_i32_e32 vcc_lo, 32, v76
	s_wait_dscnt 0x0
	v_max_num_f32_e32 v5, v5, v5
	s_wait_alu 0xfffd
	v_cndmask_b32_e32 v76, v65, v76, vcc_lo
	s_delay_alu instid0(VALU_DEP_2) | instskip(NEXT) | instid1(VALU_DEP_2)
	v_max_num_f32_e32 v4, v4, v5
	v_lshlrev_b32_e32 v82, 2, v76
	v_xor_b32_e32 v76, 2, v65
	ds_bpermute_b32 v5, v81, v4
	v_cmp_gt_i32_e32 vcc_lo, 32, v76
	s_wait_alu 0xfffd
	v_cndmask_b32_e32 v76, v65, v76, vcc_lo
	s_delay_alu instid0(VALU_DEP_1) | instskip(SKIP_1) | instid1(VALU_DEP_1)
	v_lshlrev_b32_e32 v78, 2, v76
	v_xor_b32_e32 v76, 1, v65
	v_cmp_gt_i32_e32 vcc_lo, 32, v76
	s_wait_dscnt 0x0
	v_max_num_f32_e32 v5, v5, v5
	s_wait_alu 0xfffd
	v_cndmask_b32_e32 v76, v65, v76, vcc_lo
	s_delay_alu instid0(VALU_DEP_2) | instskip(SKIP_1) | instid1(VALU_DEP_2)
	v_max_num_f32_e32 v4, v4, v5
	s_and_not1_b32 vcc_lo, exec_lo, s10
	v_lshlrev_b32_e32 v76, 2, v76
	ds_bpermute_b32 v5, v82, v4
	s_wait_dscnt 0x0
	v_max_num_f32_e32 v5, v5, v5
	s_delay_alu instid0(VALU_DEP_1) | instskip(SKIP_3) | instid1(VALU_DEP_1)
	v_max_num_f32_e32 v4, v4, v5
	ds_bpermute_b32 v5, v78, v4
	s_wait_dscnt 0x0
	v_max_num_f32_e32 v5, v5, v5
	v_max_num_f32_e32 v83, v4, v5
	v_add_nc_u32_e32 v4, v85, v57
	ds_bpermute_b32 v84, v76, v83
	v_ashrrev_i32_e32 v5, 31, v4
	s_wait_alu 0xfffe
	s_cbranch_vccnz .LBB59_18
; %bb.17:                               ;   in Loop: Header=BB59_8 Depth=1
	s_delay_alu instid0(VALU_DEP_1) | instskip(NEXT) | instid1(VALU_DEP_1)
	v_lshlrev_b64_e32 v[85:86], 1, v[4:5]
	v_add_co_u32 v85, vcc_lo, s36, v85
	s_wait_alu 0xfffd
	s_delay_alu instid0(VALU_DEP_2) | instskip(SKIP_3) | instid1(VALU_DEP_1)
	v_add_co_ci_u32_e64 v86, null, s37, v86, vcc_lo
	global_load_u16 v79, v[85:86], off
	s_wait_loadcnt 0x0
	v_cvt_f32_f16_e32 v79, v79
	v_mul_f32_e32 v79, v37, v79
.LBB59_18:                              ;   in Loop: Header=BB59_8 Depth=1
	v_dual_mov_b32 v85, 0 :: v_dual_mov_b32 v86, 0
	s_and_not1_b32 vcc_lo, exec_lo, s10
	s_wait_alu 0xfffe
	s_cbranch_vccnz .LBB59_20
; %bb.19:                               ;   in Loop: Header=BB59_8 Depth=1
	v_lshlrev_b64_e32 v[86:87], 1, v[4:5]
	s_delay_alu instid0(VALU_DEP_1) | instskip(SKIP_1) | instid1(VALU_DEP_2)
	v_add_co_u32 v86, vcc_lo, s36, v86
	s_wait_alu 0xfffd
	v_add_co_ci_u32_e64 v87, null, s37, v87, vcc_lo
	global_load_u16 v86, v[86:87], off offset:64
	s_wait_loadcnt 0x0
	v_cvt_f32_f16_e32 v86, v86
	s_delay_alu instid0(VALU_DEP_1)
	v_mul_f32_e32 v86, v37, v86
.LBB59_20:                              ;   in Loop: Header=BB59_8 Depth=1
	s_and_not1_b32 vcc_lo, exec_lo, s10
	s_wait_alu 0xfffe
	s_cbranch_vccnz .LBB59_22
; %bb.21:                               ;   in Loop: Header=BB59_8 Depth=1
	v_lshlrev_b64_e32 v[90:91], 1, v[4:5]
	s_delay_alu instid0(VALU_DEP_1) | instskip(SKIP_1) | instid1(VALU_DEP_2)
	v_add_co_u32 v90, vcc_lo, s36, v90
	s_wait_alu 0xfffd
	v_add_co_ci_u32_e64 v91, null, s37, v91, vcc_lo
	global_load_u16 v85, v[90:91], off offset:128
	s_wait_loadcnt 0x0
	v_cvt_f32_f16_e32 v85, v85
	s_delay_alu instid0(VALU_DEP_1)
	v_mul_f32_e32 v85, v37, v85
.LBB59_22:                              ;   in Loop: Header=BB59_8 Depth=1
	s_and_not1_b32 vcc_lo, exec_lo, s10
	s_wait_alu 0xfffe
	s_cbranch_vccnz .LBB59_24
; %bb.23:                               ;   in Loop: Header=BB59_8 Depth=1
	v_lshlrev_b64_e32 v[4:5], 1, v[4:5]
	s_delay_alu instid0(VALU_DEP_1) | instskip(SKIP_1) | instid1(VALU_DEP_2)
	v_add_co_u32 v4, vcc_lo, s36, v4
	s_wait_alu 0xfffd
	v_add_co_ci_u32_e64 v5, null, s37, v5, vcc_lo
	global_load_u16 v4, v[4:5], off offset:192
	s_wait_loadcnt 0x0
	v_cvt_f32_f16_e32 v4, v4
	s_delay_alu instid0(VALU_DEP_1)
	v_mul_f32_e32 v4, v37, v4
	s_branch .LBB59_25
.LBB59_24:                              ;   in Loop: Header=BB59_8 Depth=1
	v_mov_b32_e32 v4, 0
.LBB59_25:                              ;   in Loop: Header=BB59_8 Depth=1
	s_mul_u64 s[12:13], s[40:41], s[34:35]
	v_dual_add_f32 v55, v55, v79 :: v_dual_add_f32 v70, v70, v86
	s_wait_alu 0xfffe
	s_lshl_b64 s[12:13], s[12:13], 2
	s_wait_loadcnt_dscnt 0x0
	s_wait_alu 0xfffe
	s_add_nc_u64 s[12:13], s[38:39], s[12:13]
	s_barrier_signal -1
	s_wait_alu 0xfffe
	v_add_co_u32 v5, vcc_lo, s12, v18
	s_wait_alu 0xfffd
	v_add_co_ci_u32_e64 v87, null, s13, v19, vcc_lo
	v_add_co_u32 v92, vcc_lo, s12, v20
	s_wait_alu 0xfffd
	v_add_co_ci_u32_e64 v93, null, s13, v21, vcc_lo
	;; [unrolled: 3-line block ×16, first 2 shown]
	s_barrier_wait -1
	global_inv scope:SCOPE_SE
	s_clause 0x7
	global_load_b128 v[90:93], v[90:91], off
	global_load_b128 v[94:97], v[94:95], off
	;; [unrolled: 1-line block ×8, first 2 shown]
	v_dual_add_f32 v71, v71, v85 :: v_dual_add_f32 v72, v72, v4
	v_dual_add_f32 v4, 0x40051340, v55 :: v_dual_add_f32 v5, 0x40051340, v70
	v_add_nc_u32_e32 v86, 0x1000, v34
	s_delay_alu instid0(VALU_DEP_3) | instskip(NEXT) | instid1(VALU_DEP_4)
	v_add_f32_e32 v79, 0x40051340, v71
	v_add_f32_e32 v85, 0x40051340, v72
	s_delay_alu instid0(VALU_DEP_4) | instskip(NEXT) | instid1(VALU_DEP_1)
	v_max3_num_f32 v4, v68, v4, v5
	v_max3_num_f32 v4, v4, v79, v85
	v_max_num_f32_e32 v79, v84, v84
	ds_bpermute_b32 v5, v80, v4
	s_wait_dscnt 0x0
	v_dual_max_num_f32 v80, v83, v83 :: v_dual_max_num_f32 v5, v5, v5
	s_delay_alu instid0(VALU_DEP_1) | instskip(SKIP_3) | instid1(VALU_DEP_1)
	v_max_num_f32_e32 v4, v4, v5
	ds_bpermute_b32 v5, v81, v4
	s_wait_dscnt 0x0
	v_max_num_f32_e32 v5, v5, v5
	v_max_num_f32_e32 v5, v4, v5
	;; [unrolled: 1-line block ×3, first 2 shown]
	s_delay_alu instid0(VALU_DEP_1) | instskip(SKIP_3) | instid1(VALU_DEP_1)
	v_sub_f32_e32 v74, v74, v4
	ds_bpermute_b32 v80, v82, v5
	v_add_nc_u32_e32 v85, 0x800, v34
	v_mul_f32_e32 v82, 0x3fb8aa3b, v74
	v_fma_f32 v124, 0x3fb8aa3b, v74, -v82
	v_sub_f32_e32 v73, v73, v4
	v_rndne_f32_e32 v125, v82
	s_delay_alu instid0(VALU_DEP_3) | instskip(NEXT) | instid1(VALU_DEP_3)
	v_dual_sub_f32 v77, v77, v4 :: v_dual_fmac_f32 v124, 0x32a5705f, v74
	v_mul_f32_e32 v81, 0x3fb8aa3b, v73
	s_delay_alu instid0(VALU_DEP_3) | instskip(NEXT) | instid1(VALU_DEP_3)
	v_dual_sub_f32 v82, v82, v125 :: v_dual_add_nc_u32 v79, v36, v170
	v_mul_f32_e32 v84, 0x3fb8aa3b, v77
	v_cmp_ngt_f32_e32 vcc_lo, 0xc2ce8ed0, v73
	s_delay_alu instid0(VALU_DEP_4)
	v_fma_f32 v122, 0x3fb8aa3b, v73, -v81
	v_sub_f32_e32 v75, v75, v4
	v_rndne_f32_e32 v123, v81
	v_rndne_f32_e32 v129, v84
	v_fma_f32 v128, 0x3fb8aa3b, v77, -v84
	v_fmac_f32_e32 v122, 0x32a5705f, v73
	s_wait_dscnt 0x0
	v_dual_mul_f32 v83, 0x3fb8aa3b, v75 :: v_dual_max_num_f32 v80, v80, v80
	v_sub_f32_e32 v84, v84, v129
	v_fmac_f32_e32 v128, 0x32a5705f, v77
	v_add_f32_e32 v82, v82, v124
	s_delay_alu instid0(VALU_DEP_4)
	v_fma_f32 v126, 0x3fb8aa3b, v75, -v83
	v_sub_f32_e32 v69, v69, v4
	v_max_num_f32_e32 v5, v5, v80
	v_sub_f32_e32 v80, v81, v123
	v_rndne_f32_e32 v127, v83
	v_fmac_f32_e32 v126, 0x32a5705f, v75
	v_mul_f32_e32 v87, 0x3fb8aa3b, v69
	ds_bpermute_b32 v78, v78, v5
	v_add_f32_e32 v80, v80, v122
	v_cvt_i32_f32_e32 v81, v123
	v_exp_f32_e32 v82, v82
	v_rndne_f32_e32 v131, v87
	v_fma_f32 v130, 0x3fb8aa3b, v69, -v87
	v_sub_f32_e32 v83, v83, v127
	v_exp_f32_e32 v80, v80
	s_delay_alu instid0(VALU_DEP_3) | instskip(NEXT) | instid1(VALU_DEP_2)
	v_dual_add_f32 v84, v84, v128 :: v_dual_sub_f32 v87, v87, v131
	v_dual_fmac_f32 v130, 0x32a5705f, v69 :: v_dual_add_f32 v83, v83, v126
	v_cvt_i32_f32_e32 v122, v125
	s_delay_alu instid0(VALU_DEP_3) | instskip(SKIP_3) | instid1(TRANS32_DEP_3)
	v_exp_f32_e32 v84, v84
	v_cvt_i32_f32_e32 v123, v127
	v_cvt_i32_f32_e32 v124, v129
	v_exp_f32_e32 v83, v83
	v_ldexp_f32 v80, v80, v81
	v_add_f32_e32 v87, v87, v130
	v_ldexp_f32 v81, v82, v122
	v_cvt_i32_f32_e32 v125, v131
	s_wait_alu 0xfffd
	v_cndmask_b32_e32 v80, 0, v80, vcc_lo
	v_exp_f32_e32 v87, v87
	v_cmp_ngt_f32_e32 vcc_lo, 0xc2ce8ed0, v74
	s_wait_dscnt 0x0
	v_max_num_f32_e32 v78, v78, v78
	v_ldexp_f32 v82, v83, v123
	s_wait_alu 0xfffd
	v_cndmask_b32_e32 v81, 0, v81, vcc_lo
	v_cmp_ngt_f32_e32 vcc_lo, 0xc2ce8ed0, v75
	v_max_num_f32_e32 v5, v5, v78
	v_ldexp_f32 v78, v84, v124
	v_ldexp_f32 v83, v87, v125
	s_wait_alu 0xfffd
	v_cndmask_b32_e32 v82, 0, v82, vcc_lo
	v_cmp_ngt_f32_e32 vcc_lo, 0xc2ce8ed0, v77
	s_wait_alu 0xfffd
	v_cndmask_b32_e32 v78, 0, v78, vcc_lo
	v_cmp_ngt_f32_e32 vcc_lo, 0xc2ce8ed0, v69
	s_wait_alu 0xfffd
	v_cndmask_b32_e32 v83, 0, v83, vcc_lo
	v_cmp_nlt_f32_e32 vcc_lo, 0x42b17218, v73
	s_wait_alu 0xfffd
	v_cndmask_b32_e32 v73, 0x7f800000, v80, vcc_lo
	v_cmp_nlt_f32_e32 vcc_lo, 0x42b17218, v74
	s_wait_alu 0xfffd
	v_cndmask_b32_e32 v74, 0x7f800000, v81, vcc_lo
	ds_bpermute_b32 v76, v76, v5
	v_cmp_nlt_f32_e32 vcc_lo, 0x42b17218, v69
	s_wait_alu 0xfffd
	v_cndmask_b32_e32 v69, 0x7f800000, v83, vcc_lo
	v_cmp_nlt_f32_e32 vcc_lo, 0x42b17218, v75
	s_wait_alu 0xfffd
	v_cndmask_b32_e32 v75, 0x7f800000, v82, vcc_lo
	v_cmp_nlt_f32_e32 vcc_lo, 0x42b17218, v77
	s_wait_dscnt 0x0
	v_max_num_f32_e32 v76, v76, v76
	s_delay_alu instid0(VALU_DEP_1)
	v_max_num_f32_e32 v5, v5, v76
	s_wait_alu 0xfffd
	v_cndmask_b32_e32 v77, 0x7f800000, v78, vcc_lo
	v_add_f32_e32 v78, v73, v74
	v_cvt_f16_f32_e32 v80, v69
	v_cvt_f16_f32_e32 v74, v74
	v_sub_f32_e32 v55, v55, v5
	v_sub_f32_e32 v72, v72, v5
	v_add_f32_e32 v78, v75, v78
	v_and_b32_e32 v80, 0xffff, v80
	v_sub_f32_e32 v70, v70, v5
	v_cvt_f16_f32_e32 v76, v77
	s_delay_alu instid0(VALU_DEP_4) | instskip(SKIP_4) | instid1(VALU_DEP_4)
	v_dual_sub_f32 v71, v71, v5 :: v_dual_add_f32 v138, v77, v78
	v_dual_mul_f32 v77, 0x3fb8aa3b, v55 :: v_dual_sub_f32 v68, v68, v5
	v_mul_f32_e32 v81, 0x3fb8aa3b, v72
	v_mul_u32_u24_e32 v87, 0x10001, v80
	v_cmp_ngt_f32_e32 vcc_lo, 0xc2ce8ed0, v55
	v_fma_f32 v83, 0x3fb8aa3b, v55, -v77
	v_rndne_f32_e32 v84, v77
	v_fma_f32 v126, 0x3fb8aa3b, v72, -v81
	v_rndne_f32_e32 v127, v81
	v_mul_f32_e32 v78, 0x3fb8aa3b, v70
	v_mul_f32_e32 v82, 0x3fb8aa3b, v68
	v_sub_f32_e32 v77, v77, v84
	s_delay_alu instid0(VALU_DEP_4)
	v_dual_fmac_f32 v126, 0x32a5705f, v72 :: v_dual_sub_f32 v81, v81, v127
	v_mul_f32_e32 v80, 0x3fb8aa3b, v71
	v_fma_f32 v122, 0x3fb8aa3b, v70, -v78
	v_fmac_f32_e32 v83, 0x32a5705f, v55
	v_rndne_f32_e32 v123, v78
	v_add_f32_e32 v81, v81, v126
	v_rndne_f32_e32 v125, v80
	v_fma_f32 v124, 0x3fb8aa3b, v71, -v80
	v_dual_fmac_f32 v122, 0x32a5705f, v70 :: v_dual_add_f32 v77, v77, v83
	s_delay_alu instid0(VALU_DEP_4) | instskip(NEXT) | instid1(VALU_DEP_3)
	v_exp_f32_e32 v81, v81
	v_sub_f32_e32 v80, v80, v125
	v_cvt_i32_f32_e32 v83, v84
	v_cvt_i32_f32_e32 v84, v123
	v_exp_f32_e32 v77, v77
	v_fma_f32 v128, 0x3fb8aa3b, v68, -v82
	v_rndne_f32_e32 v129, v82
	v_fmac_f32_e32 v138, v67, v69
	v_pk_mul_f16 v131, v38, v87
	v_cvt_f16_f32_e32 v73, v73
	v_fmac_f32_e32 v128, 0x32a5705f, v68
	v_sub_f32_e32 v82, v82, v129
	v_cvt_f16_f32_e32 v75, v75
	s_delay_alu instid0(TRANS32_DEP_1) | instskip(SKIP_3) | instid1(VALU_DEP_3)
	v_ldexp_f32 v77, v77, v83
	v_sub_f32_e32 v78, v78, v123
	v_cvt_i32_f32_e32 v123, v127
	s_wait_alu 0xfffd
	v_dual_add_f32 v82, v82, v128 :: v_dual_cndmask_b32 v77, 0, v77
	s_delay_alu instid0(VALU_DEP_3) | instskip(NEXT) | instid1(VALU_DEP_3)
	v_add_f32_e32 v78, v78, v122
	v_ldexp_f32 v81, v81, v123
	v_fmac_f32_e32 v124, 0x32a5705f, v71
	v_cvt_i32_f32_e32 v122, v125
	v_cmp_ngt_f32_e32 vcc_lo, 0xc2ce8ed0, v70
	v_exp_f32_e32 v78, v78
	v_exp_f32_e32 v82, v82
	v_add_f32_e32 v80, v80, v124
	v_cvt_i32_f32_e32 v124, v129
	s_delay_alu instid0(VALU_DEP_2) | instskip(NEXT) | instid1(TRANS32_DEP_3)
	v_exp_f32_e32 v80, v80
	v_ldexp_f32 v78, v78, v84
	s_delay_alu instid0(TRANS32_DEP_2) | instid1(VALU_DEP_2)
	v_ldexp_f32 v82, v82, v124
	s_wait_alu 0xfffd
	s_delay_alu instid0(VALU_DEP_2) | instskip(SKIP_1) | instid1(TRANS32_DEP_1)
	v_cndmask_b32_e32 v78, 0, v78, vcc_lo
	v_cmp_ngt_f32_e32 vcc_lo, 0xc2ce8ed0, v71
	v_ldexp_f32 v80, v80, v122
	s_wait_alu 0xfffd
	s_delay_alu instid0(VALU_DEP_1)
	v_cndmask_b32_e32 v80, 0, v80, vcc_lo
	v_cmp_ngt_f32_e32 vcc_lo, 0xc2ce8ed0, v72
	s_wait_alu 0xfffd
	v_cndmask_b32_e32 v81, 0, v81, vcc_lo
	v_cmp_ngt_f32_e32 vcc_lo, 0xc2ce8ed0, v68
	s_wait_alu 0xfffd
	v_cndmask_b32_e32 v82, 0, v82, vcc_lo
	v_cmp_nlt_f32_e32 vcc_lo, 0x42b17218, v55
	s_wait_alu 0xfffd
	v_cndmask_b32_e32 v77, 0x7f800000, v77, vcc_lo
	v_cmp_nlt_f32_e32 vcc_lo, 0x42b17218, v70
	;; [unrolled: 3-line block ×3, first 2 shown]
	s_delay_alu instid0(VALU_DEP_2) | instskip(SKIP_3) | instid1(VALU_DEP_2)
	v_add_f32_e32 v67, v77, v70
	s_wait_alu 0xfffd
	v_cndmask_b32_e32 v68, 0x7f800000, v82, vcc_lo
	v_cmp_nlt_f32_e32 vcc_lo, 0x42b17218, v71
	v_cvt_f16_f32_e32 v71, v68
	s_wait_alu 0xfffd
	v_cndmask_b32_e32 v78, 0x7f800000, v80, vcc_lo
	v_cmp_nlt_f32_e32 vcc_lo, 0x42b17218, v72
	v_cvt_f16_f32_e32 v72, v77
	v_and_b32_e32 v71, 0xffff, v71
	s_wait_alu 0xfffd
	v_dual_add_f32 v38, v78, v67 :: v_dual_cndmask_b32 v55, 0x7f800000, v81
	v_cvt_f16_f32_e32 v81, v78
	v_pack_b32_f16 v72, v73, v72
	v_mul_u32_u24_e32 v130, 0x10001, v71
	s_delay_alu instid0(VALU_DEP_4) | instskip(SKIP_1) | instid1(VALU_DEP_3)
	v_cvt_f16_f32_e32 v82, v55
	v_add_f32_e32 v55, v55, v38
	v_pk_mul_f16 v35, v35, v130
	s_delay_alu instid0(VALU_DEP_2) | instskip(SKIP_1) | instid1(VALU_DEP_1)
	v_fmac_f32_e32 v55, v66, v68
	v_cvt_f16_f32_e32 v80, v70
	v_pack_b32_f16 v73, v74, v80
	v_pack_b32_f16 v74, v75, v81
	;; [unrolled: 1-line block ×3, first 2 shown]
	ds_store_2addr_b32 v79, v72, v73 offset1:32
	ds_store_2addr_b32 v79, v74, v75 offset0:64 offset1:96
	s_wait_loadcnt 0x7
	ds_store_b128 v47, v[90:93]
	s_wait_loadcnt 0x6
	ds_store_b128 v56, v[94:97]
	;; [unrolled: 2-line block ×8, first 2 shown]
	s_wait_dscnt 0x0
	s_barrier_signal -1
	s_barrier_wait -1
	global_inv scope:SCOPE_SE
	ds_load_b128 v[69:72], v36
	ds_load_2addr_b64 v[73:76], v34 offset1:32
	ds_load_2addr_b64 v[77:80], v34 offset0:64 offset1:96
	ds_load_2addr_b64 v[81:84], v34 offset0:128 offset1:160
	ds_load_b128 v[90:93], v36 offset:16
	ds_load_2addr_b64 v[94:97], v34 offset0:192 offset1:224
	ds_load_2addr_b64 v[98:101], v85 offset1:32
	ds_load_2addr_b64 v[102:105], v85 offset0:64 offset1:96
	ds_load_2addr_b64 v[106:109], v85 offset0:128 offset1:160
	ds_load_b128 v[110:113], v36 offset:32
	ds_load_b128 v[114:117], v36 offset:48
	ds_load_2addr_b64 v[118:121], v85 offset0:192 offset1:224
	ds_load_2addr_b64 v[122:125], v86 offset1:32
	ds_load_2addr_b64 v[126:129], v86 offset0:64 offset1:96
	ds_load_2addr_b64 v[139:142], v86 offset0:128 offset1:160
	ds_load_b128 v[143:146], v36 offset:64
	ds_load_b128 v[147:150], v36 offset:80
	s_wait_dscnt 0xc
	v_lshrrev_b32_e32 v134, 16, v90
	v_and_b32_e32 v90, 0xffff, v90
	v_lshrrev_b32_e32 v136, 16, v91
	v_and_b32_e32 v91, 0xffff, v91
	v_lshrrev_b32_e32 v151, 16, v92
	v_mul_u32_u24_e32 v134, 0x10001, v134
	v_mul_u32_u24_e32 v90, 0x10001, v90
	v_and_b32_e32 v92, 0xffff, v92
	v_mul_u32_u24_e32 v91, 0x10001, v91
	v_mul_u32_u24_e32 v136, 0x10001, v136
	v_lshrrev_b32_e32 v152, 16, v93
	v_lshrrev_b32_e32 v67, 16, v69
	v_and_b32_e32 v69, 0xffff, v69
	v_lshrrev_b32_e32 v85, 16, v70
	v_and_b32_e32 v70, 0xffff, v70
	v_lshrrev_b32_e32 v132, 16, v71
	v_mul_u32_u24_e32 v67, 0x10001, v67
	v_mul_u32_u24_e32 v69, 0x10001, v69
	v_and_b32_e32 v71, 0xffff, v71
	v_mul_u32_u24_e32 v70, 0x10001, v70
	v_mul_u32_u24_e32 v85, 0x10001, v85
	v_lshrrev_b32_e32 v133, 16, v72
	v_pk_mul_f16 v166, v73, v69
	v_pk_mul_f16 v73, v73, v67
	v_pk_fma_f16 v69, v74, v69, v131
	v_and_b32_e32 v72, 0xffff, v72
	v_mul_u32_u24_e32 v71, 0x10001, v71
	v_pk_fma_f16 v87, v89, v87, v166
	v_pk_fma_f16 v73, v88, v130, v73
	v_mul_u32_u24_e32 v132, 0x10001, v132
	v_pk_fma_f16 v35, v74, v67, v35
	v_pk_fma_f16 v67, v76, v70, v69
	;; [unrolled: 1-line block ×4, first 2 shown]
	v_mul_u32_u24_e32 v72, 0x10001, v72
	v_mul_u32_u24_e32 v133, 0x10001, v133
	v_pk_fma_f16 v35, v76, v85, v35
	v_pk_fma_f16 v67, v78, v71, v67
	;; [unrolled: 1-line block ×4, first 2 shown]
	v_and_b32_e32 v93, 0xffff, v93
	v_pk_fma_f16 v35, v78, v132, v35
	v_pk_fma_f16 v67, v80, v72, v67
	;; [unrolled: 1-line block ×4, first 2 shown]
	v_mul_u32_u24_e32 v92, 0x10001, v92
	v_pk_fma_f16 v35, v80, v133, v35
	v_pk_fma_f16 v67, v82, v90, v67
	;; [unrolled: 1-line block ×4, first 2 shown]
	v_mul_u32_u24_e32 v151, 0x10001, v151
	v_pk_fma_f16 v35, v82, v134, v35
	v_pk_fma_f16 v67, v84, v91, v67
	v_pk_fma_f16 v69, v83, v91, v69
	v_pk_fma_f16 v70, v83, v136, v70
	s_wait_dscnt 0x7
	v_lshrrev_b32_e32 v153, 16, v110
	v_and_b32_e32 v110, 0xffff, v110
	v_mul_u32_u24_e32 v93, 0x10001, v93
	v_mul_u32_u24_e32 v152, 0x10001, v152
	v_pk_fma_f16 v35, v84, v136, v35
	v_pk_fma_f16 v67, v95, v92, v67
	v_pk_fma_f16 v69, v94, v92, v69
	v_pk_fma_f16 v70, v94, v151, v70
	v_lshrrev_b32_e32 v154, 16, v111
	v_and_b32_e32 v111, 0xffff, v111
	v_mul_u32_u24_e32 v110, 0x10001, v110
	v_mul_u32_u24_e32 v153, 0x10001, v153
	v_pk_fma_f16 v35, v95, v151, v35
	v_pk_fma_f16 v67, v97, v93, v67
	v_pk_fma_f16 v69, v96, v93, v69
	v_pk_fma_f16 v70, v96, v152, v70
	v_lshrrev_b32_e32 v155, 16, v112
	v_and_b32_e32 v112, 0xffff, v112
	v_mul_u32_u24_e32 v111, 0x10001, v111
	v_mul_u32_u24_e32 v154, 0x10001, v154
	v_pk_fma_f16 v35, v97, v152, v35
	v_pk_fma_f16 v67, v99, v110, v67
	v_pk_fma_f16 v69, v98, v110, v69
	v_pk_fma_f16 v70, v98, v153, v70
	v_lshrrev_b32_e32 v156, 16, v113
	v_and_b32_e32 v113, 0xffff, v113
	v_mul_u32_u24_e32 v112, 0x10001, v112
	v_mul_u32_u24_e32 v155, 0x10001, v155
	v_pk_fma_f16 v35, v99, v153, v35
	v_pk_fma_f16 v67, v101, v111, v67
	v_pk_fma_f16 v69, v100, v111, v69
	v_pk_fma_f16 v70, v100, v154, v70
	s_wait_dscnt 0x6
	v_lshrrev_b32_e32 v157, 16, v114
	v_and_b32_e32 v114, 0xffff, v114
	v_mul_u32_u24_e32 v88, 0x10001, v113
	v_mul_u32_u24_e32 v73, 0x10001, v156
	v_pk_fma_f16 v35, v101, v154, v35
	v_pk_fma_f16 v67, v103, v112, v67
	v_pk_fma_f16 v69, v102, v112, v69
	v_pk_fma_f16 v70, v102, v155, v70
	v_lshrrev_b32_e32 v158, 16, v115
	v_and_b32_e32 v115, 0xffff, v115
	v_mul_u32_u24_e32 v71, 0x10001, v114
	v_mul_u32_u24_e32 v72, 0x10001, v157
	v_pk_fma_f16 v35, v103, v155, v35
	v_pk_fma_f16 v67, v105, v88, v67
	v_pk_fma_f16 v69, v104, v88, v69
	v_pk_fma_f16 v70, v104, v73, v70
	v_lshrrev_b32_e32 v159, 16, v116
	v_and_b32_e32 v116, 0xffff, v116
	v_mul_u32_u24_e32 v74, 0x10001, v115
	v_mul_u32_u24_e32 v75, 0x10001, v158
	v_pk_fma_f16 v35, v105, v73, v35
	v_pk_fma_f16 v67, v107, v71, v67
	v_pk_fma_f16 v69, v106, v71, v69
	v_pk_fma_f16 v70, v106, v72, v70
	v_lshrrev_b32_e32 v160, 16, v117
	v_and_b32_e32 v117, 0xffff, v117
	v_mul_u32_u24_e32 v76, 0x10001, v116
	v_mul_u32_u24_e32 v77, 0x10001, v159
	v_pk_fma_f16 v35, v107, v72, v35
	v_pk_fma_f16 v67, v109, v74, v67
	v_pk_fma_f16 v69, v108, v74, v69
	v_pk_fma_f16 v70, v108, v75, v70
	s_wait_dscnt 0x1
	v_lshrrev_b32_e32 v161, 16, v143
	v_and_b32_e32 v143, 0xffff, v143
	v_mul_u32_u24_e32 v78, 0x10001, v117
	v_mul_u32_u24_e32 v79, 0x10001, v160
	v_pk_fma_f16 v35, v109, v75, v35
	v_pk_fma_f16 v67, v119, v76, v67
	v_pk_fma_f16 v69, v118, v76, v69
	v_pk_fma_f16 v70, v118, v77, v70
	v_lshrrev_b32_e32 v162, 16, v144
	v_and_b32_e32 v144, 0xffff, v144
	v_mul_u32_u24_e32 v80, 0x10001, v143
	v_mul_u32_u24_e32 v81, 0x10001, v161
	v_pk_fma_f16 v35, v119, v77, v35
	v_pk_fma_f16 v67, v121, v78, v67
	v_pk_fma_f16 v69, v120, v78, v69
	v_pk_fma_f16 v70, v120, v79, v70
	v_lshrrev_b32_e32 v163, 16, v145
	v_and_b32_e32 v145, 0xffff, v145
	v_mul_u32_u24_e32 v71, 0x10001, v144
	v_mul_u32_u24_e32 v72, 0x10001, v162
	v_pk_fma_f16 v35, v121, v79, v35
	v_pk_fma_f16 v67, v123, v80, v67
	v_pk_fma_f16 v69, v122, v80, v69
	v_pk_fma_f16 v70, v122, v81, v70
	v_lshrrev_b32_e32 v164, 16, v146
	v_and_b32_e32 v146, 0xffff, v146
	v_mul_u32_u24_e32 v73, 0x10001, v145
	v_mul_u32_u24_e32 v74, 0x10001, v163
	v_pk_fma_f16 v35, v123, v81, v35
	v_pk_fma_f16 v67, v125, v71, v67
	;; [unrolled: 1-line block ×4, first 2 shown]
	v_mul_u32_u24_e32 v75, 0x10001, v146
	v_mul_u32_u24_e32 v76, 0x10001, v164
	v_pk_fma_f16 v35, v125, v72, v35
	v_pk_fma_f16 v67, v127, v73, v67
	;; [unrolled: 1-line block ×4, first 2 shown]
	s_wait_dscnt 0x0
	v_and_b32_e32 v71, 0xffff, v147
	v_lshrrev_b32_e32 v165, 16, v147
	v_pk_fma_f16 v35, v127, v74, v35
	v_pk_fma_f16 v67, v129, v75, v67
	;; [unrolled: 1-line block ×4, first 2 shown]
	v_mul_u32_u24_e32 v75, 0x10001, v71
	ds_load_2addr_b64 v[69:72], v86 offset0:192 offset1:224
	v_mul_u32_u24_e32 v77, 0x10001, v165
	v_pk_fma_f16 v35, v129, v76, v35
	v_and_b32_e32 v76, 0xffff, v148
	v_lshrrev_b32_e32 v78, 16, v148
	v_pk_fma_f16 v79, v139, v75, v73
	v_pk_fma_f16 v80, v139, v77, v74
	;; [unrolled: 1-line block ×3, first 2 shown]
	v_mul_u32_u24_e32 v81, 0x10001, v76
	v_and_b32_e32 v82, 0xffff, v149
	ds_load_b128 v[73:76], v36 offset:96
	v_mul_u32_u24_e32 v78, 0x10001, v78
	v_pk_fma_f16 v35, v140, v77, v35
	v_pk_fma_f16 v77, v141, v81, v79
	v_lshrrev_b32_e32 v79, 16, v149
	v_mul_u32_u24_e32 v82, 0x10001, v82
	v_add_nc_u32_e32 v89, 0x1800, v34
	v_pk_fma_f16 v83, v141, v78, v80
	v_pk_fma_f16 v67, v142, v81, v67
	;; [unrolled: 1-line block ×3, first 2 shown]
	v_mul_u32_u24_e32 v81, 0x10001, v79
	s_wait_dscnt 0x1
	v_pk_fma_f16 v85, v69, v82, v77
	ds_load_2addr_b64 v[77:80], v89 offset1:32
	v_and_b32_e32 v84, 0xffff, v150
	v_lshrrev_b32_e32 v86, 16, v150
	v_pk_fma_f16 v69, v69, v81, v83
	v_pk_fma_f16 v67, v70, v82, v67
	;; [unrolled: 1-line block ×3, first 2 shown]
	v_mul_u32_u24_e32 v70, 0x10001, v84
	v_mul_u32_u24_e32 v90, 0x10001, v86
	ds_load_b128 v[81:84], v36 offset:112
	s_wait_dscnt 0x2
	v_and_b32_e32 v86, 0xffff, v73
	v_lshrrev_b32_e32 v73, 16, v73
	v_pk_fma_f16 v91, v71, v70, v85
	v_pk_fma_f16 v69, v71, v90, v69
	;; [unrolled: 1-line block ×3, first 2 shown]
	v_mul_u32_u24_e32 v70, 0x10001, v86
	v_mul_u32_u24_e32 v71, 0x10001, v73
	v_and_b32_e32 v73, 0xffff, v74
	ds_load_2addr_b64 v[85:88], v89 offset0:64 offset1:96
	v_pk_fma_f16 v35, v72, v90, v35
	v_lshrrev_b32_e32 v72, 16, v74
	s_wait_dscnt 0x2
	v_pk_fma_f16 v74, v77, v70, v91
	v_mul_u32_u24_e32 v73, 0x10001, v73
	v_pk_fma_f16 v69, v77, v71, v69
	v_pk_fma_f16 v67, v78, v70, v67
	v_mul_u32_u24_e32 v70, 0x10001, v72
	v_pk_fma_f16 v35, v78, v71, v35
	v_and_b32_e32 v71, 0xffff, v75
	v_lshrrev_b32_e32 v72, 16, v75
	v_pk_fma_f16 v74, v79, v73, v74
	v_pk_fma_f16 v75, v79, v70, v69
	;; [unrolled: 1-line block ×4, first 2 shown]
	v_mul_u32_u24_e32 v73, 0x10001, v71
	v_mul_u32_u24_e32 v77, 0x10001, v72
	ds_load_2addr_b64 v[69:72], v89 offset0:128 offset1:160
	v_and_b32_e32 v78, 0xffff, v76
	v_lshrrev_b32_e32 v76, 16, v76
	s_wait_dscnt 0x1
	v_pk_fma_f16 v74, v85, v73, v74
	v_pk_fma_f16 v75, v85, v77, v75
	;; [unrolled: 1-line block ×3, first 2 shown]
	v_mul_u32_u24_e32 v73, 0x10001, v78
	v_mul_u32_u24_e32 v78, 0x10001, v76
	v_pk_fma_f16 v35, v86, v77, v35
	v_and_b32_e32 v76, 0xffff, v81
	v_lshrrev_b32_e32 v77, 16, v81
	v_pk_fma_f16 v79, v87, v73, v74
	v_pk_fma_f16 v80, v87, v78, v75
	;; [unrolled: 1-line block ×3, first 2 shown]
	v_mul_u32_u24_e32 v81, 0x10001, v76
	v_mul_u32_u24_e32 v85, 0x10001, v77
	ds_load_2addr_b64 v[73:76], v89 offset0:192 offset1:224
	v_pk_fma_f16 v35, v88, v78, v35
	v_and_b32_e32 v77, 0xffff, v82
	v_lshrrev_b32_e32 v78, 16, v82
	s_wait_dscnt 0x1
	v_pk_fma_f16 v82, v69, v81, v79
	v_pk_fma_f16 v69, v69, v85, v80
	;; [unrolled: 1-line block ×3, first 2 shown]
	v_mul_u32_u24_e32 v81, 0x10001, v77
	v_mul_u32_u24_e32 v86, 0x10001, v78
	ds_load_b128 v[77:80], v36 offset:128
	v_and_b32_e32 v87, 0xffff, v83
	v_pk_fma_f16 v35, v70, v85, v35
	v_pk_fma_f16 v70, v71, v81, v82
	v_pk_fma_f16 v82, v71, v86, v69
	v_lshrrev_b32_e32 v69, 16, v83
	v_mul_u32_u24_e32 v83, 0x10001, v87
	v_add_nc_u32_e32 v89, 0x2000, v34
	v_pk_fma_f16 v67, v72, v81, v67
	v_pk_fma_f16 v35, v72, v86, v35
	v_mul_u32_u24_e32 v81, 0x10001, v69
	s_wait_dscnt 0x1
	v_pk_fma_f16 v85, v73, v83, v70
	ds_load_2addr_b64 v[69:72], v89 offset1:32
	v_and_b32_e32 v86, 0xffff, v84
	v_lshrrev_b32_e32 v84, 16, v84
	v_pk_fma_f16 v73, v73, v81, v82
	v_pk_fma_f16 v67, v74, v83, v67
	;; [unrolled: 1-line block ×3, first 2 shown]
	v_mul_u32_u24_e32 v74, 0x10001, v86
	v_mul_u32_u24_e32 v90, 0x10001, v84
	ds_load_b128 v[81:84], v36 offset:144
	s_wait_dscnt 0x2
	v_and_b32_e32 v86, 0xffff, v77
	v_lshrrev_b32_e32 v77, 16, v77
	v_pk_fma_f16 v91, v75, v74, v85
	v_pk_fma_f16 v67, v76, v74, v67
	v_pk_fma_f16 v73, v75, v90, v73
	v_mul_u32_u24_e32 v74, 0x10001, v86
	ds_load_2addr_b64 v[85:88], v89 offset0:64 offset1:96
	v_mul_u32_u24_e32 v75, 0x10001, v77
	v_and_b32_e32 v77, 0xffff, v78
	v_pk_fma_f16 v35, v76, v90, v35
	v_lshrrev_b32_e32 v76, 16, v78
	s_wait_dscnt 0x2
	v_pk_fma_f16 v78, v69, v74, v91
	v_pk_fma_f16 v69, v69, v75, v73
	v_mul_u32_u24_e32 v77, 0x10001, v77
	v_pk_fma_f16 v67, v70, v74, v67
	v_mul_u32_u24_e32 v73, 0x10001, v76
	v_pk_fma_f16 v35, v70, v75, v35
	v_and_b32_e32 v70, 0xffff, v79
	v_lshrrev_b32_e32 v75, 16, v79
	v_pk_fma_f16 v74, v71, v77, v78
	v_pk_fma_f16 v76, v71, v73, v69
	;; [unrolled: 1-line block ×4, first 2 shown]
	v_mul_u32_u24_e32 v73, 0x10001, v70
	v_mul_u32_u24_e32 v75, 0x10001, v75
	ds_load_2addr_b64 v[69:72], v89 offset0:128 offset1:160
	v_and_b32_e32 v77, 0xffff, v80
	v_lshrrev_b32_e32 v78, 16, v80
	s_wait_dscnt 0x1
	v_pk_fma_f16 v74, v85, v73, v74
	v_pk_fma_f16 v76, v85, v75, v76
	;; [unrolled: 1-line block ×3, first 2 shown]
	v_mul_u32_u24_e32 v73, 0x10001, v77
	v_mul_u32_u24_e32 v77, 0x10001, v78
	v_pk_fma_f16 v35, v86, v75, v35
	v_and_b32_e32 v75, 0xffff, v81
	v_lshrrev_b32_e32 v78, 16, v81
	v_pk_fma_f16 v79, v87, v73, v74
	v_pk_fma_f16 v80, v87, v77, v76
	;; [unrolled: 1-line block ×3, first 2 shown]
	v_mul_u32_u24_e32 v81, 0x10001, v75
	ds_load_2addr_b64 v[73:76], v89 offset0:192 offset1:224
	v_mul_u32_u24_e32 v85, 0x10001, v78
	v_pk_fma_f16 v35, v88, v77, v35
	v_and_b32_e32 v77, 0xffff, v82
	v_lshrrev_b32_e32 v78, 16, v82
	s_wait_dscnt 0x1
	v_pk_fma_f16 v82, v69, v81, v79
	v_pk_fma_f16 v69, v69, v85, v80
	;; [unrolled: 1-line block ×3, first 2 shown]
	v_mul_u32_u24_e32 v81, 0x10001, v77
	v_mul_u32_u24_e32 v86, 0x10001, v78
	v_and_b32_e32 v87, 0xffff, v83
	ds_load_b128 v[77:80], v36 offset:160
	v_pk_fma_f16 v35, v70, v85, v35
	v_pk_fma_f16 v70, v71, v81, v82
	;; [unrolled: 1-line block ×3, first 2 shown]
	v_lshrrev_b32_e32 v69, 16, v83
	v_mul_u32_u24_e32 v83, 0x10001, v87
	v_add_nc_u32_e32 v89, 0x2800, v34
	v_pk_fma_f16 v67, v72, v81, v67
	v_pk_fma_f16 v35, v72, v86, v35
	v_mul_u32_u24_e32 v81, 0x10001, v69
	s_wait_dscnt 0x1
	v_pk_fma_f16 v85, v73, v83, v70
	ds_load_2addr_b64 v[69:72], v89 offset1:32
	v_and_b32_e32 v86, 0xffff, v84
	v_lshrrev_b32_e32 v84, 16, v84
	v_pk_fma_f16 v73, v73, v81, v82
	v_pk_fma_f16 v67, v74, v83, v67
	;; [unrolled: 1-line block ×3, first 2 shown]
	v_mul_u32_u24_e32 v74, 0x10001, v86
	v_mul_u32_u24_e32 v90, 0x10001, v84
	ds_load_b128 v[81:84], v36 offset:176
	s_wait_dscnt 0x2
	v_and_b32_e32 v86, 0xffff, v77
	v_lshrrev_b32_e32 v77, 16, v77
	v_pk_fma_f16 v91, v75, v74, v85
	v_pk_fma_f16 v73, v75, v90, v73
	;; [unrolled: 1-line block ×3, first 2 shown]
	v_mul_u32_u24_e32 v74, 0x10001, v86
	v_mul_u32_u24_e32 v75, 0x10001, v77
	v_and_b32_e32 v77, 0xffff, v78
	ds_load_2addr_b64 v[85:88], v89 offset0:64 offset1:96
	v_pk_fma_f16 v35, v76, v90, v35
	v_lshrrev_b32_e32 v76, 16, v78
	s_wait_dscnt 0x2
	v_pk_fma_f16 v78, v69, v74, v91
	v_mul_u32_u24_e32 v77, 0x10001, v77
	v_pk_fma_f16 v69, v69, v75, v73
	v_pk_fma_f16 v67, v70, v74, v67
	v_mul_u32_u24_e32 v73, 0x10001, v76
	v_pk_fma_f16 v35, v70, v75, v35
	v_and_b32_e32 v70, 0xffff, v79
	v_pk_fma_f16 v74, v71, v77, v78
	v_lshrrev_b32_e32 v75, 16, v79
	v_pk_fma_f16 v76, v71, v73, v69
	v_pk_fma_f16 v67, v72, v77, v67
	;; [unrolled: 1-line block ×3, first 2 shown]
	v_mul_u32_u24_e32 v73, 0x10001, v70
	ds_load_2addr_b64 v[69:72], v89 offset0:128 offset1:160
	v_mul_u32_u24_e32 v75, 0x10001, v75
	v_and_b32_e32 v77, 0xffff, v80
	v_lshrrev_b32_e32 v78, 16, v80
	s_wait_dscnt 0x1
	v_pk_fma_f16 v74, v85, v73, v74
	v_pk_fma_f16 v67, v86, v73, v67
	;; [unrolled: 1-line block ×3, first 2 shown]
	v_mul_u32_u24_e32 v73, 0x10001, v77
	v_mul_u32_u24_e32 v77, 0x10001, v78
	v_pk_fma_f16 v35, v86, v75, v35
	v_and_b32_e32 v75, 0xffff, v81
	v_lshrrev_b32_e32 v78, 16, v81
	v_pk_fma_f16 v79, v87, v73, v74
	v_pk_fma_f16 v80, v87, v77, v76
	;; [unrolled: 1-line block ×3, first 2 shown]
	v_mul_u32_u24_e32 v81, 0x10001, v75
	v_mul_u32_u24_e32 v85, 0x10001, v78
	ds_load_2addr_b64 v[73:76], v89 offset0:192 offset1:224
	v_pk_fma_f16 v35, v88, v77, v35
	v_and_b32_e32 v77, 0xffff, v82
	v_lshrrev_b32_e32 v78, 16, v82
	s_wait_dscnt 0x1
	v_pk_fma_f16 v82, v69, v81, v79
	v_pk_fma_f16 v69, v69, v85, v80
	;; [unrolled: 1-line block ×3, first 2 shown]
	v_mul_u32_u24_e32 v81, 0x10001, v77
	v_mul_u32_u24_e32 v86, 0x10001, v78
	ds_load_b128 v[77:80], v36 offset:192
	v_and_b32_e32 v87, 0xffff, v83
	v_pk_fma_f16 v35, v70, v85, v35
	v_pk_fma_f16 v70, v71, v81, v82
	;; [unrolled: 1-line block ×3, first 2 shown]
	v_lshrrev_b32_e32 v69, 16, v83
	v_mul_u32_u24_e32 v83, 0x10001, v87
	v_add_nc_u32_e32 v89, 0x3000, v34
	v_pk_fma_f16 v67, v72, v81, v67
	v_pk_fma_f16 v35, v72, v86, v35
	v_mul_u32_u24_e32 v81, 0x10001, v69
	s_wait_dscnt 0x1
	v_pk_fma_f16 v85, v73, v83, v70
	ds_load_2addr_b64 v[69:72], v89 offset1:32
	v_and_b32_e32 v86, 0xffff, v84
	v_lshrrev_b32_e32 v84, 16, v84
	v_pk_fma_f16 v73, v73, v81, v82
	v_pk_fma_f16 v67, v74, v83, v67
	v_pk_fma_f16 v35, v74, v81, v35
	v_mul_u32_u24_e32 v74, 0x10001, v86
	v_mul_u32_u24_e32 v90, 0x10001, v84
	ds_load_b128 v[81:84], v36 offset:208
	s_wait_dscnt 0x2
	v_and_b32_e32 v86, 0xffff, v77
	v_lshrrev_b32_e32 v77, 16, v77
	v_pk_fma_f16 v91, v75, v74, v85
	v_pk_fma_f16 v67, v76, v74, v67
	;; [unrolled: 1-line block ×3, first 2 shown]
	v_mul_u32_u24_e32 v74, 0x10001, v86
	ds_load_2addr_b64 v[85:88], v89 offset0:64 offset1:96
	v_mul_u32_u24_e32 v75, 0x10001, v77
	v_and_b32_e32 v77, 0xffff, v78
	v_pk_fma_f16 v35, v76, v90, v35
	v_lshrrev_b32_e32 v76, 16, v78
	s_wait_dscnt 0x2
	v_pk_fma_f16 v78, v69, v74, v91
	v_pk_fma_f16 v69, v69, v75, v73
	v_mul_u32_u24_e32 v77, 0x10001, v77
	v_pk_fma_f16 v67, v70, v74, v67
	v_mul_u32_u24_e32 v73, 0x10001, v76
	v_pk_fma_f16 v35, v70, v75, v35
	v_and_b32_e32 v70, 0xffff, v79
	v_lshrrev_b32_e32 v75, 16, v79
	v_pk_fma_f16 v74, v71, v77, v78
	v_pk_fma_f16 v76, v71, v73, v69
	;; [unrolled: 1-line block ×4, first 2 shown]
	v_mul_u32_u24_e32 v73, 0x10001, v70
	v_mul_u32_u24_e32 v75, 0x10001, v75
	ds_load_2addr_b64 v[69:72], v89 offset0:128 offset1:160
	v_and_b32_e32 v77, 0xffff, v80
	v_lshrrev_b32_e32 v78, 16, v80
	s_wait_dscnt 0x1
	v_pk_fma_f16 v74, v85, v73, v74
	v_pk_fma_f16 v76, v85, v75, v76
	;; [unrolled: 1-line block ×3, first 2 shown]
	v_mul_u32_u24_e32 v73, 0x10001, v77
	v_mul_u32_u24_e32 v77, 0x10001, v78
	v_pk_fma_f16 v35, v86, v75, v35
	v_and_b32_e32 v75, 0xffff, v81
	v_lshrrev_b32_e32 v78, 16, v81
	v_pk_fma_f16 v79, v87, v73, v74
	v_pk_fma_f16 v80, v87, v77, v76
	;; [unrolled: 1-line block ×3, first 2 shown]
	v_mul_u32_u24_e32 v81, 0x10001, v75
	ds_load_2addr_b64 v[73:76], v89 offset0:192 offset1:224
	v_mul_u32_u24_e32 v85, 0x10001, v78
	v_pk_fma_f16 v35, v88, v77, v35
	v_and_b32_e32 v77, 0xffff, v82
	v_lshrrev_b32_e32 v78, 16, v82
	s_wait_dscnt 0x1
	v_pk_fma_f16 v82, v69, v81, v79
	v_pk_fma_f16 v69, v69, v85, v80
	;; [unrolled: 1-line block ×3, first 2 shown]
	v_mul_u32_u24_e32 v81, 0x10001, v77
	v_mul_u32_u24_e32 v86, 0x10001, v78
	v_and_b32_e32 v87, 0xffff, v83
	ds_load_b128 v[77:80], v36 offset:224
	v_pk_fma_f16 v35, v70, v85, v35
	v_pk_fma_f16 v70, v71, v81, v82
	;; [unrolled: 1-line block ×3, first 2 shown]
	v_lshrrev_b32_e32 v69, 16, v83
	v_mul_u32_u24_e32 v83, 0x10001, v87
	v_add_nc_u32_e32 v89, 0x3800, v34
	v_pk_fma_f16 v67, v72, v81, v67
	v_pk_fma_f16 v35, v72, v86, v35
	v_mul_u32_u24_e32 v81, 0x10001, v69
	s_wait_dscnt 0x1
	v_pk_fma_f16 v85, v73, v83, v70
	ds_load_2addr_b64 v[69:72], v89 offset1:32
	v_and_b32_e32 v86, 0xffff, v84
	v_lshrrev_b32_e32 v84, 16, v84
	v_pk_fma_f16 v73, v73, v81, v82
	v_pk_fma_f16 v67, v74, v83, v67
	v_pk_fma_f16 v35, v74, v81, v35
	v_mul_u32_u24_e32 v74, 0x10001, v86
	v_mul_u32_u24_e32 v90, 0x10001, v84
	ds_load_b128 v[81:84], v36 offset:240
	s_wait_dscnt 0x2
	v_and_b32_e32 v86, 0xffff, v77
	v_lshrrev_b32_e32 v77, 16, v77
	v_pk_fma_f16 v91, v75, v74, v85
	v_pk_fma_f16 v73, v75, v90, v73
	;; [unrolled: 1-line block ×3, first 2 shown]
	v_mul_u32_u24_e32 v74, 0x10001, v86
	v_mul_u32_u24_e32 v75, 0x10001, v77
	v_and_b32_e32 v77, 0xffff, v78
	ds_load_2addr_b64 v[85:88], v89 offset0:64 offset1:96
	v_pk_fma_f16 v35, v76, v90, v35
	v_lshrrev_b32_e32 v76, 16, v78
	s_wait_dscnt 0x2
	v_pk_fma_f16 v78, v69, v74, v91
	v_mul_u32_u24_e32 v77, 0x10001, v77
	v_pk_fma_f16 v69, v69, v75, v73
	v_pk_fma_f16 v67, v70, v74, v67
	v_mul_u32_u24_e32 v73, 0x10001, v76
	v_pk_fma_f16 v35, v70, v75, v35
	v_and_b32_e32 v70, 0xffff, v79
	v_pk_fma_f16 v74, v71, v77, v78
	v_lshrrev_b32_e32 v75, 16, v79
	v_pk_fma_f16 v76, v71, v73, v69
	v_pk_fma_f16 v67, v72, v77, v67
	v_pk_fma_f16 v35, v72, v73, v35
	v_mul_u32_u24_e32 v73, 0x10001, v70
	ds_load_2addr_b64 v[69:72], v89 offset0:128 offset1:160
	v_mul_u32_u24_e32 v75, 0x10001, v75
	v_and_b32_e32 v77, 0xffff, v80
	v_lshrrev_b32_e32 v78, 16, v80
	s_wait_dscnt 0x1
	v_pk_fma_f16 v74, v85, v73, v74
	v_pk_fma_f16 v67, v86, v73, v67
	;; [unrolled: 1-line block ×3, first 2 shown]
	v_mul_u32_u24_e32 v73, 0x10001, v77
	v_mul_u32_u24_e32 v77, 0x10001, v78
	v_pk_fma_f16 v35, v86, v75, v35
	v_and_b32_e32 v75, 0xffff, v81
	v_lshrrev_b32_e32 v78, 16, v81
	v_pk_fma_f16 v79, v87, v73, v74
	v_pk_fma_f16 v80, v87, v77, v76
	;; [unrolled: 1-line block ×3, first 2 shown]
	v_mul_u32_u24_e32 v81, 0x10001, v75
	v_mul_u32_u24_e32 v85, 0x10001, v78
	ds_load_2addr_b64 v[73:76], v89 offset0:192 offset1:224
	v_pk_fma_f16 v35, v88, v77, v35
	v_and_b32_e32 v77, 0xffff, v82
	v_lshrrev_b32_e32 v78, 16, v82
	s_wait_dscnt 0x1
	v_pk_fma_f16 v82, v69, v81, v79
	v_pk_fma_f16 v69, v69, v85, v80
	;; [unrolled: 1-line block ×3, first 2 shown]
	v_mul_u32_u24_e32 v81, 0x10001, v77
	v_mul_u32_u24_e32 v86, 0x10001, v78
	ds_load_b128 v[77:80], v36 offset:256
	v_and_b32_e32 v87, 0xffff, v83
	v_pk_fma_f16 v35, v70, v85, v35
	v_pk_fma_f16 v70, v71, v81, v82
	;; [unrolled: 1-line block ×3, first 2 shown]
	v_lshrrev_b32_e32 v69, 16, v83
	v_mul_u32_u24_e32 v83, 0x10001, v87
	v_add_nc_u32_e32 v89, 0x4000, v34
	v_pk_fma_f16 v67, v72, v81, v67
	v_pk_fma_f16 v35, v72, v86, v35
	v_mul_u32_u24_e32 v81, 0x10001, v69
	s_wait_dscnt 0x1
	v_pk_fma_f16 v85, v73, v83, v70
	ds_load_2addr_b64 v[69:72], v89 offset1:32
	v_and_b32_e32 v86, 0xffff, v84
	v_lshrrev_b32_e32 v84, 16, v84
	v_pk_fma_f16 v73, v73, v81, v82
	v_pk_fma_f16 v67, v74, v83, v67
	;; [unrolled: 1-line block ×3, first 2 shown]
	v_mul_u32_u24_e32 v74, 0x10001, v86
	v_mul_u32_u24_e32 v90, 0x10001, v84
	ds_load_b128 v[81:84], v36 offset:272
	s_wait_dscnt 0x2
	v_and_b32_e32 v86, 0xffff, v77
	v_lshrrev_b32_e32 v77, 16, v77
	v_pk_fma_f16 v91, v75, v74, v85
	v_pk_fma_f16 v67, v76, v74, v67
	;; [unrolled: 1-line block ×3, first 2 shown]
	v_mul_u32_u24_e32 v74, 0x10001, v86
	ds_load_2addr_b64 v[85:88], v89 offset0:64 offset1:96
	v_mul_u32_u24_e32 v75, 0x10001, v77
	v_and_b32_e32 v77, 0xffff, v78
	v_pk_fma_f16 v35, v76, v90, v35
	v_lshrrev_b32_e32 v76, 16, v78
	s_wait_dscnt 0x2
	v_pk_fma_f16 v78, v69, v74, v91
	v_pk_fma_f16 v69, v69, v75, v73
	v_mul_u32_u24_e32 v77, 0x10001, v77
	v_pk_fma_f16 v67, v70, v74, v67
	v_mul_u32_u24_e32 v73, 0x10001, v76
	v_pk_fma_f16 v35, v70, v75, v35
	v_and_b32_e32 v70, 0xffff, v79
	v_lshrrev_b32_e32 v75, 16, v79
	v_pk_fma_f16 v74, v71, v77, v78
	v_pk_fma_f16 v76, v71, v73, v69
	;; [unrolled: 1-line block ×4, first 2 shown]
	v_mul_u32_u24_e32 v73, 0x10001, v70
	v_mul_u32_u24_e32 v75, 0x10001, v75
	ds_load_2addr_b64 v[69:72], v89 offset0:128 offset1:160
	v_and_b32_e32 v77, 0xffff, v80
	v_lshrrev_b32_e32 v78, 16, v80
	s_wait_dscnt 0x1
	v_pk_fma_f16 v74, v85, v73, v74
	v_pk_fma_f16 v76, v85, v75, v76
	;; [unrolled: 1-line block ×3, first 2 shown]
	v_mul_u32_u24_e32 v73, 0x10001, v77
	v_mul_u32_u24_e32 v77, 0x10001, v78
	v_pk_fma_f16 v35, v86, v75, v35
	v_and_b32_e32 v75, 0xffff, v81
	v_lshrrev_b32_e32 v78, 16, v81
	v_pk_fma_f16 v79, v87, v73, v74
	v_pk_fma_f16 v80, v87, v77, v76
	;; [unrolled: 1-line block ×3, first 2 shown]
	v_mul_u32_u24_e32 v81, 0x10001, v75
	ds_load_2addr_b64 v[73:76], v89 offset0:192 offset1:224
	v_mul_u32_u24_e32 v85, 0x10001, v78
	v_pk_fma_f16 v35, v88, v77, v35
	v_and_b32_e32 v77, 0xffff, v82
	v_lshrrev_b32_e32 v78, 16, v82
	s_wait_dscnt 0x1
	v_pk_fma_f16 v82, v69, v81, v79
	v_pk_fma_f16 v69, v69, v85, v80
	;; [unrolled: 1-line block ×3, first 2 shown]
	v_mul_u32_u24_e32 v81, 0x10001, v77
	v_mul_u32_u24_e32 v86, 0x10001, v78
	v_and_b32_e32 v87, 0xffff, v83
	ds_load_b128 v[77:80], v36 offset:288
	v_pk_fma_f16 v35, v70, v85, v35
	v_pk_fma_f16 v70, v71, v81, v82
	;; [unrolled: 1-line block ×3, first 2 shown]
	v_lshrrev_b32_e32 v69, 16, v83
	v_mul_u32_u24_e32 v83, 0x10001, v87
	v_add_nc_u32_e32 v89, 0x4800, v34
	v_pk_fma_f16 v67, v72, v81, v67
	v_pk_fma_f16 v35, v72, v86, v35
	v_mul_u32_u24_e32 v81, 0x10001, v69
	s_wait_dscnt 0x1
	v_pk_fma_f16 v85, v73, v83, v70
	ds_load_2addr_b64 v[69:72], v89 offset1:32
	v_and_b32_e32 v86, 0xffff, v84
	v_lshrrev_b32_e32 v84, 16, v84
	v_pk_fma_f16 v73, v73, v81, v82
	v_pk_fma_f16 v67, v74, v83, v67
	;; [unrolled: 1-line block ×3, first 2 shown]
	v_mul_u32_u24_e32 v74, 0x10001, v86
	v_mul_u32_u24_e32 v90, 0x10001, v84
	ds_load_b128 v[81:84], v36 offset:304
	s_wait_dscnt 0x2
	v_and_b32_e32 v86, 0xffff, v77
	v_lshrrev_b32_e32 v77, 16, v77
	v_pk_fma_f16 v91, v75, v74, v85
	v_pk_fma_f16 v73, v75, v90, v73
	;; [unrolled: 1-line block ×3, first 2 shown]
	v_mul_u32_u24_e32 v74, 0x10001, v86
	v_mul_u32_u24_e32 v75, 0x10001, v77
	v_and_b32_e32 v77, 0xffff, v78
	ds_load_2addr_b64 v[85:88], v89 offset0:64 offset1:96
	v_pk_fma_f16 v35, v76, v90, v35
	v_lshrrev_b32_e32 v76, 16, v78
	s_wait_dscnt 0x2
	v_pk_fma_f16 v78, v69, v74, v91
	v_mul_u32_u24_e32 v77, 0x10001, v77
	v_pk_fma_f16 v69, v69, v75, v73
	v_pk_fma_f16 v67, v70, v74, v67
	v_mul_u32_u24_e32 v73, 0x10001, v76
	v_pk_fma_f16 v35, v70, v75, v35
	v_and_b32_e32 v70, 0xffff, v79
	v_pk_fma_f16 v74, v71, v77, v78
	v_lshrrev_b32_e32 v75, 16, v79
	v_pk_fma_f16 v76, v71, v73, v69
	v_pk_fma_f16 v67, v72, v77, v67
	;; [unrolled: 1-line block ×3, first 2 shown]
	v_mul_u32_u24_e32 v73, 0x10001, v70
	ds_load_2addr_b64 v[69:72], v89 offset0:128 offset1:160
	v_mul_u32_u24_e32 v75, 0x10001, v75
	v_and_b32_e32 v77, 0xffff, v80
	v_lshrrev_b32_e32 v78, 16, v80
	s_wait_dscnt 0x1
	v_pk_fma_f16 v74, v85, v73, v74
	v_pk_fma_f16 v67, v86, v73, v67
	;; [unrolled: 1-line block ×3, first 2 shown]
	v_mul_u32_u24_e32 v73, 0x10001, v77
	v_mul_u32_u24_e32 v77, 0x10001, v78
	v_pk_fma_f16 v35, v86, v75, v35
	v_and_b32_e32 v75, 0xffff, v81
	v_lshrrev_b32_e32 v78, 16, v81
	v_pk_fma_f16 v79, v87, v73, v74
	v_pk_fma_f16 v80, v87, v77, v76
	v_pk_fma_f16 v67, v88, v73, v67
	v_mul_u32_u24_e32 v81, 0x10001, v75
	v_mul_u32_u24_e32 v85, 0x10001, v78
	ds_load_2addr_b64 v[73:76], v89 offset0:192 offset1:224
	v_pk_fma_f16 v35, v88, v77, v35
	v_and_b32_e32 v77, 0xffff, v82
	v_lshrrev_b32_e32 v78, 16, v82
	s_wait_dscnt 0x1
	v_pk_fma_f16 v82, v69, v81, v79
	v_pk_fma_f16 v69, v69, v85, v80
	;; [unrolled: 1-line block ×3, first 2 shown]
	v_mul_u32_u24_e32 v81, 0x10001, v77
	v_mul_u32_u24_e32 v86, 0x10001, v78
	ds_load_b128 v[77:80], v36 offset:320
	v_and_b32_e32 v87, 0xffff, v83
	v_pk_fma_f16 v35, v70, v85, v35
	v_pk_fma_f16 v70, v71, v81, v82
	;; [unrolled: 1-line block ×3, first 2 shown]
	v_lshrrev_b32_e32 v69, 16, v83
	v_mul_u32_u24_e32 v83, 0x10001, v87
	v_add_nc_u32_e32 v89, 0x5000, v34
	v_pk_fma_f16 v67, v72, v81, v67
	v_pk_fma_f16 v35, v72, v86, v35
	v_mul_u32_u24_e32 v81, 0x10001, v69
	s_wait_dscnt 0x1
	v_pk_fma_f16 v85, v73, v83, v70
	ds_load_2addr_b64 v[69:72], v89 offset1:32
	v_and_b32_e32 v86, 0xffff, v84
	v_lshrrev_b32_e32 v84, 16, v84
	v_pk_fma_f16 v73, v73, v81, v82
	v_pk_fma_f16 v67, v74, v83, v67
	;; [unrolled: 1-line block ×3, first 2 shown]
	v_mul_u32_u24_e32 v74, 0x10001, v86
	v_mul_u32_u24_e32 v90, 0x10001, v84
	ds_load_b128 v[81:84], v36 offset:336
	s_wait_dscnt 0x2
	v_and_b32_e32 v86, 0xffff, v77
	v_lshrrev_b32_e32 v77, 16, v77
	v_pk_fma_f16 v91, v75, v74, v85
	v_pk_fma_f16 v67, v76, v74, v67
	;; [unrolled: 1-line block ×3, first 2 shown]
	v_mul_u32_u24_e32 v74, 0x10001, v86
	ds_load_2addr_b64 v[85:88], v89 offset0:64 offset1:96
	v_mul_u32_u24_e32 v75, 0x10001, v77
	v_and_b32_e32 v77, 0xffff, v78
	v_pk_fma_f16 v35, v76, v90, v35
	v_lshrrev_b32_e32 v76, 16, v78
	s_wait_dscnt 0x2
	v_pk_fma_f16 v78, v69, v74, v91
	v_pk_fma_f16 v69, v69, v75, v73
	v_mul_u32_u24_e32 v77, 0x10001, v77
	v_pk_fma_f16 v67, v70, v74, v67
	v_mul_u32_u24_e32 v73, 0x10001, v76
	v_pk_fma_f16 v35, v70, v75, v35
	v_and_b32_e32 v70, 0xffff, v79
	v_lshrrev_b32_e32 v75, 16, v79
	v_pk_fma_f16 v74, v71, v77, v78
	v_pk_fma_f16 v76, v71, v73, v69
	;; [unrolled: 1-line block ×4, first 2 shown]
	v_mul_u32_u24_e32 v73, 0x10001, v70
	v_mul_u32_u24_e32 v75, 0x10001, v75
	ds_load_2addr_b64 v[69:72], v89 offset0:128 offset1:160
	v_and_b32_e32 v77, 0xffff, v80
	v_lshrrev_b32_e32 v78, 16, v80
	s_wait_dscnt 0x1
	v_pk_fma_f16 v74, v85, v73, v74
	v_pk_fma_f16 v76, v85, v75, v76
	;; [unrolled: 1-line block ×3, first 2 shown]
	v_mul_u32_u24_e32 v73, 0x10001, v77
	v_mul_u32_u24_e32 v77, 0x10001, v78
	v_pk_fma_f16 v35, v86, v75, v35
	v_and_b32_e32 v75, 0xffff, v81
	v_lshrrev_b32_e32 v78, 16, v81
	v_pk_fma_f16 v79, v87, v73, v74
	v_pk_fma_f16 v80, v87, v77, v76
	;; [unrolled: 1-line block ×3, first 2 shown]
	v_mul_u32_u24_e32 v81, 0x10001, v75
	ds_load_2addr_b64 v[73:76], v89 offset0:192 offset1:224
	v_mul_u32_u24_e32 v85, 0x10001, v78
	v_pk_fma_f16 v35, v88, v77, v35
	v_and_b32_e32 v77, 0xffff, v82
	v_lshrrev_b32_e32 v78, 16, v82
	s_wait_dscnt 0x1
	v_pk_fma_f16 v82, v69, v81, v79
	v_pk_fma_f16 v69, v69, v85, v80
	;; [unrolled: 1-line block ×3, first 2 shown]
	v_mul_u32_u24_e32 v81, 0x10001, v77
	v_mul_u32_u24_e32 v86, 0x10001, v78
	v_and_b32_e32 v87, 0xffff, v83
	ds_load_b128 v[77:80], v36 offset:352
	v_pk_fma_f16 v35, v70, v85, v35
	v_pk_fma_f16 v70, v71, v81, v82
	;; [unrolled: 1-line block ×3, first 2 shown]
	v_lshrrev_b32_e32 v69, 16, v83
	v_mul_u32_u24_e32 v83, 0x10001, v87
	v_add_nc_u32_e32 v89, 0x5800, v34
	v_pk_fma_f16 v67, v72, v81, v67
	v_pk_fma_f16 v35, v72, v86, v35
	v_mul_u32_u24_e32 v81, 0x10001, v69
	s_wait_dscnt 0x1
	v_pk_fma_f16 v85, v73, v83, v70
	ds_load_2addr_b64 v[69:72], v89 offset1:32
	v_and_b32_e32 v86, 0xffff, v84
	v_lshrrev_b32_e32 v84, 16, v84
	v_pk_fma_f16 v73, v73, v81, v82
	v_pk_fma_f16 v67, v74, v83, v67
	;; [unrolled: 1-line block ×3, first 2 shown]
	v_mul_u32_u24_e32 v74, 0x10001, v86
	v_mul_u32_u24_e32 v90, 0x10001, v84
	ds_load_b128 v[81:84], v36 offset:368
	s_wait_dscnt 0x2
	v_and_b32_e32 v86, 0xffff, v77
	v_lshrrev_b32_e32 v77, 16, v77
	v_pk_fma_f16 v91, v75, v74, v85
	v_pk_fma_f16 v73, v75, v90, v73
	;; [unrolled: 1-line block ×3, first 2 shown]
	v_mul_u32_u24_e32 v74, 0x10001, v86
	v_mul_u32_u24_e32 v75, 0x10001, v77
	v_and_b32_e32 v77, 0xffff, v78
	ds_load_2addr_b64 v[85:88], v89 offset0:64 offset1:96
	v_pk_fma_f16 v35, v76, v90, v35
	v_lshrrev_b32_e32 v76, 16, v78
	s_wait_dscnt 0x2
	v_pk_fma_f16 v78, v69, v74, v91
	v_mul_u32_u24_e32 v77, 0x10001, v77
	v_pk_fma_f16 v69, v69, v75, v73
	v_pk_fma_f16 v67, v70, v74, v67
	v_mul_u32_u24_e32 v73, 0x10001, v76
	v_pk_fma_f16 v35, v70, v75, v35
	v_and_b32_e32 v70, 0xffff, v79
	v_pk_fma_f16 v74, v71, v77, v78
	v_lshrrev_b32_e32 v75, 16, v79
	v_pk_fma_f16 v76, v71, v73, v69
	v_pk_fma_f16 v67, v72, v77, v67
	;; [unrolled: 1-line block ×3, first 2 shown]
	v_mul_u32_u24_e32 v73, 0x10001, v70
	ds_load_2addr_b64 v[69:72], v89 offset0:128 offset1:160
	v_mul_u32_u24_e32 v75, 0x10001, v75
	v_and_b32_e32 v77, 0xffff, v80
	v_lshrrev_b32_e32 v78, 16, v80
	s_wait_dscnt 0x1
	v_pk_fma_f16 v74, v85, v73, v74
	v_pk_fma_f16 v67, v86, v73, v67
	;; [unrolled: 1-line block ×3, first 2 shown]
	v_mul_u32_u24_e32 v73, 0x10001, v77
	v_mul_u32_u24_e32 v77, 0x10001, v78
	v_pk_fma_f16 v35, v86, v75, v35
	v_and_b32_e32 v75, 0xffff, v81
	v_lshrrev_b32_e32 v78, 16, v81
	v_pk_fma_f16 v79, v87, v73, v74
	v_pk_fma_f16 v80, v87, v77, v76
	;; [unrolled: 1-line block ×3, first 2 shown]
	v_mul_u32_u24_e32 v81, 0x10001, v75
	v_mul_u32_u24_e32 v85, 0x10001, v78
	ds_load_2addr_b64 v[73:76], v89 offset0:192 offset1:224
	v_pk_fma_f16 v35, v88, v77, v35
	v_and_b32_e32 v77, 0xffff, v82
	v_lshrrev_b32_e32 v78, 16, v82
	s_wait_dscnt 0x1
	v_pk_fma_f16 v82, v69, v81, v79
	v_pk_fma_f16 v69, v69, v85, v80
	v_pk_fma_f16 v67, v70, v81, v67
	v_mul_u32_u24_e32 v81, 0x10001, v77
	v_mul_u32_u24_e32 v86, 0x10001, v78
	ds_load_b128 v[77:80], v36 offset:384
	v_and_b32_e32 v87, 0xffff, v83
	v_pk_fma_f16 v35, v70, v85, v35
	v_pk_fma_f16 v70, v71, v81, v82
	v_pk_fma_f16 v82, v71, v86, v69
	v_lshrrev_b32_e32 v69, 16, v83
	v_mul_u32_u24_e32 v83, 0x10001, v87
	v_add_nc_u32_e32 v89, 0x6000, v34
	v_pk_fma_f16 v67, v72, v81, v67
	v_pk_fma_f16 v35, v72, v86, v35
	v_mul_u32_u24_e32 v81, 0x10001, v69
	s_wait_dscnt 0x1
	v_pk_fma_f16 v85, v73, v83, v70
	ds_load_2addr_b64 v[69:72], v89 offset1:32
	v_and_b32_e32 v86, 0xffff, v84
	v_lshrrev_b32_e32 v84, 16, v84
	v_pk_fma_f16 v73, v73, v81, v82
	v_pk_fma_f16 v67, v74, v83, v67
	;; [unrolled: 1-line block ×3, first 2 shown]
	v_mul_u32_u24_e32 v74, 0x10001, v86
	v_mul_u32_u24_e32 v90, 0x10001, v84
	ds_load_b128 v[81:84], v36 offset:400
	s_wait_dscnt 0x2
	v_and_b32_e32 v86, 0xffff, v77
	v_lshrrev_b32_e32 v77, 16, v77
	v_pk_fma_f16 v91, v75, v74, v85
	v_pk_fma_f16 v67, v76, v74, v67
	;; [unrolled: 1-line block ×3, first 2 shown]
	v_mul_u32_u24_e32 v74, 0x10001, v86
	ds_load_2addr_b64 v[85:88], v89 offset0:64 offset1:96
	v_mul_u32_u24_e32 v75, 0x10001, v77
	v_and_b32_e32 v77, 0xffff, v78
	v_pk_fma_f16 v35, v76, v90, v35
	v_lshrrev_b32_e32 v76, 16, v78
	s_wait_dscnt 0x2
	v_pk_fma_f16 v78, v69, v74, v91
	v_pk_fma_f16 v69, v69, v75, v73
	v_mul_u32_u24_e32 v77, 0x10001, v77
	v_pk_fma_f16 v67, v70, v74, v67
	v_mul_u32_u24_e32 v73, 0x10001, v76
	v_pk_fma_f16 v35, v70, v75, v35
	v_and_b32_e32 v70, 0xffff, v79
	v_lshrrev_b32_e32 v75, 16, v79
	v_pk_fma_f16 v74, v71, v77, v78
	v_pk_fma_f16 v76, v71, v73, v69
	;; [unrolled: 1-line block ×4, first 2 shown]
	v_mul_u32_u24_e32 v73, 0x10001, v70
	v_mul_u32_u24_e32 v75, 0x10001, v75
	ds_load_2addr_b64 v[69:72], v89 offset0:128 offset1:160
	v_and_b32_e32 v77, 0xffff, v80
	v_lshrrev_b32_e32 v78, 16, v80
	s_wait_dscnt 0x1
	v_pk_fma_f16 v74, v85, v73, v74
	v_pk_fma_f16 v76, v85, v75, v76
	;; [unrolled: 1-line block ×3, first 2 shown]
	v_mul_u32_u24_e32 v73, 0x10001, v77
	v_mul_u32_u24_e32 v77, 0x10001, v78
	v_pk_fma_f16 v35, v86, v75, v35
	v_and_b32_e32 v75, 0xffff, v81
	v_lshrrev_b32_e32 v78, 16, v81
	v_pk_fma_f16 v79, v87, v73, v74
	v_pk_fma_f16 v80, v87, v77, v76
	;; [unrolled: 1-line block ×3, first 2 shown]
	v_mul_u32_u24_e32 v81, 0x10001, v75
	ds_load_2addr_b64 v[73:76], v89 offset0:192 offset1:224
	v_mul_u32_u24_e32 v85, 0x10001, v78
	v_pk_fma_f16 v35, v88, v77, v35
	v_and_b32_e32 v77, 0xffff, v82
	v_lshrrev_b32_e32 v78, 16, v82
	s_wait_dscnt 0x1
	v_pk_fma_f16 v82, v69, v81, v79
	v_pk_fma_f16 v69, v69, v85, v80
	;; [unrolled: 1-line block ×3, first 2 shown]
	v_mul_u32_u24_e32 v81, 0x10001, v77
	v_mul_u32_u24_e32 v86, 0x10001, v78
	v_and_b32_e32 v87, 0xffff, v83
	ds_load_b128 v[77:80], v36 offset:416
	v_pk_fma_f16 v35, v70, v85, v35
	v_pk_fma_f16 v70, v71, v81, v82
	;; [unrolled: 1-line block ×3, first 2 shown]
	v_lshrrev_b32_e32 v69, 16, v83
	v_mul_u32_u24_e32 v83, 0x10001, v87
	v_add_nc_u32_e32 v89, 0x6800, v34
	v_pk_fma_f16 v67, v72, v81, v67
	v_pk_fma_f16 v35, v72, v86, v35
	v_mul_u32_u24_e32 v81, 0x10001, v69
	s_wait_dscnt 0x1
	v_pk_fma_f16 v85, v73, v83, v70
	ds_load_2addr_b64 v[69:72], v89 offset1:32
	v_and_b32_e32 v86, 0xffff, v84
	v_lshrrev_b32_e32 v84, 16, v84
	v_pk_fma_f16 v73, v73, v81, v82
	v_pk_fma_f16 v67, v74, v83, v67
	;; [unrolled: 1-line block ×3, first 2 shown]
	v_mul_u32_u24_e32 v74, 0x10001, v86
	v_mul_u32_u24_e32 v90, 0x10001, v84
	ds_load_b128 v[81:84], v36 offset:432
	s_wait_dscnt 0x2
	v_and_b32_e32 v86, 0xffff, v77
	v_lshrrev_b32_e32 v77, 16, v77
	v_pk_fma_f16 v91, v75, v74, v85
	v_pk_fma_f16 v73, v75, v90, v73
	;; [unrolled: 1-line block ×3, first 2 shown]
	v_mul_u32_u24_e32 v74, 0x10001, v86
	v_mul_u32_u24_e32 v75, 0x10001, v77
	v_and_b32_e32 v77, 0xffff, v78
	ds_load_2addr_b64 v[85:88], v89 offset0:64 offset1:96
	v_pk_fma_f16 v35, v76, v90, v35
	v_lshrrev_b32_e32 v76, 16, v78
	s_wait_dscnt 0x2
	v_pk_fma_f16 v78, v69, v74, v91
	v_mul_u32_u24_e32 v77, 0x10001, v77
	v_pk_fma_f16 v69, v69, v75, v73
	v_pk_fma_f16 v67, v70, v74, v67
	v_mul_u32_u24_e32 v73, 0x10001, v76
	v_pk_fma_f16 v35, v70, v75, v35
	v_and_b32_e32 v70, 0xffff, v79
	v_pk_fma_f16 v74, v71, v77, v78
	v_lshrrev_b32_e32 v75, 16, v79
	v_pk_fma_f16 v76, v71, v73, v69
	v_pk_fma_f16 v67, v72, v77, v67
	;; [unrolled: 1-line block ×3, first 2 shown]
	v_mul_u32_u24_e32 v73, 0x10001, v70
	ds_load_2addr_b64 v[69:72], v89 offset0:128 offset1:160
	v_mul_u32_u24_e32 v75, 0x10001, v75
	v_and_b32_e32 v77, 0xffff, v80
	v_lshrrev_b32_e32 v78, 16, v80
	s_wait_dscnt 0x1
	v_pk_fma_f16 v74, v85, v73, v74
	v_pk_fma_f16 v67, v86, v73, v67
	;; [unrolled: 1-line block ×3, first 2 shown]
	v_mul_u32_u24_e32 v73, 0x10001, v77
	v_mul_u32_u24_e32 v77, 0x10001, v78
	v_pk_fma_f16 v35, v86, v75, v35
	v_and_b32_e32 v75, 0xffff, v81
	v_lshrrev_b32_e32 v78, 16, v81
	v_pk_fma_f16 v79, v87, v73, v74
	v_pk_fma_f16 v80, v87, v77, v76
	;; [unrolled: 1-line block ×3, first 2 shown]
	v_mul_u32_u24_e32 v81, 0x10001, v75
	v_mul_u32_u24_e32 v85, 0x10001, v78
	ds_load_2addr_b64 v[73:76], v89 offset0:192 offset1:224
	v_pk_fma_f16 v35, v88, v77, v35
	v_and_b32_e32 v77, 0xffff, v82
	v_lshrrev_b32_e32 v78, 16, v82
	s_wait_dscnt 0x1
	v_pk_fma_f16 v82, v69, v81, v79
	v_pk_fma_f16 v69, v69, v85, v80
	;; [unrolled: 1-line block ×3, first 2 shown]
	v_mul_u32_u24_e32 v81, 0x10001, v77
	v_mul_u32_u24_e32 v86, 0x10001, v78
	ds_load_b128 v[77:80], v36 offset:448
	v_and_b32_e32 v87, 0xffff, v83
	v_pk_fma_f16 v35, v70, v85, v35
	v_pk_fma_f16 v70, v71, v81, v82
	;; [unrolled: 1-line block ×3, first 2 shown]
	v_lshrrev_b32_e32 v69, 16, v83
	v_mul_u32_u24_e32 v83, 0x10001, v87
	v_add_nc_u32_e32 v89, 0x7000, v34
	v_pk_fma_f16 v67, v72, v81, v67
	v_pk_fma_f16 v35, v72, v86, v35
	v_mul_u32_u24_e32 v81, 0x10001, v69
	s_wait_dscnt 0x1
	v_pk_fma_f16 v85, v73, v83, v70
	ds_load_2addr_b64 v[69:72], v89 offset1:32
	v_and_b32_e32 v86, 0xffff, v84
	v_lshrrev_b32_e32 v84, 16, v84
	v_pk_fma_f16 v73, v73, v81, v82
	v_pk_fma_f16 v67, v74, v83, v67
	;; [unrolled: 1-line block ×3, first 2 shown]
	v_mul_u32_u24_e32 v74, 0x10001, v86
	v_mul_u32_u24_e32 v90, 0x10001, v84
	ds_load_b128 v[81:84], v36 offset:464
	s_wait_dscnt 0x2
	v_and_b32_e32 v86, 0xffff, v77
	v_lshrrev_b32_e32 v77, 16, v77
	v_pk_fma_f16 v91, v75, v74, v85
	v_pk_fma_f16 v67, v76, v74, v67
	;; [unrolled: 1-line block ×3, first 2 shown]
	v_mul_u32_u24_e32 v74, 0x10001, v86
	ds_load_2addr_b64 v[85:88], v89 offset0:64 offset1:96
	v_mul_u32_u24_e32 v75, 0x10001, v77
	v_and_b32_e32 v77, 0xffff, v78
	v_pk_fma_f16 v35, v76, v90, v35
	v_lshrrev_b32_e32 v76, 16, v78
	s_wait_dscnt 0x2
	v_pk_fma_f16 v78, v69, v74, v91
	v_pk_fma_f16 v69, v69, v75, v73
	v_mul_u32_u24_e32 v77, 0x10001, v77
	v_pk_fma_f16 v67, v70, v74, v67
	v_mul_u32_u24_e32 v73, 0x10001, v76
	v_pk_fma_f16 v35, v70, v75, v35
	v_and_b32_e32 v70, 0xffff, v79
	v_lshrrev_b32_e32 v75, 16, v79
	v_pk_fma_f16 v74, v71, v77, v78
	v_pk_fma_f16 v76, v71, v73, v69
	v_pk_fma_f16 v67, v72, v77, v67
	v_pk_fma_f16 v35, v72, v73, v35
	v_mul_u32_u24_e32 v73, 0x10001, v70
	v_mul_u32_u24_e32 v75, 0x10001, v75
	ds_load_2addr_b64 v[69:72], v89 offset0:128 offset1:160
	v_and_b32_e32 v77, 0xffff, v80
	v_lshrrev_b32_e32 v78, 16, v80
	s_wait_dscnt 0x1
	v_pk_fma_f16 v74, v85, v73, v74
	v_pk_fma_f16 v76, v85, v75, v76
	;; [unrolled: 1-line block ×3, first 2 shown]
	v_mul_u32_u24_e32 v73, 0x10001, v77
	v_mul_u32_u24_e32 v77, 0x10001, v78
	v_pk_fma_f16 v35, v86, v75, v35
	v_and_b32_e32 v75, 0xffff, v81
	v_lshrrev_b32_e32 v78, 16, v81
	v_pk_fma_f16 v79, v87, v73, v74
	v_pk_fma_f16 v80, v87, v77, v76
	;; [unrolled: 1-line block ×3, first 2 shown]
	v_mul_u32_u24_e32 v81, 0x10001, v75
	ds_load_2addr_b64 v[73:76], v89 offset0:192 offset1:224
	v_mul_u32_u24_e32 v85, 0x10001, v78
	v_pk_fma_f16 v35, v88, v77, v35
	v_and_b32_e32 v77, 0xffff, v82
	v_lshrrev_b32_e32 v78, 16, v82
	s_wait_dscnt 0x1
	v_pk_fma_f16 v82, v69, v81, v79
	v_pk_fma_f16 v69, v69, v85, v80
	;; [unrolled: 1-line block ×3, first 2 shown]
	v_mul_u32_u24_e32 v81, 0x10001, v77
	v_mul_u32_u24_e32 v86, 0x10001, v78
	v_and_b32_e32 v87, 0xffff, v83
	ds_load_b128 v[77:80], v36 offset:480
	v_pk_fma_f16 v35, v70, v85, v35
	v_pk_fma_f16 v70, v71, v81, v82
	;; [unrolled: 1-line block ×3, first 2 shown]
	v_lshrrev_b32_e32 v69, 16, v83
	v_mul_u32_u24_e32 v83, 0x10001, v87
	v_add_nc_u32_e32 v89, 0x7800, v34
	v_pk_fma_f16 v67, v72, v81, v67
	v_pk_fma_f16 v35, v72, v86, v35
	v_mul_u32_u24_e32 v81, 0x10001, v69
	s_wait_dscnt 0x1
	v_pk_fma_f16 v85, v73, v83, v70
	ds_load_2addr_b64 v[69:72], v89 offset1:32
	v_and_b32_e32 v86, 0xffff, v84
	v_lshrrev_b32_e32 v84, 16, v84
	v_pk_fma_f16 v73, v73, v81, v82
	v_pk_fma_f16 v67, v74, v83, v67
	;; [unrolled: 1-line block ×3, first 2 shown]
	v_mul_u32_u24_e32 v74, 0x10001, v86
	v_mul_u32_u24_e32 v90, 0x10001, v84
	ds_load_b128 v[81:84], v36 offset:496
	s_wait_dscnt 0x2
	v_and_b32_e32 v86, 0xffff, v77
	v_lshrrev_b32_e32 v77, 16, v77
	v_pk_fma_f16 v91, v75, v74, v85
	v_pk_fma_f16 v73, v75, v90, v73
	;; [unrolled: 1-line block ×3, first 2 shown]
	v_mul_u32_u24_e32 v74, 0x10001, v86
	v_mul_u32_u24_e32 v75, 0x10001, v77
	v_and_b32_e32 v77, 0xffff, v78
	ds_load_2addr_b64 v[85:88], v89 offset0:64 offset1:96
	v_pk_fma_f16 v35, v76, v90, v35
	v_lshrrev_b32_e32 v76, 16, v78
	s_wait_dscnt 0x2
	v_pk_fma_f16 v78, v69, v74, v91
	v_pk_fma_f16 v69, v69, v75, v73
	v_mul_u32_u24_e32 v73, 0x10001, v77
	v_pk_fma_f16 v67, v70, v74, v67
	v_mul_u32_u24_e32 v77, 0x10001, v76
	v_pk_fma_f16 v35, v70, v75, v35
	v_and_b32_e32 v70, 0xffff, v79
	v_pk_fma_f16 v78, v71, v73, v78
	v_lshrrev_b32_e32 v79, 16, v79
	v_pk_fma_f16 v67, v72, v73, v67
	ds_load_2addr_b64 v[73:76], v89 offset0:128 offset1:160
	v_pk_fma_f16 v69, v71, v77, v69
	v_mul_u32_u24_e32 v70, 0x10001, v70
	v_mul_u32_u24_e32 v71, 0x10001, v79
	v_pk_fma_f16 v35, v72, v77, v35
	v_and_b32_e32 v72, 0xffff, v80
	v_lshrrev_b32_e32 v77, 16, v80
	s_wait_dscnt 0x1
	v_pk_fma_f16 v78, v85, v70, v78
	v_pk_fma_f16 v69, v85, v71, v69
	v_pk_fma_f16 v67, v86, v70, v67
	v_mul_u32_u24_e32 v70, 0x10001, v72
	v_mul_u32_u24_e32 v72, 0x10001, v77
	v_and_b32_e32 v77, 0xffff, v81
	v_lshrrev_b32_e32 v79, 16, v81
	v_pk_fma_f16 v35, v86, v71, v35
	v_pk_fma_f16 v71, v87, v70, v78
	;; [unrolled: 1-line block ×3, first 2 shown]
	v_mul_u32_u24_e32 v77, 0x10001, v77
	v_mul_u32_u24_e32 v78, 0x10001, v79
	v_pk_fma_f16 v38, v88, v70, v67
	v_pk_fma_f16 v35, v88, v72, v35
	v_and_b32_e32 v79, 0xffff, v82
	s_wait_dscnt 0x0
	v_pk_fma_f16 v67, v73, v77, v71
	v_pk_fma_f16 v73, v73, v78, v69
	ds_load_2addr_b64 v[69:72], v89 offset0:192 offset1:224
	s_wait_loadcnt_dscnt 0x0
	s_barrier_signal -1
	s_barrier_wait -1
	global_inv scope:SCOPE_SE
	s_load_b32 s11, s[6:7], 0x4
	v_lshrrev_b32_e32 v80, 16, v82
	v_pk_fma_f16 v38, v74, v77, v38
	v_pk_fma_f16 v35, v74, v78, v35
	v_mul_u32_u24_e32 v74, 0x10001, v79
	v_and_b32_e32 v78, 0xffff, v83
	v_mul_u32_u24_e32 v77, 0x10001, v80
	v_lshrrev_b32_e32 v79, 16, v83
	s_delay_alu instid0(VALU_DEP_4) | instskip(SKIP_1) | instid1(VALU_DEP_4)
	v_pk_fma_f16 v67, v75, v74, v67
	v_pk_fma_f16 v38, v76, v74, v38
	v_pk_fma_f16 v73, v75, v77, v73
	v_mul_u32_u24_e32 v74, 0x10001, v78
	v_mul_u32_u24_e32 v75, 0x10001, v79
	v_and_b32_e32 v78, 0xffff, v84
	v_lshrrev_b32_e32 v79, 16, v84
	v_pk_fma_f16 v35, v76, v77, v35
	v_pk_fma_f16 v67, v69, v74, v67
	;; [unrolled: 1-line block ×3, first 2 shown]
	v_mul_u32_u24_e32 v73, 0x10001, v78
	v_mul_u32_u24_e32 v76, 0x10001, v79
	v_pk_fma_f16 v38, v70, v74, v38
	v_pk_fma_f16 v35, v70, v75, v35
	s_wait_kmcnt 0x0
	s_lshl_b32 s11, s11, 7
	v_pk_fma_f16 v89, v71, v73, v67
	v_pk_fma_f16 v88, v71, v76, v69
	;; [unrolled: 1-line block ×4, first 2 shown]
	s_add_co_i32 s40, s11, s40
	s_wait_alu 0xfffe
	s_cmp_lt_i32 s40, s3
	s_cbranch_scc0 .LBB59_28
; %bb.26:                               ;   in Loop: Header=BB59_8 Depth=1
	v_dual_mov_b32 v69, v4 :: v_dual_mov_b32 v68, v5
	v_dual_mov_b32 v67, v138 :: v_dual_mov_b32 v66, v55
	s_branch .LBB59_8
.LBB59_27:
	v_dual_mov_b32 v4, 0xfeffffff :: v_dual_mov_b32 v89, 0
	v_mov_b32_e32 v138, 0
	v_dual_mov_b32 v38, 0 :: v_dual_mov_b32 v35, 0
	s_delay_alu instid0(VALU_DEP_3)
	v_dual_mov_b32 v88, 0 :: v_dual_mov_b32 v5, v4
.LBB59_28:
	s_cmp_gt_i32 s2, s40
	s_cbranch_scc1 .LBB59_31
; %bb.29:
	v_mbcnt_lo_u32_b32 v0, -1, 0
	v_mov_b32_e32 v10, 32
	s_delay_alu instid0(VALU_DEP_2)
	v_xor_b32_e32 v1, 16, v0
	v_xor_b32_e32 v2, 8, v0
	;; [unrolled: 1-line block ×5, first 2 shown]
	s_cbranch_execz .LBB59_32
; %bb.30:
	v_mov_b32_e32 v7, v0
	s_branch .LBB59_72
.LBB59_31:
                                        ; implicit-def: $vgpr0
                                        ; implicit-def: $vgpr10
                                        ; implicit-def: $vgpr1
                                        ; implicit-def: $vgpr2
                                        ; implicit-def: $vgpr6
                                        ; implicit-def: $vgpr8
                                        ; implicit-def: $vgpr9
.LBB59_32:
	s_mov_b32 s44, 0
	s_ashr_i32 s41, s40, 31
	s_mov_b32 s45, s44
	s_mov_b32 s46, s44
	v_dual_mov_b32 v16, s44 :: v_dual_add_nc_u32 v7, v43, v169
	s_ashr_i32 s9, s8, 31
	s_sub_co_i32 s19, s2, s40
	s_wait_alu 0xfffe
	s_mul_u64 s[6:7], s[40:41], s[8:9]
	v_mul_lo_u32 v8, s8, v7
	s_wait_alu 0xfffe
	s_lshl_b64 s[2:3], s[6:7], 2
	v_dual_mov_b32 v15, 0 :: v_dual_lshlrev_b32 v6, 2, v42
	s_add_nc_u64 s[12:13], s[4:5], s[2:3]
	v_cmp_gt_i32_e64 s2, s19, v7
	s_mov_b64 s[10:11], src_private_base
	v_dual_mov_b32 v17, s45 :: v_dual_mov_b32 v18, s46
	v_ashrrev_i32_e32 v9, 31, v8
	s_clause 0x1
	scratch_store_b32 off, v15, off
	scratch_store_b96 off, v[16:18], off offset:4
	s_lshl_b32 s9, s8, 4
	v_lshlrev_b64_e32 v[0:1], 2, v[8:9]
	s_wait_alu 0xfffe
	v_add_nc_u32_e32 v8, s9, v8
	v_mad_u32_u24 v22, 0x110, v7, v6
	s_cmp_lg_u64 s[36:37], 0
	v_cmp_gt_i32_e64 s10, s19, v135
	v_add_co_u32 v0, vcc_lo, s12, v0
	s_wait_alu 0xfffd
	v_add_co_ci_u32_e64 v1, null, s13, v1, vcc_lo
	v_ashrrev_i32_e32 v9, 31, v8
	s_delay_alu instid0(VALU_DEP_3) | instskip(SKIP_1) | instid1(VALU_DEP_3)
	v_add_co_u32 v0, vcc_lo, v0, v6
	s_wait_alu 0xfffd
	v_add_co_ci_u32_e64 v1, null, 0, v1, vcc_lo
	s_delay_alu instid0(VALU_DEP_3) | instskip(NEXT) | instid1(VALU_DEP_3)
	v_lshlrev_b64_e32 v[9:10], 2, v[8:9]
	v_cndmask_b32_e64 v0, 0, v0, s2
	s_delay_alu instid0(VALU_DEP_3) | instskip(NEXT) | instid1(VALU_DEP_3)
	v_cndmask_b32_e64 v1, s11, v1, s2
	v_add_co_u32 v11, vcc_lo, s12, v9
	flat_load_b128 v[0:3], v[0:1]
	s_wait_alu 0xfffd
	v_add_co_ci_u32_e64 v10, null, s13, v10, vcc_lo
	v_add_nc_u32_e32 v9, 16, v7
	v_add_co_u32 v12, vcc_lo, v11, v6
	s_wait_alu 0xfffd
	s_delay_alu instid0(VALU_DEP_3) | instskip(NEXT) | instid1(VALU_DEP_3)
	v_add_co_ci_u32_e64 v10, null, 0, v10, vcc_lo
	v_cmp_gt_i32_e64 s3, s19, v9
	s_clause 0x1
	scratch_store_b32 off, v15, off
	scratch_store_b96 off, v[16:18], off offset:4
	s_wait_alu 0xf1ff
	v_cndmask_b32_e64 v11, s11, v10, s3
	v_cndmask_b32_e64 v10, 0, v12, s3
	s_wait_loadcnt_dscnt 0x0
	ds_store_b128 v22, v[0:3]
	flat_load_b128 v[0:3], v[10:11]
	v_add_nc_u32_e32 v11, s9, v8
	v_add_nc_u32_e32 v10, 32, v7
	s_clause 0x1
	scratch_store_b32 off, v15, off
	scratch_store_b96 off, v[16:18], off offset:4
	v_ashrrev_i32_e32 v12, 31, v11
	v_cmp_gt_i32_e64 s4, s19, v10
	s_delay_alu instid0(VALU_DEP_2) | instskip(NEXT) | instid1(VALU_DEP_1)
	v_lshlrev_b64_e32 v[12:13], 2, v[11:12]
	v_add_co_u32 v8, vcc_lo, s12, v12
	s_wait_alu 0xfffd
	s_delay_alu instid0(VALU_DEP_2) | instskip(NEXT) | instid1(VALU_DEP_2)
	v_add_co_ci_u32_e64 v12, null, s13, v13, vcc_lo
	v_add_co_u32 v8, vcc_lo, v8, v6
	s_wait_alu 0xfffd
	s_delay_alu instid0(VALU_DEP_2) | instskip(SKIP_1) | instid1(VALU_DEP_1)
	v_add_co_ci_u32_e64 v12, null, 0, v12, vcc_lo
	s_wait_alu 0xf1ff
	v_cndmask_b32_e64 v13, s11, v12, s4
	v_cndmask_b32_e64 v12, 0, v8, s4
	s_wait_loadcnt_dscnt 0x0
	ds_store_b128 v22, v[0:3] offset:4352
	flat_load_b128 v[0:3], v[12:13]
	v_add_nc_u32_e32 v12, s9, v11
	v_add_nc_u32_e32 v11, 48, v7
	s_clause 0x1
	scratch_store_b32 off, v15, off
	scratch_store_b96 off, v[16:18], off offset:4
	v_ashrrev_i32_e32 v13, 31, v12
	v_cmp_gt_i32_e64 s5, s19, v11
	s_delay_alu instid0(VALU_DEP_2) | instskip(NEXT) | instid1(VALU_DEP_1)
	v_lshlrev_b64_e32 v[13:14], 2, v[12:13]
	v_add_co_u32 v8, vcc_lo, s12, v13
	s_wait_alu 0xfffd
	s_delay_alu instid0(VALU_DEP_2) | instskip(NEXT) | instid1(VALU_DEP_2)
	v_add_co_ci_u32_e64 v13, null, s13, v14, vcc_lo
	v_add_co_u32 v8, vcc_lo, v8, v6
	s_wait_alu 0xfffd
	s_delay_alu instid0(VALU_DEP_2) | instskip(SKIP_1) | instid1(VALU_DEP_1)
	v_add_co_ci_u32_e64 v13, null, 0, v13, vcc_lo
	s_wait_alu 0xf1ff
	v_cndmask_b32_e64 v14, s11, v13, s5
	v_cndmask_b32_e64 v13, 0, v8, s5
	s_wait_loadcnt_dscnt 0x0
	ds_store_b128 v22, v[0:3] offset:8704
	flat_load_b128 v[0:3], v[13:14]
	v_add_nc_u32_e32 v13, s9, v12
	v_add_nc_u32_e32 v12, 64, v7
	s_clause 0x1
	scratch_store_b32 off, v15, off
	scratch_store_b96 off, v[16:18], off offset:4
	v_ashrrev_i32_e32 v14, 31, v13
	v_cmp_gt_i32_e64 s6, s19, v12
	s_delay_alu instid0(VALU_DEP_2) | instskip(NEXT) | instid1(VALU_DEP_1)
	v_lshlrev_b64_e32 v[19:20], 2, v[13:14]
	v_add_co_u32 v8, vcc_lo, s12, v19
	s_wait_alu 0xfffd
	s_delay_alu instid0(VALU_DEP_2) | instskip(NEXT) | instid1(VALU_DEP_2)
	v_add_co_ci_u32_e64 v14, null, s13, v20, vcc_lo
	v_add_co_u32 v8, vcc_lo, v8, v6
	s_wait_alu 0xfffd
	s_delay_alu instid0(VALU_DEP_2) | instskip(SKIP_1) | instid1(VALU_DEP_2)
	v_add_co_ci_u32_e64 v14, null, 0, v14, vcc_lo
	s_wait_alu 0xf1ff
	v_cndmask_b32_e64 v19, 0, v8, s6
	s_delay_alu instid0(VALU_DEP_2)
	v_cndmask_b32_e64 v20, s11, v14, s6
	s_wait_loadcnt_dscnt 0x0
	ds_store_b128 v22, v[0:3] offset:13056
	flat_load_b128 v[0:3], v[19:20]
	v_add_nc_u32_e32 v19, s9, v13
	s_clause 0x1
	scratch_store_b32 off, v15, off
	scratch_store_b96 off, v[16:18], off offset:4
	v_ashrrev_i32_e32 v20, 31, v19
	s_delay_alu instid0(VALU_DEP_1) | instskip(SKIP_1) | instid1(VALU_DEP_2)
	v_lshlrev_b64_e32 v[13:14], 2, v[19:20]
	v_add_nc_u32_e32 v19, s9, v19
	v_add_co_u32 v8, vcc_lo, s12, v13
	s_wait_alu 0xfffd
	s_delay_alu instid0(VALU_DEP_3) | instskip(SKIP_1) | instid1(VALU_DEP_3)
	v_add_co_ci_u32_e64 v14, null, s13, v14, vcc_lo
	v_add_nc_u32_e32 v13, 0x50, v7
	v_add_co_u32 v8, vcc_lo, v8, v6
	s_wait_alu 0xfffd
	s_delay_alu instid0(VALU_DEP_3) | instskip(NEXT) | instid1(VALU_DEP_3)
	v_add_co_ci_u32_e64 v14, null, 0, v14, vcc_lo
	v_cmp_gt_i32_e64 s7, s19, v13
	s_wait_alu 0xf1ff
	s_delay_alu instid0(VALU_DEP_1) | instskip(SKIP_2) | instid1(VALU_DEP_1)
	v_cndmask_b32_e64 v21, s11, v14, s7
	v_cndmask_b32_e64 v20, 0, v8, s7
	v_add_nc_u32_e32 v14, 0x60, v7
	v_cmp_gt_i32_e64 s8, s19, v14
	s_wait_loadcnt_dscnt 0x0
	ds_store_b128 v22, v[0:3] offset:17408
	flat_load_b128 v[0:3], v[20:21]
	v_ashrrev_i32_e32 v20, 31, v19
	s_clause 0x1
	scratch_store_b32 off, v15, off
	scratch_store_b96 off, v[16:18], off offset:4
	v_lshlrev_b64_e32 v[20:21], 2, v[19:20]
	v_add_nc_u32_e32 v19, s9, v19
	s_delay_alu instid0(VALU_DEP_2) | instskip(SKIP_1) | instid1(VALU_DEP_3)
	v_add_co_u32 v8, vcc_lo, s12, v20
	s_wait_alu 0xfffd
	v_add_co_ci_u32_e64 v20, null, s13, v21, vcc_lo
	s_delay_alu instid0(VALU_DEP_2) | instskip(SKIP_1) | instid1(VALU_DEP_2)
	v_add_co_u32 v8, vcc_lo, v8, v6
	s_wait_alu 0xfffd
	v_add_co_ci_u32_e64 v20, null, 0, v20, vcc_lo
	s_wait_alu 0xf1ff
	s_delay_alu instid0(VALU_DEP_1) | instskip(SKIP_2) | instid1(VALU_DEP_1)
	v_cndmask_b32_e64 v21, s11, v20, s8
	v_cndmask_b32_e64 v20, 0, v8, s8
	v_add_nc_u32_e32 v8, 0x70, v7
	v_cmp_gt_i32_e64 s9, s19, v8
	s_wait_loadcnt_dscnt 0x0
	ds_store_b128 v22, v[0:3] offset:21760
	flat_load_b128 v[0:3], v[20:21]
	v_ashrrev_i32_e32 v20, 31, v19
	s_clause 0x1
	scratch_store_b32 off, v15, off
	scratch_store_b96 off, v[16:18], off offset:4
	v_dual_mov_b32 v16, 0 :: v_dual_mov_b32 v17, 0
	v_mov_b32_e32 v21, 0
	v_lshlrev_b64_e32 v[19:20], 2, v[19:20]
	v_mov_b32_e32 v18, 0
	s_delay_alu instid0(VALU_DEP_2) | instskip(SKIP_1) | instid1(VALU_DEP_3)
	v_add_co_u32 v19, vcc_lo, s12, v19
	s_wait_alu 0xfffd
	v_add_co_ci_u32_e64 v20, null, s13, v20, vcc_lo
	s_cselect_b32 s12, -1, 0
	v_add_co_u32 v19, vcc_lo, v19, v6
	s_wait_alu 0xfffd
	v_add_co_ci_u32_e64 v20, null, 0, v20, vcc_lo
	s_wait_alu 0xf1ff
	s_delay_alu instid0(VALU_DEP_2) | instskip(NEXT) | instid1(VALU_DEP_2)
	v_cndmask_b32_e64 v19, 0, v19, s9
	v_cndmask_b32_e64 v20, s11, v20, s9
	s_wait_loadcnt_dscnt 0x0
	ds_store_b128 v22, v[0:3] offset:26112
	flat_load_b128 v[0:3], v[19:20]
	v_dual_mov_b32 v19, 0 :: v_dual_mov_b32 v20, 0
	s_wait_loadcnt_dscnt 0x0
	ds_store_b128 v22, v[0:3] offset:30464
	s_wait_storecnt_dscnt 0x0
	s_barrier_signal -1
	s_barrier_wait -1
	global_inv scope:SCOPE_SE
	ds_load_b128 v[0:3], v41
	ds_load_b128 v[23:26], v137 offset:38912
	ds_load_b128 v[27:30], v137 offset:39168
	;; [unrolled: 1-line block ×5, first 2 shown]
	v_mov_b32_e32 v22, 0
	s_wait_dscnt 0x4
	;;#ASMSTART
	v_dot2_f32_f16 v19, v0, v23, v19
	;;#ASMEND
	;;#ASMSTART
	v_dot2_f32_f16 v19, v1, v24, v19
	;;#ASMEND
	;;#ASMSTART
	v_dot2_f32_f16 v19, v2, v25, v19
	;;#ASMEND
	;;#ASMSTART
	v_dot2_f32_f16 v19, v3, v26, v19
	;;#ASMEND
	s_wait_dscnt 0x3
	;;#ASMSTART
	v_dot2_f32_f16 v16, v0, v27, v16
	;;#ASMEND
	;;#ASMSTART
	v_dot2_f32_f16 v16, v1, v28, v16
	;;#ASMEND
	;;#ASMSTART
	v_dot2_f32_f16 v16, v2, v29, v16
	;;#ASMEND
	;;#ASMSTART
	v_dot2_f32_f16 v16, v3, v30, v16
	;;#ASMEND
	;; [unrolled: 13-line block ×3, first 2 shown]
	;;#ASMSTART
	v_dot2_f32_f16 v17, v42, v27, v17
	;;#ASMEND
	;;#ASMSTART
	v_dot2_f32_f16 v17, v43, v28, v17
	;;#ASMEND
	;; [unrolled: 3-line block ×4, first 2 shown]
	s_wait_dscnt 0x1
	;;#ASMSTART
	v_dot2_f32_f16 v21, v46, v23, v21
	;;#ASMEND
	;;#ASMSTART
	v_dot2_f32_f16 v21, v47, v24, v21
	;;#ASMEND
	;;#ASMSTART
	v_dot2_f32_f16 v21, v48, v25, v21
	;;#ASMEND
	;;#ASMSTART
	v_dot2_f32_f16 v21, v49, v26, v21
	;;#ASMEND
	;;#ASMSTART
	v_dot2_f32_f16 v18, v46, v27, v18
	;;#ASMEND
	;;#ASMSTART
	v_dot2_f32_f16 v18, v47, v28, v18
	;;#ASMEND
	;;#ASMSTART
	v_dot2_f32_f16 v18, v48, v29, v18
	;;#ASMEND
	;;#ASMSTART
	v_dot2_f32_f16 v18, v49, v30, v18
	;;#ASMEND
	s_wait_dscnt 0x0
	;;#ASMSTART
	v_dot2_f32_f16 v22, v50, v23, v22
	;;#ASMEND
	;;#ASMSTART
	v_dot2_f32_f16 v22, v51, v24, v22
	;;#ASMEND
	;;#ASMSTART
	v_dot2_f32_f16 v22, v52, v25, v22
	;;#ASMEND
	;;#ASMSTART
	v_dot2_f32_f16 v22, v53, v26, v22
	;;#ASMEND
	;;#ASMSTART
	v_dot2_f32_f16 v15, v50, v27, v15
	;;#ASMEND
	;;#ASMSTART
	v_dot2_f32_f16 v15, v51, v28, v15
	;;#ASMEND
	;;#ASMSTART
	v_dot2_f32_f16 v15, v52, v29, v15
	;;#ASMEND
	;;#ASMSTART
	v_dot2_f32_f16 v15, v53, v30, v15
	;;#ASMEND
	ds_load_b128 v[0:3], v41 offset:16
	ds_load_b128 v[23:26], v137 offset:38928
	;; [unrolled: 1-line block ×6, first 2 shown]
	s_wait_dscnt 0x4
	;;#ASMSTART
	v_dot2_f32_f16 v19, v0, v23, v19
	;;#ASMEND
	;;#ASMSTART
	v_dot2_f32_f16 v19, v1, v24, v19
	;;#ASMEND
	;;#ASMSTART
	v_dot2_f32_f16 v19, v2, v25, v19
	;;#ASMEND
	;;#ASMSTART
	v_dot2_f32_f16 v19, v3, v26, v19
	;;#ASMEND
	s_wait_dscnt 0x3
	;;#ASMSTART
	v_dot2_f32_f16 v16, v0, v27, v16
	;;#ASMEND
	;;#ASMSTART
	v_dot2_f32_f16 v16, v1, v28, v16
	;;#ASMEND
	;;#ASMSTART
	v_dot2_f32_f16 v16, v2, v29, v16
	;;#ASMEND
	;;#ASMSTART
	v_dot2_f32_f16 v16, v3, v30, v16
	;;#ASMEND
	;; [unrolled: 13-line block ×3, first 2 shown]
	;;#ASMSTART
	v_dot2_f32_f16 v17, v42, v27, v17
	;;#ASMEND
	;;#ASMSTART
	v_dot2_f32_f16 v17, v43, v28, v17
	;;#ASMEND
	;; [unrolled: 3-line block ×4, first 2 shown]
	s_wait_dscnt 0x1
	;;#ASMSTART
	v_dot2_f32_f16 v21, v46, v23, v21
	;;#ASMEND
	;;#ASMSTART
	v_dot2_f32_f16 v21, v47, v24, v21
	;;#ASMEND
	;; [unrolled: 3-line block ×8, first 2 shown]
	s_wait_dscnt 0x0
	;;#ASMSTART
	v_dot2_f32_f16 v22, v50, v23, v22
	;;#ASMEND
	;;#ASMSTART
	v_dot2_f32_f16 v22, v51, v24, v22
	;;#ASMEND
	;; [unrolled: 3-line block ×8, first 2 shown]
	ds_load_b128 v[0:3], v41 offset:32
	ds_load_b128 v[23:26], v137 offset:38944
	;; [unrolled: 1-line block ×6, first 2 shown]
	s_wait_dscnt 0x4
	;;#ASMSTART
	v_dot2_f32_f16 v19, v0, v23, v19
	;;#ASMEND
	;;#ASMSTART
	v_dot2_f32_f16 v19, v1, v24, v19
	;;#ASMEND
	;;#ASMSTART
	v_dot2_f32_f16 v19, v2, v25, v19
	;;#ASMEND
	;;#ASMSTART
	v_dot2_f32_f16 v19, v3, v26, v19
	;;#ASMEND
	s_wait_dscnt 0x3
	;;#ASMSTART
	v_dot2_f32_f16 v16, v0, v27, v16
	;;#ASMEND
	;;#ASMSTART
	v_dot2_f32_f16 v16, v1, v28, v16
	;;#ASMEND
	;;#ASMSTART
	v_dot2_f32_f16 v16, v2, v29, v16
	;;#ASMEND
	;;#ASMSTART
	v_dot2_f32_f16 v16, v3, v30, v16
	;;#ASMEND
	;; [unrolled: 13-line block ×3, first 2 shown]
	;;#ASMSTART
	v_dot2_f32_f16 v17, v42, v27, v17
	;;#ASMEND
	;;#ASMSTART
	v_dot2_f32_f16 v17, v43, v28, v17
	;;#ASMEND
	;; [unrolled: 3-line block ×4, first 2 shown]
	s_wait_dscnt 0x1
	;;#ASMSTART
	v_dot2_f32_f16 v21, v46, v23, v21
	;;#ASMEND
	;;#ASMSTART
	v_dot2_f32_f16 v21, v47, v24, v21
	;;#ASMEND
	;; [unrolled: 3-line block ×8, first 2 shown]
	s_wait_dscnt 0x0
	;;#ASMSTART
	v_dot2_f32_f16 v22, v50, v23, v22
	;;#ASMEND
	;;#ASMSTART
	v_dot2_f32_f16 v22, v51, v24, v22
	;;#ASMEND
	;; [unrolled: 3-line block ×8, first 2 shown]
	ds_load_b128 v[0:3], v41 offset:48
	ds_load_b128 v[23:26], v137 offset:38960
	;; [unrolled: 1-line block ×6, first 2 shown]
	s_wait_dscnt 0x4
	;;#ASMSTART
	v_dot2_f32_f16 v19, v0, v23, v19
	;;#ASMEND
	;;#ASMSTART
	v_dot2_f32_f16 v19, v1, v24, v19
	;;#ASMEND
	;;#ASMSTART
	v_dot2_f32_f16 v19, v2, v25, v19
	;;#ASMEND
	;;#ASMSTART
	v_dot2_f32_f16 v19, v3, v26, v19
	;;#ASMEND
	s_wait_dscnt 0x3
	;;#ASMSTART
	v_dot2_f32_f16 v16, v0, v27, v16
	;;#ASMEND
	;;#ASMSTART
	v_dot2_f32_f16 v16, v1, v28, v16
	;;#ASMEND
	;;#ASMSTART
	v_dot2_f32_f16 v16, v2, v29, v16
	;;#ASMEND
	;;#ASMSTART
	v_dot2_f32_f16 v16, v3, v30, v16
	;;#ASMEND
	;; [unrolled: 13-line block ×3, first 2 shown]
	;;#ASMSTART
	v_dot2_f32_f16 v17, v42, v27, v17
	;;#ASMEND
	;;#ASMSTART
	v_dot2_f32_f16 v17, v43, v28, v17
	;;#ASMEND
	;; [unrolled: 3-line block ×4, first 2 shown]
	s_wait_dscnt 0x1
	;;#ASMSTART
	v_dot2_f32_f16 v21, v46, v23, v21
	;;#ASMEND
	;;#ASMSTART
	v_dot2_f32_f16 v21, v47, v24, v21
	;;#ASMEND
	;; [unrolled: 3-line block ×8, first 2 shown]
	s_wait_dscnt 0x0
	;;#ASMSTART
	v_dot2_f32_f16 v22, v50, v23, v22
	;;#ASMEND
	;;#ASMSTART
	v_dot2_f32_f16 v22, v51, v24, v22
	;;#ASMEND
	;; [unrolled: 3-line block ×8, first 2 shown]
	ds_load_b128 v[0:3], v41 offset:64
	ds_load_b128 v[23:26], v137 offset:38976
	;; [unrolled: 1-line block ×6, first 2 shown]
	s_wait_dscnt 0x4
	;;#ASMSTART
	v_dot2_f32_f16 v19, v0, v23, v19
	;;#ASMEND
	;;#ASMSTART
	v_dot2_f32_f16 v19, v1, v24, v19
	;;#ASMEND
	;;#ASMSTART
	v_dot2_f32_f16 v19, v2, v25, v19
	;;#ASMEND
	;;#ASMSTART
	v_dot2_f32_f16 v19, v3, v26, v19
	;;#ASMEND
	s_wait_dscnt 0x3
	;;#ASMSTART
	v_dot2_f32_f16 v16, v0, v27, v16
	;;#ASMEND
	;;#ASMSTART
	v_dot2_f32_f16 v16, v1, v28, v16
	;;#ASMEND
	;;#ASMSTART
	v_dot2_f32_f16 v16, v2, v29, v16
	;;#ASMEND
	;;#ASMSTART
	v_dot2_f32_f16 v16, v3, v30, v16
	;;#ASMEND
	s_wait_dscnt 0x2
	;;#ASMSTART
	v_dot2_f32_f16 v20, v42, v23, v20
	;;#ASMEND
	;;#ASMSTART
	v_dot2_f32_f16 v20, v43, v24, v20
	;;#ASMEND
	;;#ASMSTART
	v_dot2_f32_f16 v20, v44, v25, v20
	;;#ASMEND
	;;#ASMSTART
	v_dot2_f32_f16 v20, v45, v26, v20
	;;#ASMEND
	;;#ASMSTART
	v_dot2_f32_f16 v17, v42, v27, v17
	;;#ASMEND
	;;#ASMSTART
	v_dot2_f32_f16 v17, v43, v28, v17
	;;#ASMEND
	;;#ASMSTART
	v_dot2_f32_f16 v17, v44, v29, v17
	;;#ASMEND
	;;#ASMSTART
	v_dot2_f32_f16 v17, v45, v30, v17
	;;#ASMEND
	s_wait_dscnt 0x1
	;;#ASMSTART
	v_dot2_f32_f16 v21, v46, v23, v21
	;;#ASMEND
	;;#ASMSTART
	v_dot2_f32_f16 v21, v47, v24, v21
	;;#ASMEND
	;; [unrolled: 3-line block ×8, first 2 shown]
	s_wait_dscnt 0x0
	;;#ASMSTART
	v_dot2_f32_f16 v22, v50, v23, v22
	;;#ASMEND
	;;#ASMSTART
	v_dot2_f32_f16 v22, v51, v24, v22
	;;#ASMEND
	;; [unrolled: 3-line block ×8, first 2 shown]
	ds_load_b128 v[0:3], v41 offset:80
	ds_load_b128 v[23:26], v137 offset:38992
	;; [unrolled: 1-line block ×6, first 2 shown]
	s_wait_dscnt 0x4
	;;#ASMSTART
	v_dot2_f32_f16 v19, v0, v23, v19
	;;#ASMEND
	;;#ASMSTART
	v_dot2_f32_f16 v19, v1, v24, v19
	;;#ASMEND
	;;#ASMSTART
	v_dot2_f32_f16 v19, v2, v25, v19
	;;#ASMEND
	;;#ASMSTART
	v_dot2_f32_f16 v19, v3, v26, v19
	;;#ASMEND
	s_wait_dscnt 0x3
	;;#ASMSTART
	v_dot2_f32_f16 v16, v0, v27, v16
	;;#ASMEND
	;;#ASMSTART
	v_dot2_f32_f16 v16, v1, v28, v16
	;;#ASMEND
	;;#ASMSTART
	v_dot2_f32_f16 v16, v2, v29, v16
	;;#ASMEND
	;;#ASMSTART
	v_dot2_f32_f16 v16, v3, v30, v16
	;;#ASMEND
	;; [unrolled: 13-line block ×3, first 2 shown]
	;;#ASMSTART
	v_dot2_f32_f16 v17, v42, v27, v17
	;;#ASMEND
	;;#ASMSTART
	v_dot2_f32_f16 v17, v43, v28, v17
	;;#ASMEND
	;; [unrolled: 3-line block ×4, first 2 shown]
	s_wait_dscnt 0x1
	;;#ASMSTART
	v_dot2_f32_f16 v21, v46, v23, v21
	;;#ASMEND
	;;#ASMSTART
	v_dot2_f32_f16 v21, v47, v24, v21
	;;#ASMEND
	;; [unrolled: 3-line block ×8, first 2 shown]
	s_wait_dscnt 0x0
	;;#ASMSTART
	v_dot2_f32_f16 v22, v50, v23, v22
	;;#ASMEND
	;;#ASMSTART
	v_dot2_f32_f16 v22, v51, v24, v22
	;;#ASMEND
	;;#ASMSTART
	v_dot2_f32_f16 v22, v52, v25, v22
	;;#ASMEND
	;;#ASMSTART
	v_dot2_f32_f16 v22, v53, v26, v22
	;;#ASMEND
	;;#ASMSTART
	v_dot2_f32_f16 v15, v50, v27, v15
	;;#ASMEND
	;;#ASMSTART
	v_dot2_f32_f16 v15, v51, v28, v15
	;;#ASMEND
	;;#ASMSTART
	v_dot2_f32_f16 v15, v52, v29, v15
	;;#ASMEND
	;;#ASMSTART
	v_dot2_f32_f16 v15, v53, v30, v15
	;;#ASMEND
	ds_load_b128 v[0:3], v41 offset:96
	ds_load_b128 v[23:26], v137 offset:39008
	;; [unrolled: 1-line block ×6, first 2 shown]
	s_wait_dscnt 0x4
	;;#ASMSTART
	v_dot2_f32_f16 v19, v0, v23, v19
	;;#ASMEND
	;;#ASMSTART
	v_dot2_f32_f16 v19, v1, v24, v19
	;;#ASMEND
	;;#ASMSTART
	v_dot2_f32_f16 v19, v2, v25, v19
	;;#ASMEND
	;;#ASMSTART
	v_dot2_f32_f16 v19, v3, v26, v19
	;;#ASMEND
	s_wait_dscnt 0x3
	;;#ASMSTART
	v_dot2_f32_f16 v16, v0, v27, v16
	;;#ASMEND
	;;#ASMSTART
	v_dot2_f32_f16 v16, v1, v28, v16
	;;#ASMEND
	;;#ASMSTART
	v_dot2_f32_f16 v16, v2, v29, v16
	;;#ASMEND
	;;#ASMSTART
	v_dot2_f32_f16 v16, v3, v30, v16
	;;#ASMEND
	;; [unrolled: 13-line block ×3, first 2 shown]
	;;#ASMSTART
	v_dot2_f32_f16 v17, v42, v27, v17
	;;#ASMEND
	;;#ASMSTART
	v_dot2_f32_f16 v17, v43, v28, v17
	;;#ASMEND
	;; [unrolled: 3-line block ×4, first 2 shown]
	s_wait_dscnt 0x1
	;;#ASMSTART
	v_dot2_f32_f16 v21, v46, v23, v21
	;;#ASMEND
	;;#ASMSTART
	v_dot2_f32_f16 v21, v47, v24, v21
	;;#ASMEND
	;; [unrolled: 3-line block ×8, first 2 shown]
	s_wait_dscnt 0x0
	;;#ASMSTART
	v_dot2_f32_f16 v22, v50, v23, v22
	;;#ASMEND
	;;#ASMSTART
	v_dot2_f32_f16 v22, v51, v24, v22
	;;#ASMEND
	;;#ASMSTART
	v_dot2_f32_f16 v22, v52, v25, v22
	;;#ASMEND
	;;#ASMSTART
	v_dot2_f32_f16 v22, v53, v26, v22
	;;#ASMEND
	;;#ASMSTART
	v_dot2_f32_f16 v15, v50, v27, v15
	;;#ASMEND
	;;#ASMSTART
	v_dot2_f32_f16 v15, v51, v28, v15
	;;#ASMEND
	;;#ASMSTART
	v_dot2_f32_f16 v15, v52, v29, v15
	;;#ASMEND
	;;#ASMSTART
	v_dot2_f32_f16 v15, v53, v30, v15
	;;#ASMEND
	ds_load_b128 v[0:3], v41 offset:112
	ds_load_b128 v[23:26], v137 offset:39024
	;; [unrolled: 1-line block ×6, first 2 shown]
	s_wait_dscnt 0x4
	;;#ASMSTART
	v_dot2_f32_f16 v19, v0, v23, v19
	;;#ASMEND
	;;#ASMSTART
	v_dot2_f32_f16 v19, v1, v24, v19
	;;#ASMEND
	;;#ASMSTART
	v_dot2_f32_f16 v19, v2, v25, v19
	;;#ASMEND
	;;#ASMSTART
	v_dot2_f32_f16 v19, v3, v26, v19
	;;#ASMEND
	s_wait_dscnt 0x3
	;;#ASMSTART
	v_dot2_f32_f16 v16, v0, v27, v16
	;;#ASMEND
	;;#ASMSTART
	v_dot2_f32_f16 v16, v1, v28, v16
	;;#ASMEND
	;;#ASMSTART
	v_dot2_f32_f16 v16, v2, v29, v16
	;;#ASMEND
	;;#ASMSTART
	v_dot2_f32_f16 v16, v3, v30, v16
	;;#ASMEND
	s_wait_dscnt 0x2
	;;#ASMSTART
	v_dot2_f32_f16 v20, v42, v23, v20
	;;#ASMEND
	;;#ASMSTART
	v_dot2_f32_f16 v20, v43, v24, v20
	;;#ASMEND
	;;#ASMSTART
	v_dot2_f32_f16 v20, v44, v25, v20
	;;#ASMEND
	;;#ASMSTART
	v_dot2_f32_f16 v20, v45, v26, v20
	;;#ASMEND
	;;#ASMSTART
	v_dot2_f32_f16 v17, v42, v27, v17
	;;#ASMEND
	;;#ASMSTART
	v_dot2_f32_f16 v17, v43, v28, v17
	;;#ASMEND
	;; [unrolled: 3-line block ×4, first 2 shown]
	s_wait_dscnt 0x1
	;;#ASMSTART
	v_dot2_f32_f16 v21, v46, v23, v21
	;;#ASMEND
	;;#ASMSTART
	v_dot2_f32_f16 v21, v47, v24, v21
	;;#ASMEND
	;;#ASMSTART
	v_dot2_f32_f16 v21, v48, v25, v21
	;;#ASMEND
	;;#ASMSTART
	v_dot2_f32_f16 v21, v49, v26, v21
	;;#ASMEND
	;;#ASMSTART
	v_dot2_f32_f16 v18, v46, v27, v18
	;;#ASMEND
	;;#ASMSTART
	v_dot2_f32_f16 v18, v47, v28, v18
	;;#ASMEND
	;;#ASMSTART
	v_dot2_f32_f16 v18, v48, v29, v18
	;;#ASMEND
	;;#ASMSTART
	v_dot2_f32_f16 v18, v49, v30, v18
	;;#ASMEND
	s_wait_dscnt 0x0
	;;#ASMSTART
	v_dot2_f32_f16 v22, v50, v23, v22
	;;#ASMEND
	;;#ASMSTART
	v_dot2_f32_f16 v22, v51, v24, v22
	;;#ASMEND
	;; [unrolled: 3-line block ×8, first 2 shown]
	ds_load_b128 v[0:3], v41 offset:128
	ds_load_b128 v[23:26], v137 offset:39040
	;; [unrolled: 1-line block ×6, first 2 shown]
	s_wait_dscnt 0x4
	;;#ASMSTART
	v_dot2_f32_f16 v19, v0, v23, v19
	;;#ASMEND
	;;#ASMSTART
	v_dot2_f32_f16 v19, v1, v24, v19
	;;#ASMEND
	;;#ASMSTART
	v_dot2_f32_f16 v19, v2, v25, v19
	;;#ASMEND
	;;#ASMSTART
	v_dot2_f32_f16 v19, v3, v26, v19
	;;#ASMEND
	s_wait_dscnt 0x3
	;;#ASMSTART
	v_dot2_f32_f16 v16, v0, v27, v16
	;;#ASMEND
	;;#ASMSTART
	v_dot2_f32_f16 v16, v1, v28, v16
	;;#ASMEND
	;;#ASMSTART
	v_dot2_f32_f16 v16, v2, v29, v16
	;;#ASMEND
	;;#ASMSTART
	v_dot2_f32_f16 v16, v3, v30, v16
	;;#ASMEND
	;; [unrolled: 13-line block ×3, first 2 shown]
	;;#ASMSTART
	v_dot2_f32_f16 v17, v42, v27, v17
	;;#ASMEND
	;;#ASMSTART
	v_dot2_f32_f16 v17, v43, v28, v17
	;;#ASMEND
	;; [unrolled: 3-line block ×4, first 2 shown]
	s_wait_dscnt 0x1
	;;#ASMSTART
	v_dot2_f32_f16 v21, v46, v23, v21
	;;#ASMEND
	;;#ASMSTART
	v_dot2_f32_f16 v21, v47, v24, v21
	;;#ASMEND
	;; [unrolled: 3-line block ×8, first 2 shown]
	s_wait_dscnt 0x0
	;;#ASMSTART
	v_dot2_f32_f16 v22, v50, v23, v22
	;;#ASMEND
	;;#ASMSTART
	v_dot2_f32_f16 v22, v51, v24, v22
	;;#ASMEND
	;; [unrolled: 3-line block ×8, first 2 shown]
	ds_load_b128 v[0:3], v41 offset:144
	ds_load_b128 v[23:26], v137 offset:39056
	;; [unrolled: 1-line block ×6, first 2 shown]
	s_wait_dscnt 0x4
	;;#ASMSTART
	v_dot2_f32_f16 v19, v0, v23, v19
	;;#ASMEND
	;;#ASMSTART
	v_dot2_f32_f16 v19, v1, v24, v19
	;;#ASMEND
	;;#ASMSTART
	v_dot2_f32_f16 v19, v2, v25, v19
	;;#ASMEND
	;;#ASMSTART
	v_dot2_f32_f16 v19, v3, v26, v19
	;;#ASMEND
	s_wait_dscnt 0x3
	;;#ASMSTART
	v_dot2_f32_f16 v16, v0, v27, v16
	;;#ASMEND
	;;#ASMSTART
	v_dot2_f32_f16 v16, v1, v28, v16
	;;#ASMEND
	;;#ASMSTART
	v_dot2_f32_f16 v16, v2, v29, v16
	;;#ASMEND
	;;#ASMSTART
	v_dot2_f32_f16 v16, v3, v30, v16
	;;#ASMEND
	;; [unrolled: 13-line block ×3, first 2 shown]
	;;#ASMSTART
	v_dot2_f32_f16 v17, v42, v27, v17
	;;#ASMEND
	;;#ASMSTART
	v_dot2_f32_f16 v17, v43, v28, v17
	;;#ASMEND
	;; [unrolled: 3-line block ×4, first 2 shown]
	s_wait_dscnt 0x1
	;;#ASMSTART
	v_dot2_f32_f16 v21, v46, v23, v21
	;;#ASMEND
	;;#ASMSTART
	v_dot2_f32_f16 v21, v47, v24, v21
	;;#ASMEND
	;; [unrolled: 3-line block ×8, first 2 shown]
	s_wait_dscnt 0x0
	;;#ASMSTART
	v_dot2_f32_f16 v22, v50, v23, v22
	;;#ASMEND
	;;#ASMSTART
	v_dot2_f32_f16 v22, v51, v24, v22
	;;#ASMEND
	;; [unrolled: 3-line block ×8, first 2 shown]
	ds_load_b128 v[0:3], v41 offset:160
	ds_load_b128 v[23:26], v137 offset:39072
	;; [unrolled: 1-line block ×6, first 2 shown]
	s_wait_dscnt 0x4
	;;#ASMSTART
	v_dot2_f32_f16 v19, v0, v23, v19
	;;#ASMEND
	;;#ASMSTART
	v_dot2_f32_f16 v19, v1, v24, v19
	;;#ASMEND
	;;#ASMSTART
	v_dot2_f32_f16 v19, v2, v25, v19
	;;#ASMEND
	;;#ASMSTART
	v_dot2_f32_f16 v19, v3, v26, v19
	;;#ASMEND
	s_wait_dscnt 0x3
	;;#ASMSTART
	v_dot2_f32_f16 v16, v0, v27, v16
	;;#ASMEND
	;;#ASMSTART
	v_dot2_f32_f16 v16, v1, v28, v16
	;;#ASMEND
	;;#ASMSTART
	v_dot2_f32_f16 v16, v2, v29, v16
	;;#ASMEND
	;;#ASMSTART
	v_dot2_f32_f16 v16, v3, v30, v16
	;;#ASMEND
	;; [unrolled: 13-line block ×3, first 2 shown]
	;;#ASMSTART
	v_dot2_f32_f16 v17, v42, v27, v17
	;;#ASMEND
	;;#ASMSTART
	v_dot2_f32_f16 v17, v43, v28, v17
	;;#ASMEND
	;; [unrolled: 3-line block ×4, first 2 shown]
	s_wait_dscnt 0x1
	;;#ASMSTART
	v_dot2_f32_f16 v21, v46, v23, v21
	;;#ASMEND
	;;#ASMSTART
	v_dot2_f32_f16 v21, v47, v24, v21
	;;#ASMEND
	;; [unrolled: 3-line block ×8, first 2 shown]
	s_wait_dscnt 0x0
	;;#ASMSTART
	v_dot2_f32_f16 v22, v50, v23, v22
	;;#ASMEND
	;;#ASMSTART
	v_dot2_f32_f16 v22, v51, v24, v22
	;;#ASMEND
	;; [unrolled: 3-line block ×8, first 2 shown]
	ds_load_b128 v[0:3], v41 offset:176
	ds_load_b128 v[23:26], v137 offset:39088
	;; [unrolled: 1-line block ×6, first 2 shown]
	s_wait_dscnt 0x4
	;;#ASMSTART
	v_dot2_f32_f16 v19, v0, v23, v19
	;;#ASMEND
	;;#ASMSTART
	v_dot2_f32_f16 v19, v1, v24, v19
	;;#ASMEND
	;;#ASMSTART
	v_dot2_f32_f16 v19, v2, v25, v19
	;;#ASMEND
	;;#ASMSTART
	v_dot2_f32_f16 v19, v3, v26, v19
	;;#ASMEND
	s_wait_dscnt 0x3
	;;#ASMSTART
	v_dot2_f32_f16 v16, v0, v27, v16
	;;#ASMEND
	;;#ASMSTART
	v_dot2_f32_f16 v16, v1, v28, v16
	;;#ASMEND
	;;#ASMSTART
	v_dot2_f32_f16 v16, v2, v29, v16
	;;#ASMEND
	;;#ASMSTART
	v_dot2_f32_f16 v16, v3, v30, v16
	;;#ASMEND
	;; [unrolled: 13-line block ×3, first 2 shown]
	;;#ASMSTART
	v_dot2_f32_f16 v17, v42, v27, v17
	;;#ASMEND
	;;#ASMSTART
	v_dot2_f32_f16 v17, v43, v28, v17
	;;#ASMEND
	;; [unrolled: 3-line block ×4, first 2 shown]
	s_wait_dscnt 0x1
	;;#ASMSTART
	v_dot2_f32_f16 v21, v46, v23, v21
	;;#ASMEND
	;;#ASMSTART
	v_dot2_f32_f16 v21, v47, v24, v21
	;;#ASMEND
	;; [unrolled: 3-line block ×8, first 2 shown]
	s_wait_dscnt 0x0
	;;#ASMSTART
	v_dot2_f32_f16 v22, v50, v23, v22
	;;#ASMEND
	;;#ASMSTART
	v_dot2_f32_f16 v22, v51, v24, v22
	;;#ASMEND
	;; [unrolled: 3-line block ×8, first 2 shown]
	ds_load_b128 v[0:3], v41 offset:192
	ds_load_b128 v[23:26], v137 offset:39104
	;; [unrolled: 1-line block ×6, first 2 shown]
	s_wait_dscnt 0x4
	;;#ASMSTART
	v_dot2_f32_f16 v19, v0, v23, v19
	;;#ASMEND
	;;#ASMSTART
	v_dot2_f32_f16 v19, v1, v24, v19
	;;#ASMEND
	;;#ASMSTART
	v_dot2_f32_f16 v19, v2, v25, v19
	;;#ASMEND
	;;#ASMSTART
	v_dot2_f32_f16 v19, v3, v26, v19
	;;#ASMEND
	s_wait_dscnt 0x3
	;;#ASMSTART
	v_dot2_f32_f16 v16, v0, v27, v16
	;;#ASMEND
	;;#ASMSTART
	v_dot2_f32_f16 v16, v1, v28, v16
	;;#ASMEND
	;;#ASMSTART
	v_dot2_f32_f16 v16, v2, v29, v16
	;;#ASMEND
	;;#ASMSTART
	v_dot2_f32_f16 v16, v3, v30, v16
	;;#ASMEND
	;; [unrolled: 13-line block ×3, first 2 shown]
	;;#ASMSTART
	v_dot2_f32_f16 v17, v42, v27, v17
	;;#ASMEND
	;;#ASMSTART
	v_dot2_f32_f16 v17, v43, v28, v17
	;;#ASMEND
	;; [unrolled: 3-line block ×4, first 2 shown]
	s_wait_dscnt 0x1
	;;#ASMSTART
	v_dot2_f32_f16 v21, v46, v23, v21
	;;#ASMEND
	;;#ASMSTART
	v_dot2_f32_f16 v21, v47, v24, v21
	;;#ASMEND
	;; [unrolled: 3-line block ×8, first 2 shown]
	s_wait_dscnt 0x0
	;;#ASMSTART
	v_dot2_f32_f16 v22, v50, v23, v22
	;;#ASMEND
	;;#ASMSTART
	v_dot2_f32_f16 v22, v51, v24, v22
	;;#ASMEND
	;; [unrolled: 3-line block ×8, first 2 shown]
	ds_load_b128 v[0:3], v41 offset:208
	ds_load_b128 v[23:26], v137 offset:39120
	;; [unrolled: 1-line block ×6, first 2 shown]
	s_wait_dscnt 0x4
	;;#ASMSTART
	v_dot2_f32_f16 v19, v0, v23, v19
	;;#ASMEND
	;;#ASMSTART
	v_dot2_f32_f16 v19, v1, v24, v19
	;;#ASMEND
	;;#ASMSTART
	v_dot2_f32_f16 v19, v2, v25, v19
	;;#ASMEND
	;;#ASMSTART
	v_dot2_f32_f16 v19, v3, v26, v19
	;;#ASMEND
	s_wait_dscnt 0x3
	;;#ASMSTART
	v_dot2_f32_f16 v16, v0, v27, v16
	;;#ASMEND
	;;#ASMSTART
	v_dot2_f32_f16 v16, v1, v28, v16
	;;#ASMEND
	;;#ASMSTART
	v_dot2_f32_f16 v16, v2, v29, v16
	;;#ASMEND
	;;#ASMSTART
	v_dot2_f32_f16 v16, v3, v30, v16
	;;#ASMEND
	s_wait_dscnt 0x2
	;;#ASMSTART
	v_dot2_f32_f16 v20, v42, v23, v20
	;;#ASMEND
	;;#ASMSTART
	v_dot2_f32_f16 v20, v43, v24, v20
	;;#ASMEND
	;;#ASMSTART
	v_dot2_f32_f16 v20, v44, v25, v20
	;;#ASMEND
	;;#ASMSTART
	v_dot2_f32_f16 v20, v45, v26, v20
	;;#ASMEND
	;;#ASMSTART
	v_dot2_f32_f16 v17, v42, v27, v17
	;;#ASMEND
	;;#ASMSTART
	v_dot2_f32_f16 v17, v43, v28, v17
	;;#ASMEND
	;; [unrolled: 3-line block ×4, first 2 shown]
	s_wait_dscnt 0x1
	;;#ASMSTART
	v_dot2_f32_f16 v21, v46, v23, v21
	;;#ASMEND
	;;#ASMSTART
	v_dot2_f32_f16 v21, v47, v24, v21
	;;#ASMEND
	;; [unrolled: 3-line block ×8, first 2 shown]
	s_wait_dscnt 0x0
	;;#ASMSTART
	v_dot2_f32_f16 v22, v50, v23, v22
	;;#ASMEND
	;;#ASMSTART
	v_dot2_f32_f16 v22, v51, v24, v22
	;;#ASMEND
	;; [unrolled: 3-line block ×8, first 2 shown]
	ds_load_b128 v[0:3], v41 offset:224
	ds_load_b128 v[23:26], v137 offset:39136
	;; [unrolled: 1-line block ×6, first 2 shown]
	s_wait_dscnt 0x4
	;;#ASMSTART
	v_dot2_f32_f16 v19, v0, v23, v19
	;;#ASMEND
	;;#ASMSTART
	v_dot2_f32_f16 v19, v1, v24, v19
	;;#ASMEND
	;;#ASMSTART
	v_dot2_f32_f16 v19, v2, v25, v19
	;;#ASMEND
	;;#ASMSTART
	v_dot2_f32_f16 v19, v3, v26, v19
	;;#ASMEND
	s_wait_dscnt 0x3
	;;#ASMSTART
	v_dot2_f32_f16 v16, v0, v27, v16
	;;#ASMEND
	;;#ASMSTART
	v_dot2_f32_f16 v16, v1, v28, v16
	;;#ASMEND
	;;#ASMSTART
	v_dot2_f32_f16 v16, v2, v29, v16
	;;#ASMEND
	;;#ASMSTART
	v_dot2_f32_f16 v16, v3, v30, v16
	;;#ASMEND
	;; [unrolled: 13-line block ×3, first 2 shown]
	;;#ASMSTART
	v_dot2_f32_f16 v17, v42, v27, v17
	;;#ASMEND
	;;#ASMSTART
	v_dot2_f32_f16 v17, v43, v28, v17
	;;#ASMEND
	;; [unrolled: 3-line block ×4, first 2 shown]
	s_wait_dscnt 0x1
	;;#ASMSTART
	v_dot2_f32_f16 v21, v46, v23, v21
	;;#ASMEND
	;;#ASMSTART
	v_dot2_f32_f16 v21, v47, v24, v21
	;;#ASMEND
	;;#ASMSTART
	v_dot2_f32_f16 v21, v48, v25, v21
	;;#ASMEND
	;;#ASMSTART
	v_dot2_f32_f16 v21, v49, v26, v21
	;;#ASMEND
	;;#ASMSTART
	v_dot2_f32_f16 v18, v46, v27, v18
	;;#ASMEND
	;;#ASMSTART
	v_dot2_f32_f16 v18, v47, v28, v18
	;;#ASMEND
	;;#ASMSTART
	v_dot2_f32_f16 v18, v48, v29, v18
	;;#ASMEND
	;;#ASMSTART
	v_dot2_f32_f16 v18, v49, v30, v18
	;;#ASMEND
	s_wait_dscnt 0x0
	;;#ASMSTART
	v_dot2_f32_f16 v22, v50, v23, v22
	;;#ASMEND
	;;#ASMSTART
	v_dot2_f32_f16 v22, v51, v24, v22
	;;#ASMEND
	;; [unrolled: 3-line block ×8, first 2 shown]
	ds_load_b128 v[24:27], v41 offset:240
	ds_load_b128 v[29:32], v137 offset:39152
	;; [unrolled: 1-line block ×6, first 2 shown]
	s_wait_dscnt 0x4
	;;#ASMSTART
	v_dot2_f32_f16 v19, v24, v29, v19
	;;#ASMEND
	;;#ASMSTART
	v_dot2_f32_f16 v19, v25, v30, v19
	;;#ASMEND
	;;#ASMSTART
	v_dot2_f32_f16 v19, v26, v31, v19
	;;#ASMEND
	;;#ASMSTART
	v_dot2_f32_f16 v19, v27, v32, v19
	;;#ASMEND
	s_wait_dscnt 0x3
	;;#ASMSTART
	v_dot2_f32_f16 v16, v24, v42, v16
	;;#ASMEND
	;;#ASMSTART
	v_dot2_f32_f16 v16, v25, v43, v16
	;;#ASMEND
	;;#ASMSTART
	v_dot2_f32_f16 v16, v26, v44, v16
	;;#ASMEND
	;;#ASMSTART
	v_dot2_f32_f16 v16, v27, v45, v16
	;;#ASMEND
	s_wait_dscnt 0x2
	;;#ASMSTART
	v_dot2_f32_f16 v20, v46, v29, v20
	;;#ASMEND
	;;#ASMSTART
	v_dot2_f32_f16 v20, v47, v30, v20
	;;#ASMEND
	;;#ASMSTART
	v_dot2_f32_f16 v20, v48, v31, v20
	;;#ASMEND
	;;#ASMSTART
	v_dot2_f32_f16 v20, v49, v32, v20
	;;#ASMEND
	;;#ASMSTART
	v_dot2_f32_f16 v17, v46, v42, v17
	;;#ASMEND
	;;#ASMSTART
	v_dot2_f32_f16 v17, v47, v43, v17
	;;#ASMEND
	;; [unrolled: 3-line block ×4, first 2 shown]
	s_wait_dscnt 0x1
	;;#ASMSTART
	v_dot2_f32_f16 v21, v50, v29, v21
	;;#ASMEND
	;;#ASMSTART
	v_dot2_f32_f16 v21, v51, v30, v21
	;;#ASMEND
	;; [unrolled: 3-line block ×5, first 2 shown]
	v_mad_co_u64_u32 v[2:3], null, v40, s14, s[40:41]
	;;#ASMSTART
	v_dot2_f32_f16 v18, v51, v43, v18
	;;#ASMEND
	;;#ASMSTART
	v_dot2_f32_f16 v18, v52, v44, v18
	;;#ASMEND
	v_mov_b32_e32 v0, v4
	;;#ASMSTART
	v_dot2_f32_f16 v18, v53, v45, v18
	;;#ASMEND
	s_wait_dscnt 0x0
	;;#ASMSTART
	v_dot2_f32_f16 v22, v56, v29, v22
	;;#ASMEND
	v_mov_b32_e32 v23, 0
	v_mov_b32_e32 v1, v5
	s_wait_alu 0xfffe
	v_cndmask_b32_e64 v28, 0, 1, s12
	;;#ASMSTART
	v_dot2_f32_f16 v22, v57, v30, v22
	;;#ASMEND
	;;#ASMSTART
	v_dot2_f32_f16 v22, v58, v31, v22
	;;#ASMEND
	;; [unrolled: 3-line block ×7, first 2 shown]
	s_and_saveexec_b32 s11, s10
	s_cbranch_execz .LBB59_36
; %bb.33:
	s_and_not1_b32 vcc_lo, exec_lo, s12
	s_wait_alu 0xfffe
	s_cbranch_vccnz .LBB59_35
; %bb.34:
	v_add_nc_u32_e32 v0, v2, v135
	s_delay_alu instid0(VALU_DEP_1) | instskip(NEXT) | instid1(VALU_DEP_1)
	v_ashrrev_i32_e32 v1, 31, v0
	v_lshlrev_b64_e32 v[0:1], 1, v[0:1]
	s_delay_alu instid0(VALU_DEP_1) | instskip(SKIP_1) | instid1(VALU_DEP_2)
	v_add_co_u32 v0, vcc_lo, s36, v0
	s_wait_alu 0xfffd
	v_add_co_ci_u32_e64 v1, null, s37, v1, vcc_lo
	global_load_u16 v0, v[0:1], off
	s_wait_loadcnt 0x0
	v_cvt_f32_f16_e32 v0, v0
	s_delay_alu instid0(VALU_DEP_1)
	v_mul_f32_e32 v23, v37, v0
.LBB59_35:
	s_delay_alu instid0(VALU_DEP_1) | instskip(NEXT) | instid1(VALU_DEP_1)
	v_dual_add_f32 v19, v19, v23 :: v_dual_max_num_f32 v0, v4, v4
	v_add_f32_e32 v1, 0x40051340, v19
	s_delay_alu instid0(VALU_DEP_1)
	v_dual_max_num_f32 v0, v0, v1 :: v_dual_mov_b32 v1, v5
.LBB59_36:
	s_wait_alu 0xfffe
	s_or_b32 exec_lo, exec_lo, s11
	v_add_nc_u32_e32 v23, 32, v135
	s_delay_alu instid0(VALU_DEP_1)
	v_cmp_gt_i32_e64 s11, s19, v23
	s_and_saveexec_b32 s12, s11
	s_cbranch_execz .LBB59_41
; %bb.37:
	v_cmp_ne_u32_e32 vcc_lo, 1, v28
	s_cbranch_vccnz .LBB59_39
; %bb.38:
	v_ashrrev_i32_e32 v3, 31, v2
	v_add_co_u32 v24, vcc_lo, v2, v135
	s_wait_alu 0xfffd
	s_delay_alu instid0(VALU_DEP_2) | instskip(NEXT) | instid1(VALU_DEP_1)
	v_add_co_ci_u32_e64 v25, null, 0, v3, vcc_lo
	v_lshlrev_b64_e32 v[24:25], 1, v[24:25]
	s_delay_alu instid0(VALU_DEP_1) | instskip(SKIP_1) | instid1(VALU_DEP_2)
	v_add_co_u32 v24, vcc_lo, s36, v24
	s_wait_alu 0xfffd
	v_add_co_ci_u32_e64 v25, null, s37, v25, vcc_lo
	global_load_u16 v3, v[24:25], off offset:64
	s_wait_loadcnt 0x0
	v_cvt_f32_f16_e32 v3, v3
	s_delay_alu instid0(VALU_DEP_1)
	v_mul_f32_e32 v3, v37, v3
	s_branch .LBB59_40
.LBB59_39:
	v_mov_b32_e32 v3, 0
.LBB59_40:
	s_delay_alu instid0(VALU_DEP_1) | instskip(SKIP_1) | instid1(VALU_DEP_2)
	v_add_f32_e32 v20, v20, v3
	v_max_num_f32_e32 v0, v0, v0
	v_add_f32_e32 v3, 0x40051340, v20
	s_delay_alu instid0(VALU_DEP_1)
	v_max_num_f32_e32 v0, v0, v3
.LBB59_41:
	s_wait_alu 0xfffe
	s_or_b32 exec_lo, exec_lo, s12
	v_add_nc_u32_e32 v24, 64, v135
	s_delay_alu instid0(VALU_DEP_1)
	v_cmp_gt_i32_e64 s12, s19, v24
	s_and_saveexec_b32 s13, s12
	s_cbranch_execz .LBB59_46
; %bb.42:
	v_cmp_ne_u32_e32 vcc_lo, 1, v28
	s_cbranch_vccnz .LBB59_44
; %bb.43:
	v_ashrrev_i32_e32 v3, 31, v2
	v_add_co_u32 v25, vcc_lo, v2, v135
	s_wait_alu 0xfffd
	s_delay_alu instid0(VALU_DEP_2) | instskip(NEXT) | instid1(VALU_DEP_1)
	v_add_co_ci_u32_e64 v26, null, 0, v3, vcc_lo
	v_lshlrev_b64_e32 v[25:26], 1, v[25:26]
	s_delay_alu instid0(VALU_DEP_1) | instskip(SKIP_1) | instid1(VALU_DEP_2)
	v_add_co_u32 v25, vcc_lo, s36, v25
	s_wait_alu 0xfffd
	v_add_co_ci_u32_e64 v26, null, s37, v26, vcc_lo
	global_load_u16 v3, v[25:26], off offset:128
	s_wait_loadcnt 0x0
	v_cvt_f32_f16_e32 v3, v3
	s_delay_alu instid0(VALU_DEP_1)
	v_mul_f32_e32 v3, v37, v3
	s_branch .LBB59_45
.LBB59_44:
	v_mov_b32_e32 v3, 0
.LBB59_45:
	s_delay_alu instid0(VALU_DEP_1) | instskip(NEXT) | instid1(VALU_DEP_1)
	v_dual_add_f32 v21, v21, v3 :: v_dual_max_num_f32 v0, v0, v0
	v_add_f32_e32 v3, 0x40051340, v21
	s_delay_alu instid0(VALU_DEP_1)
	v_max_num_f32_e32 v0, v0, v3
.LBB59_46:
	s_wait_alu 0xfffe
	s_or_b32 exec_lo, exec_lo, s13
	v_add_nc_u32_e32 v25, 0x60, v135
	s_delay_alu instid0(VALU_DEP_1)
	v_cmp_gt_i32_e64 s13, s19, v25
	s_and_saveexec_b32 s15, s13
	s_cbranch_execz .LBB59_51
; %bb.47:
	v_cmp_ne_u32_e32 vcc_lo, 1, v28
	s_cbranch_vccnz .LBB59_49
; %bb.48:
	v_ashrrev_i32_e32 v3, 31, v2
	v_add_co_u32 v2, vcc_lo, v2, v135
	s_wait_alu 0xfffd
	s_delay_alu instid0(VALU_DEP_2) | instskip(NEXT) | instid1(VALU_DEP_1)
	v_add_co_ci_u32_e64 v3, null, 0, v3, vcc_lo
	v_lshlrev_b64_e32 v[2:3], 1, v[2:3]
	s_delay_alu instid0(VALU_DEP_1) | instskip(SKIP_1) | instid1(VALU_DEP_2)
	v_add_co_u32 v2, vcc_lo, s36, v2
	s_wait_alu 0xfffd
	v_add_co_ci_u32_e64 v3, null, s37, v3, vcc_lo
	global_load_u16 v2, v[2:3], off offset:192
	s_wait_loadcnt 0x0
	v_cvt_f32_f16_e32 v2, v2
	s_delay_alu instid0(VALU_DEP_1)
	v_mul_f32_e32 v2, v37, v2
	s_branch .LBB59_50
.LBB59_49:
	v_mov_b32_e32 v2, 0
.LBB59_50:
	s_delay_alu instid0(VALU_DEP_1) | instskip(SKIP_1) | instid1(VALU_DEP_2)
	v_add_f32_e32 v22, v22, v2
	v_max_num_f32_e32 v0, v0, v0
	v_add_f32_e32 v2, 0x40051340, v22
	s_delay_alu instid0(VALU_DEP_1)
	v_max_num_f32_e32 v0, v0, v2
.LBB59_51:
	s_wait_alu 0xfffe
	s_or_b32 exec_lo, exec_lo, s15
	v_xor_b32_e32 v2, 16, v172
	v_xor_b32_e32 v3, 8, v172
	v_mul_hi_u32 v32, s24, v39
	s_delay_alu instid0(VALU_DEP_3)
	v_cmp_gt_i32_e32 vcc_lo, 32, v2
	s_clause 0x1
	scratch_store_b32 off, v2, off offset:32
	scratch_store_b32 off, v3, off offset:28
	s_wait_alu 0xfffd
	v_cndmask_b32_e32 v2, v172, v2, vcc_lo
	v_cmp_gt_i32_e32 vcc_lo, 32, v3
	s_wait_alu 0xfffd
	v_cndmask_b32_e32 v3, v172, v3, vcc_lo
	s_delay_alu instid0(VALU_DEP_1) | instskip(SKIP_1) | instid1(VALU_DEP_1)
	v_lshlrev_b32_e32 v30, 2, v3
	v_xor_b32_e32 v3, 4, v172
	v_cmp_gt_i32_e32 vcc_lo, 32, v3
	scratch_store_b32 off, v3, off offset:36 ; 4-byte Folded Spill
	s_wait_alu 0xfffd
	v_cndmask_b32_e32 v3, v172, v3, vcc_lo
	s_delay_alu instid0(VALU_DEP_1)
	v_lshlrev_b32_e32 v27, 2, v3
	v_lshlrev_b32_e32 v29, 2, v2
	v_xor_b32_e32 v3, 2, v172
	ds_bpermute_b32 v2, v29, v0
	v_max_num_f32_e32 v0, v0, v0
	v_cmp_gt_i32_e32 vcc_lo, 32, v3
	scratch_store_b32 off, v3, off offset:40 ; 4-byte Folded Spill
	s_wait_dscnt 0x0
	v_max_num_f32_e32 v2, v2, v2
	s_delay_alu instid0(VALU_DEP_1) | instskip(SKIP_3) | instid1(VALU_DEP_1)
	v_max_num_f32_e32 v0, v0, v2
	ds_bpermute_b32 v2, v30, v0
	s_wait_dscnt 0x0
	v_max_num_f32_e32 v2, v2, v2
	v_max_num_f32_e32 v0, v0, v2
	ds_bpermute_b32 v2, v27, v0
	s_wait_dscnt 0x0
	s_wait_alu 0xfffd
	v_dual_cndmask_b32 v3, v172, v3 :: v_dual_max_num_f32 v2, v2, v2
	s_delay_alu instid0(VALU_DEP_1) | instskip(SKIP_1) | instid1(VALU_DEP_3)
	v_lshlrev_b32_e32 v26, 2, v3
	v_xor_b32_e32 v3, 1, v172
	v_max_num_f32_e32 v2, v0, v2
	s_delay_alu instid0(VALU_DEP_2)
	v_cmp_gt_i32_e32 vcc_lo, 32, v3
	scratch_store_b32 off, v3, off offset:44 ; 4-byte Folded Spill
	ds_bpermute_b32 v0, v26, v2
	s_wait_alu 0xfffd
	v_cndmask_b32_e32 v3, v172, v3, vcc_lo
	s_wait_dscnt 0x0
	v_max_num_f32_e32 v31, v0, v0
	s_delay_alu instid0(VALU_DEP_1) | instskip(NEXT) | instid1(VALU_DEP_3)
	v_dual_max_num_f32 v31, v2, v31 :: v_dual_add_nc_u32 v2, v39, v32
	v_lshlrev_b32_e32 v0, 2, v3
	s_delay_alu instid0(VALU_DEP_2) | instskip(SKIP_2) | instid1(VALU_DEP_1)
	v_lshrrev_b32_e32 v2, s25, v2
	ds_bpermute_b32 v3, v0, v31
	v_mul_lo_u32 v2, v2, s26
	v_sub_nc_u32_e32 v2, v39, v2
	s_wait_dscnt 0x0
	v_max_num_f32_e32 v32, v3, v3
	s_delay_alu instid0(VALU_DEP_2) | instskip(NEXT) | instid1(VALU_DEP_2)
	v_mad_co_u64_u32 v[2:3], null, v2, s14, s[40:41]
	v_max_num_f32_e32 v128, v31, v32
	s_and_saveexec_b32 s14, s10
	s_cbranch_execnz .LBB59_55
; %bb.52:
	s_wait_alu 0xfffe
	s_or_b32 exec_lo, exec_lo, s14
	s_and_saveexec_b32 s10, s11
	s_cbranch_execnz .LBB59_59
.LBB59_53:
	s_wait_alu 0xfffe
	s_or_b32 exec_lo, exec_lo, s10
	s_and_saveexec_b32 s10, s12
	s_cbranch_execnz .LBB59_63
.LBB59_54:
	s_wait_alu 0xfffe
	s_or_b32 exec_lo, exec_lo, s10
	s_and_saveexec_b32 s10, s13
	s_cbranch_execnz .LBB59_67
	s_branch .LBB59_71
.LBB59_55:
	v_cmp_ne_u32_e32 vcc_lo, 1, v28
	s_cbranch_vccnz .LBB59_57
; %bb.56:
	s_delay_alu instid0(VALU_DEP_3) | instskip(NEXT) | instid1(VALU_DEP_1)
	v_add_nc_u32_e32 v31, v2, v135
	v_ashrrev_i32_e32 v32, 31, v31
	s_delay_alu instid0(VALU_DEP_1) | instskip(NEXT) | instid1(VALU_DEP_1)
	v_lshlrev_b64_e32 v[31:32], 1, v[31:32]
	v_add_co_u32 v31, vcc_lo, s36, v31
	s_wait_alu 0xfffd
	s_delay_alu instid0(VALU_DEP_2) | instskip(SKIP_3) | instid1(VALU_DEP_1)
	v_add_co_ci_u32_e64 v32, null, s37, v32, vcc_lo
	global_load_u16 v3, v[31:32], off
	s_wait_loadcnt 0x0
	v_cvt_f32_f16_e32 v3, v3
	v_mul_f32_e32 v3, v37, v3
	s_branch .LBB59_58
.LBB59_57:
	v_mov_b32_e32 v3, 0
.LBB59_58:
	s_delay_alu instid0(VALU_DEP_1) | instskip(NEXT) | instid1(VALU_DEP_1)
	v_dual_add_f32 v16, v16, v3 :: v_dual_max_num_f32 v1, v1, v1
	v_add_f32_e32 v3, 0x40051340, v16
	s_delay_alu instid0(VALU_DEP_1)
	v_max_num_f32_e32 v1, v1, v3
	s_wait_alu 0xfffe
	s_or_b32 exec_lo, exec_lo, s14
	s_and_saveexec_b32 s10, s11
	s_cbranch_execz .LBB59_53
.LBB59_59:
	v_cmp_ne_u32_e32 vcc_lo, 1, v28
	s_cbranch_vccnz .LBB59_61
; %bb.60:
	v_ashrrev_i32_e32 v3, 31, v2
	v_add_co_u32 v31, vcc_lo, v2, v135
	s_wait_alu 0xfffd
	s_delay_alu instid0(VALU_DEP_2) | instskip(NEXT) | instid1(VALU_DEP_1)
	v_add_co_ci_u32_e64 v32, null, 0, v3, vcc_lo
	v_lshlrev_b64_e32 v[31:32], 1, v[31:32]
	s_delay_alu instid0(VALU_DEP_1) | instskip(SKIP_1) | instid1(VALU_DEP_2)
	v_add_co_u32 v31, vcc_lo, s36, v31
	s_wait_alu 0xfffd
	v_add_co_ci_u32_e64 v32, null, s37, v32, vcc_lo
	global_load_u16 v3, v[31:32], off offset:64
	s_wait_loadcnt 0x0
	v_cvt_f32_f16_e32 v3, v3
	s_delay_alu instid0(VALU_DEP_1)
	v_mul_f32_e32 v3, v37, v3
	s_branch .LBB59_62
.LBB59_61:
	v_mov_b32_e32 v3, 0
.LBB59_62:
	s_delay_alu instid0(VALU_DEP_1) | instskip(SKIP_1) | instid1(VALU_DEP_2)
	v_add_f32_e32 v17, v17, v3
	v_max_num_f32_e32 v1, v1, v1
	v_add_f32_e32 v3, 0x40051340, v17
	s_delay_alu instid0(VALU_DEP_1)
	v_max_num_f32_e32 v1, v1, v3
	s_wait_alu 0xfffe
	s_or_b32 exec_lo, exec_lo, s10
	s_and_saveexec_b32 s10, s12
	s_cbranch_execz .LBB59_54
.LBB59_63:
	v_cmp_ne_u32_e32 vcc_lo, 1, v28
	s_cbranch_vccnz .LBB59_65
; %bb.64:
	v_ashrrev_i32_e32 v3, 31, v2
	v_add_co_u32 v31, vcc_lo, v2, v135
	s_wait_alu 0xfffd
	s_delay_alu instid0(VALU_DEP_2) | instskip(NEXT) | instid1(VALU_DEP_1)
	v_add_co_ci_u32_e64 v32, null, 0, v3, vcc_lo
	v_lshlrev_b64_e32 v[31:32], 1, v[31:32]
	s_delay_alu instid0(VALU_DEP_1) | instskip(SKIP_1) | instid1(VALU_DEP_2)
	v_add_co_u32 v31, vcc_lo, s36, v31
	s_wait_alu 0xfffd
	v_add_co_ci_u32_e64 v32, null, s37, v32, vcc_lo
	global_load_u16 v3, v[31:32], off offset:128
	s_wait_loadcnt 0x0
	v_cvt_f32_f16_e32 v3, v3
	s_delay_alu instid0(VALU_DEP_1)
	v_mul_f32_e32 v3, v37, v3
	s_branch .LBB59_66
.LBB59_65:
	v_mov_b32_e32 v3, 0
.LBB59_66:
	s_delay_alu instid0(VALU_DEP_1) | instskip(NEXT) | instid1(VALU_DEP_1)
	v_dual_add_f32 v18, v18, v3 :: v_dual_max_num_f32 v1, v1, v1
	v_add_f32_e32 v3, 0x40051340, v18
	s_delay_alu instid0(VALU_DEP_1)
	v_max_num_f32_e32 v1, v1, v3
	s_wait_alu 0xfffe
	s_or_b32 exec_lo, exec_lo, s10
	s_and_saveexec_b32 s10, s13
	s_cbranch_execz .LBB59_71
.LBB59_67:
	v_cmp_ne_u32_e32 vcc_lo, 1, v28
	s_cbranch_vccnz .LBB59_69
; %bb.68:
	v_ashrrev_i32_e32 v3, 31, v2
	v_add_co_u32 v2, vcc_lo, v2, v135
	s_wait_alu 0xfffd
	s_delay_alu instid0(VALU_DEP_2) | instskip(NEXT) | instid1(VALU_DEP_1)
	v_add_co_ci_u32_e64 v3, null, 0, v3, vcc_lo
	v_lshlrev_b64_e32 v[2:3], 1, v[2:3]
	s_delay_alu instid0(VALU_DEP_1) | instskip(SKIP_1) | instid1(VALU_DEP_2)
	v_add_co_u32 v2, vcc_lo, s36, v2
	s_wait_alu 0xfffd
	v_add_co_ci_u32_e64 v3, null, s37, v3, vcc_lo
	global_load_u16 v2, v[2:3], off offset:192
	s_wait_loadcnt 0x0
	v_cvt_f32_f16_e32 v2, v2
	s_delay_alu instid0(VALU_DEP_1)
	v_mul_f32_e32 v2, v37, v2
	s_branch .LBB59_70
.LBB59_69:
	v_mov_b32_e32 v2, 0
.LBB59_70:
	s_delay_alu instid0(VALU_DEP_1) | instskip(NEXT) | instid1(VALU_DEP_1)
	v_add_f32_e32 v15, v15, v2
	v_dual_max_num_f32 v1, v1, v1 :: v_dual_add_f32 v2, 0x40051340, v15
	s_delay_alu instid0(VALU_DEP_1)
	v_max_num_f32_e32 v1, v1, v2
.LBB59_71:
	s_wait_alu 0xfffe
	s_or_b32 exec_lo, exec_lo, s10
	ds_bpermute_b32 v2, v29, v1
	v_max_num_f32_e32 v1, v1, v1
	s_mov_b32 s12, 0
	s_mov_b64 s[14:15], src_private_base
	s_wait_alu 0xfffe
	s_mov_b32 s13, s12
	s_mov_b32 s14, s12
	s_ashr_i32 s35, s34, 31
	v_lshl_add_u32 v33, v23, 2, v36
	s_wait_alu 0xfffe
	s_mul_u64 s[10:11], s[40:41], s[34:35]
	v_lshl_add_u32 v37, v24, 2, v36
	s_wait_alu 0xfffe
	s_lshl_b64 s[10:11], s[10:11], 2
	s_clause 0x2
	scratch_store_b32 off, v171, off offset:24
	scratch_store_b32 off, v169, off offset:20
	;; [unrolled: 1-line block ×3, first 2 shown]
	s_wait_alu 0xfffe
	s_add_nc_u64 s[24:25], s[38:39], s[10:11]
	v_cmp_gt_u32_e64 s10, s19, v23
	v_cmp_gt_u32_e64 s11, s19, v24
	s_wait_storecnt 0x0
	s_wait_loadcnt_dscnt 0x0
	s_barrier_signal -1
	s_barrier_wait -1
	global_inv scope:SCOPE_SE
	v_lshl_or_b32 v9, v9, 8, v6
	v_max_num_f32_e32 v2, v2, v2
	v_lshl_or_b32 v12, v12, 8, v6
	v_add_nc_u32_e32 v153, 0x4000, v34
	v_add_nc_u32_e32 v151, 0x5000, v34
	;; [unrolled: 1-line block ×3, first 2 shown]
	v_max_num_f32_e32 v1, v1, v2
	v_dual_sub_f32 v3, v19, v128 :: v_dual_add_nc_u32 v150, 0x6800, v34
	v_sub_f32_e32 v19, v20, v128
	v_dual_sub_f32 v20, v21, v128 :: v_dual_mov_b32 v39, 0
	ds_bpermute_b32 v2, v30, v1
	v_dual_sub_f32 v21, v22, v128 :: v_dual_add_nc_u32 v32, v36, v170
	v_mul_lo_u32 v30, s34, v7
	v_lshl_add_u32 v36, v25, 2, v36
	v_lshl_or_b32 v7, v7, 8, v6
	v_mul_f32_e32 v22, 0x3fb8aa3b, v3
	v_mul_f32_e32 v42, 0x3fb8aa3b, v21
	s_delay_alu instid0(VALU_DEP_2)
	v_fma_f32 v44, 0x3fb8aa3b, v3, -v22
	v_rndne_f32_e32 v45, v22
	v_mul_f32_e32 v41, 0x3fb8aa3b, v20
	v_ashrrev_i32_e32 v31, 31, v30
	v_fma_f32 v50, 0x3fb8aa3b, v21, -v42
	v_fmac_f32_e32 v44, 0x32a5705f, v3
	v_sub_f32_e32 v22, v22, v45
	v_fma_f32 v48, 0x3fb8aa3b, v20, -v41
	v_rndne_f32_e32 v49, v41
	s_wait_dscnt 0x0
	v_max_num_f32_e32 v2, v2, v2
	v_rndne_f32_e32 v51, v42
	s_delay_alu instid0(VALU_DEP_3) | instskip(NEXT) | instid1(VALU_DEP_3)
	v_dual_add_f32 v22, v22, v44 :: v_dual_sub_f32 v41, v41, v49
	v_max_num_f32_e32 v1, v1, v2
	s_delay_alu instid0(VALU_DEP_2) | instskip(SKIP_4) | instid1(VALU_DEP_2)
	v_exp_f32_e32 v22, v22
	ds_bpermute_b32 v2, v27, v1
	s_wait_dscnt 0x0
	v_dual_max_num_f32 v2, v2, v2 :: v_dual_mov_b32 v29, s14
	v_dual_mul_f32 v40, 0x3fb8aa3b, v19 :: v_dual_mov_b32 v27, s12
	v_dual_mov_b32 v28, s13 :: v_dual_max_num_f32 v43, v1, v2
	v_lshlrev_b64_e32 v[1:2], 2, v[30:31]
	v_cvt_i32_f32_e32 v31, v45
	s_delay_alu instid0(VALU_DEP_4)
	v_fma_f32 v46, 0x3fb8aa3b, v19, -v40
	v_rndne_f32_e32 v47, v40
	ds_bpermute_b32 v26, v26, v43
	v_cmp_gt_u32_e64 s12, s19, v25
	s_wait_alu 0xfffe
	v_add_co_u32 v1, vcc_lo, s24, v1
	s_wait_alu 0xfffd
	v_add_co_ci_u32_e64 v2, null, s25, v2, vcc_lo
	v_fmac_f32_e32 v46, 0x32a5705f, v19
	s_delay_alu instid0(VALU_DEP_3) | instskip(SKIP_1) | instid1(VALU_DEP_3)
	v_add_co_u32 v1, vcc_lo, v1, v6
	s_wait_alu 0xfffd
	v_add_co_ci_u32_e64 v2, null, 0, v2, vcc_lo
	v_cmp_ngt_f32_e32 vcc_lo, 0xc2ce8ed0, v3
	v_cvt_i32_f32_e32 v45, v47
	s_clause 0x1
	scratch_store_b32 off, v39, off
	scratch_store_b96 off, v[27:29], off offset:4
	v_ldexp_f32 v22, v22, v31
	s_wait_alu 0xfffd
	s_delay_alu instid0(VALU_DEP_1) | instskip(SKIP_4) | instid1(VALU_DEP_2)
	v_cndmask_b32_e32 v22, 0, v22, vcc_lo
	v_cmp_ngt_f32_e32 vcc_lo, 0xc2ce8ed0, v19
	v_fmac_f32_e32 v48, 0x32a5705f, v20
	v_sub_f32_e32 v40, v40, v47
	v_cvt_i32_f32_e32 v47, v49
	v_dual_add_f32 v41, v41, v48 :: v_dual_add_f32 v40, v40, v46
	s_delay_alu instid0(VALU_DEP_1) | instskip(NEXT) | instid1(VALU_DEP_1)
	v_exp_f32_e32 v41, v41
	v_exp_f32_e32 v40, v40
	s_delay_alu instid0(TRANS32_DEP_1) | instskip(NEXT) | instid1(TRANS32_DEP_2)
	v_ldexp_f32 v31, v40, v45
	v_ldexp_f32 v40, v41, v47
	s_wait_dscnt 0x0
	s_wait_alu 0xfffd
	s_delay_alu instid0(VALU_DEP_2) | instskip(SKIP_1) | instid1(VALU_DEP_2)
	v_dual_cndmask_b32 v31, 0, v31 :: v_dual_max_num_f32 v26, v26, v26
	v_cmp_ngt_f32_e32 vcc_lo, 0xc2ce8ed0, v20
	v_max_num_f32_e32 v26, v43, v26
	s_wait_alu 0xfffd
	v_cndmask_b32_e32 v40, 0, v40, vcc_lo
	v_cmp_ngt_f32_e32 vcc_lo, 0xc2ce8ed0, v21
	v_sub_f32_e32 v42, v42, v51
	v_cvt_i32_f32_e32 v43, v51
	ds_bpermute_b32 v0, v0, v26
	s_wait_dscnt 0x0
	v_max_num_f32_e32 v0, v0, v0
	s_delay_alu instid0(VALU_DEP_1) | instskip(NEXT) | instid1(VALU_DEP_1)
	v_dual_fmac_f32 v50, 0x32a5705f, v21 :: v_dual_max_num_f32 v129, v26, v0
	v_dual_add_f32 v42, v42, v50 :: v_dual_sub_f32 v15, v15, v129
	s_delay_alu instid0(VALU_DEP_1) | instskip(NEXT) | instid1(VALU_DEP_1)
	v_exp_f32_e32 v42, v42
	v_mul_f32_e32 v23, 0x3fb8aa3b, v15
	s_delay_alu instid0(VALU_DEP_1) | instskip(NEXT) | instid1(TRANS32_DEP_1)
	v_rndne_f32_e32 v46, v23
	v_ldexp_f32 v41, v42, v43
	v_fma_f32 v45, 0x3fb8aa3b, v15, -v23
	s_delay_alu instid0(VALU_DEP_3) | instskip(SKIP_1) | instid1(VALU_DEP_3)
	v_sub_f32_e32 v23, v23, v46
	s_wait_alu 0xfffd
	v_cndmask_b32_e32 v41, 0, v41, vcc_lo
	v_cmp_nlt_f32_e32 vcc_lo, 0x42b17218, v3
	s_wait_alu 0xfffd
	v_cndmask_b32_e32 v3, 0x7f800000, v22, vcc_lo
	v_cmp_nlt_f32_e32 vcc_lo, 0x42b17218, v19
	;; [unrolled: 3-line block ×3, first 2 shown]
	s_wait_alu 0xf1ff
	s_delay_alu instid0(VALU_DEP_2)
	v_cndmask_b32_e64 v22, 0, v19, s10
	s_wait_alu 0xfffd
	v_cndmask_b32_e32 v0, 0x7f800000, v40, vcc_lo
	v_cmp_nlt_f32_e32 vcc_lo, 0x42b17218, v21
	s_wait_alu 0xfffd
	v_cndmask_b32_e32 v20, 0x7f800000, v41, vcc_lo
	v_cmp_gt_u32_e32 vcc_lo, s19, v135
	s_wait_alu 0xfffd
	v_cndmask_b32_e32 v21, 0, v3, vcc_lo
	v_sub_f32_e32 v3, v17, v129
	s_delay_alu instid0(VALU_DEP_1) | instskip(NEXT) | instid1(VALU_DEP_1)
	v_dual_sub_f32 v17, v18, v129 :: v_dual_mul_f32 v18, 0x3fb8aa3b, v3
	v_mul_f32_e32 v19, 0x3fb8aa3b, v17
	s_delay_alu instid0(VALU_DEP_2) | instskip(SKIP_1) | instid1(VALU_DEP_3)
	v_fma_f32 v41, 0x3fb8aa3b, v3, -v18
	v_sub_f32_e32 v26, v16, v129
	v_fma_f32 v43, 0x3fb8aa3b, v17, -v19
	v_rndne_f32_e32 v44, v19
	v_rndne_f32_e32 v42, v18
	v_fmac_f32_e32 v41, 0x32a5705f, v3
	v_cmp_ngt_f32_e64 s13, 0xc2ce8ed0, v26
	v_fmac_f32_e32 v43, 0x32a5705f, v17
	v_dual_sub_f32 v19, v19, v44 :: v_dual_mul_f32 v16, 0x3fb8aa3b, v26
	v_sub_f32_e32 v47, v18, v42
	v_cndmask_b32_e64 v18, 0, v0, s11
	v_fmac_f32_e32 v45, 0x32a5705f, v15
	s_delay_alu instid0(VALU_DEP_4)
	v_add_f32_e32 v19, v19, v43
	v_fma_f32 v31, 0x3fb8aa3b, v26, -v16
	v_rndne_f32_e32 v40, v16
	v_add_f32_e32 v24, v47, v41
	v_add_f32_e32 v23, v23, v45
	v_exp_f32_e32 v19, v19
	s_delay_alu instid0(VALU_DEP_3) | instskip(SKIP_1) | instid1(VALU_DEP_3)
	v_dual_fmac_f32 v31, 0x32a5705f, v26 :: v_dual_sub_f32 v16, v16, v40
	v_cvt_i32_f32_e32 v25, v40
	v_exp_f32_e32 v23, v23
	v_cvt_i32_f32_e32 v40, v44
	v_cvt_i32_f32_e32 v41, v46
	v_add_f32_e32 v0, v16, v31
	v_cndmask_b32_e64 v16, 0, v20, s12
	v_exp_f32_e32 v20, v24
	v_cvt_i32_f32_e32 v31, v42
	v_ldexp_f32 v19, v19, v40
	v_exp_f32_e32 v0, v0
	v_cvt_f16_f32_e32 v24, v21
	v_ldexp_f32 v23, v23, v41
	v_cvt_f16_f32_e32 v42, v22
	s_delay_alu instid0(TRANS32_DEP_2) | instskip(NEXT) | instid1(TRANS32_DEP_1)
	v_ldexp_f32 v20, v20, v31
	v_ldexp_f32 v0, v0, v25
	s_wait_alu 0xf1ff
	s_delay_alu instid0(VALU_DEP_1) | instskip(SKIP_2) | instid1(VALU_DEP_1)
	v_cndmask_b32_e64 v0, 0, v0, s13
	v_cmp_ngt_f32_e64 s13, 0xc2ce8ed0, v3
	s_wait_alu 0xf1ff
	v_cndmask_b32_e64 v20, 0, v20, s13
	v_cmp_ngt_f32_e64 s13, 0xc2ce8ed0, v17
	s_wait_alu 0xf1ff
	s_delay_alu instid0(VALU_DEP_1) | instskip(SKIP_2) | instid1(VALU_DEP_1)
	v_cndmask_b32_e64 v19, 0, v19, s13
	v_cmp_ngt_f32_e64 s13, 0xc2ce8ed0, v15
	s_wait_alu 0xf1ff
	v_cndmask_b32_e64 v23, 0, v23, s13
	v_cmp_nlt_f32_e64 s13, 0x42b17218, v26
	s_wait_alu 0xf1ff
	s_delay_alu instid0(VALU_DEP_1) | instskip(SKIP_2) | instid1(VALU_DEP_1)
	v_cndmask_b32_e64 v0, 0x7f800000, v0, s13
	v_cmp_nlt_f32_e64 s13, 0x42b17218, v3
	s_wait_alu 0xf1ff
	v_cndmask_b32_e64 v3, 0x7f800000, v20, s13
	v_cmp_nlt_f32_e64 s13, 0x42b17218, v17
	s_delay_alu instid0(VALU_DEP_2) | instskip(SKIP_1) | instid1(VALU_DEP_2)
	v_cndmask_b32_e64 v20, 0, v3, s10
	s_wait_alu 0xf1ff
	v_cndmask_b32_e64 v17, 0x7f800000, v19, s13
	v_cmp_nlt_f32_e64 s13, 0x42b17218, v15
	v_cndmask_b32_e32 v19, 0, v0, vcc_lo
	v_cvt_f16_f32_e32 v3, v16
	v_cvt_f16_f32_e32 v26, v20
	v_cndmask_b32_e64 v17, 0, v17, s11
	s_wait_alu 0xf1ff
	v_cndmask_b32_e64 v15, 0x7f800000, v23, s13
	v_cvt_f16_f32_e32 v25, v19
	v_cvt_f16_f32_e32 v23, v18
	v_cndmask_b32_e64 v0, 0, v1, s2
	v_cvt_f16_f32_e32 v31, v17
	v_cndmask_b32_e64 v15, 0, v15, s12
	v_pack_b32_f16 v24, v24, v25
	v_pack_b32_f16 v25, v42, v26
	v_cndmask_b32_e64 v1, s15, v2, s2
	v_pack_b32_f16 v23, v23, v31
	v_cvt_f16_f32_e32 v40, v15
	s_lshl_b32 s2, s34, 4
	s_delay_alu instid0(VALU_DEP_1)
	v_pack_b32_f16 v3, v3, v40
	ds_store_b32 v32, v24
	ds_store_b32 v33, v25
	;; [unrolled: 1-line block ×4, first 2 shown]
	flat_load_b128 v[0:3], v[0:1]
	s_wait_alu 0xfffe
	v_add_nc_u32_e32 v23, s2, v30
	s_clause 0x1
	scratch_store_b32 off, v39, off
	scratch_store_b96 off, v[27:29], off offset:4
	v_ashrrev_i32_e32 v24, 31, v23
	s_delay_alu instid0(VALU_DEP_1) | instskip(SKIP_1) | instid1(VALU_DEP_2)
	v_lshlrev_b64_e32 v[24:25], 2, v[23:24]
	v_add_nc_u32_e32 v23, s2, v23
	v_add_co_u32 v24, vcc_lo, s24, v24
	s_wait_alu 0xfffd
	s_delay_alu instid0(VALU_DEP_3) | instskip(NEXT) | instid1(VALU_DEP_2)
	v_add_co_ci_u32_e64 v25, null, s25, v25, vcc_lo
	v_add_co_u32 v24, vcc_lo, v24, v6
	s_wait_alu 0xfffd
	s_delay_alu instid0(VALU_DEP_2) | instskip(NEXT) | instid1(VALU_DEP_2)
	v_add_co_ci_u32_e64 v25, null, 0, v25, vcc_lo
	v_cndmask_b32_e64 v24, 0, v24, s3
	s_delay_alu instid0(VALU_DEP_2)
	v_cndmask_b32_e64 v25, s15, v25, s3
	s_wait_loadcnt_dscnt 0x0
	ds_store_b128 v7, v[0:3]
	flat_load_b128 v[0:3], v[24:25]
	v_ashrrev_i32_e32 v24, 31, v23
	s_clause 0x1
	scratch_store_b32 off, v39, off
	scratch_store_b96 off, v[27:29], off offset:4
	v_lshlrev_b64_e32 v[24:25], 2, v[23:24]
	v_add_nc_u32_e32 v23, s2, v23
	s_delay_alu instid0(VALU_DEP_2) | instskip(SKIP_1) | instid1(VALU_DEP_3)
	v_add_co_u32 v7, vcc_lo, s24, v24
	s_wait_alu 0xfffd
	v_add_co_ci_u32_e64 v24, null, s25, v25, vcc_lo
	s_delay_alu instid0(VALU_DEP_2) | instskip(SKIP_1) | instid1(VALU_DEP_2)
	v_add_co_u32 v7, vcc_lo, v7, v6
	s_wait_alu 0xfffd
	v_add_co_ci_u32_e64 v25, null, 0, v24, vcc_lo
	s_delay_alu instid0(VALU_DEP_2) | instskip(NEXT) | instid1(VALU_DEP_2)
	v_cndmask_b32_e64 v24, 0, v7, s4
	v_cndmask_b32_e64 v25, s15, v25, s4
	s_wait_loadcnt_dscnt 0x0
	ds_store_b128 v9, v[0:3]
	flat_load_b128 v[0:3], v[24:25]
	v_ashrrev_i32_e32 v24, 31, v23
	s_clause 0x1
	scratch_store_b32 off, v39, off
	scratch_store_b96 off, v[27:29], off offset:4
	v_lshlrev_b64_e32 v[24:25], 2, v[23:24]
	s_delay_alu instid0(VALU_DEP_1) | instskip(SKIP_1) | instid1(VALU_DEP_2)
	v_add_co_u32 v7, vcc_lo, s24, v24
	s_wait_alu 0xfffd
	v_add_co_ci_u32_e64 v9, null, s25, v25, vcc_lo
	v_lshl_or_b32 v25, v10, 8, v6
	s_delay_alu instid0(VALU_DEP_3) | instskip(SKIP_1) | instid1(VALU_DEP_3)
	v_add_co_u32 v7, vcc_lo, v7, v6
	s_wait_alu 0xfffd
	v_add_co_ci_u32_e64 v24, null, 0, v9, vcc_lo
	s_delay_alu instid0(VALU_DEP_2) | instskip(NEXT) | instid1(VALU_DEP_2)
	v_cndmask_b32_e64 v9, 0, v7, s5
	v_cndmask_b32_e64 v10, s15, v24, s5
	s_wait_loadcnt_dscnt 0x0
	ds_store_b128 v25, v[0:3]
	flat_load_b128 v[0:3], v[9:10]
	v_add_nc_u32_e32 v9, s2, v23
	s_clause 0x1
	scratch_store_b32 off, v39, off
	scratch_store_b96 off, v[27:29], off offset:4
	v_ashrrev_i32_e32 v10, 31, v9
	s_delay_alu instid0(VALU_DEP_1) | instskip(SKIP_1) | instid1(VALU_DEP_2)
	v_lshlrev_b64_e32 v[23:24], 2, v[9:10]
	v_add_nc_u32_e32 v9, s2, v9
	v_add_co_u32 v7, vcc_lo, s24, v23
	s_wait_alu 0xfffd
	s_delay_alu instid0(VALU_DEP_3) | instskip(SKIP_1) | instid1(VALU_DEP_3)
	v_add_co_ci_u32_e64 v10, null, s25, v24, vcc_lo
	v_lshl_or_b32 v24, v11, 8, v6
	v_add_co_u32 v7, vcc_lo, v7, v6
	s_wait_alu 0xfffd
	s_delay_alu instid0(VALU_DEP_3) | instskip(NEXT) | instid1(VALU_DEP_2)
	v_add_co_ci_u32_e64 v23, null, 0, v10, vcc_lo
	v_cndmask_b32_e64 v10, 0, v7, s6
	s_delay_alu instid0(VALU_DEP_2)
	v_cndmask_b32_e64 v11, s15, v23, s6
	s_wait_loadcnt_dscnt 0x0
	ds_store_b128 v24, v[0:3]
	flat_load_b128 v[0:3], v[10:11]
	v_ashrrev_i32_e32 v10, 31, v9
	s_clause 0x1
	scratch_store_b32 off, v39, off
	scratch_store_b96 off, v[27:29], off offset:4
	v_lshlrev_b64_e32 v[10:11], 2, v[9:10]
	v_add_nc_u32_e32 v9, s2, v9
	s_delay_alu instid0(VALU_DEP_2) | instskip(SKIP_1) | instid1(VALU_DEP_3)
	v_add_co_u32 v7, vcc_lo, s24, v10
	s_wait_alu 0xfffd
	v_add_co_ci_u32_e64 v10, null, s25, v11, vcc_lo
	s_delay_alu instid0(VALU_DEP_2) | instskip(SKIP_1) | instid1(VALU_DEP_2)
	v_add_co_u32 v7, vcc_lo, v7, v6
	s_wait_alu 0xfffd
	v_add_co_ci_u32_e64 v11, null, 0, v10, vcc_lo
	s_delay_alu instid0(VALU_DEP_2) | instskip(NEXT) | instid1(VALU_DEP_2)
	v_cndmask_b32_e64 v10, 0, v7, s7
	v_cndmask_b32_e64 v11, s15, v11, s7
	s_wait_loadcnt_dscnt 0x0
	ds_store_b128 v12, v[0:3]
	flat_load_b128 v[0:3], v[10:11]
	v_ashrrev_i32_e32 v10, 31, v9
	v_lshl_or_b32 v12, v13, 8, v6
	s_clause 0x1
	scratch_store_b32 off, v39, off
	scratch_store_b96 off, v[27:29], off offset:4
	v_lshlrev_b64_e32 v[10:11], 2, v[9:10]
	v_add_nc_u32_e32 v9, s2, v9
	s_delay_alu instid0(VALU_DEP_2) | instskip(SKIP_1) | instid1(VALU_DEP_3)
	v_add_co_u32 v7, vcc_lo, s24, v10
	s_wait_alu 0xfffd
	v_add_co_ci_u32_e64 v10, null, s25, v11, vcc_lo
	s_delay_alu instid0(VALU_DEP_2) | instskip(SKIP_1) | instid1(VALU_DEP_2)
	v_add_co_u32 v7, vcc_lo, v7, v6
	s_wait_alu 0xfffd
	v_add_co_ci_u32_e64 v11, null, 0, v10, vcc_lo
	s_delay_alu instid0(VALU_DEP_2) | instskip(NEXT) | instid1(VALU_DEP_2)
	v_cndmask_b32_e64 v10, 0, v7, s8
	v_cndmask_b32_e64 v11, s15, v11, s8
	s_wait_loadcnt_dscnt 0x0
	ds_store_b128 v12, v[0:3]
	flat_load_b128 v[0:3], v[10:11]
	v_ashrrev_i32_e32 v10, 31, v9
	v_lshl_or_b32 v11, v14, 8, v6
	s_clause 0x1
	scratch_store_b32 off, v39, off
	scratch_store_b96 off, v[27:29], off offset:4
	v_sub_f32_e32 v12, v4, v128
	v_lshlrev_b64_e32 v[9:10], 2, v[9:10]
	s_delay_alu instid0(VALU_DEP_2) | instskip(NEXT) | instid1(VALU_DEP_2)
	v_mul_f32_e32 v4, 0x3fb8aa3b, v12
	v_add_co_u32 v7, vcc_lo, s24, v9
	s_wait_alu 0xfffd
	s_delay_alu instid0(VALU_DEP_3) | instskip(NEXT) | instid1(VALU_DEP_2)
	v_add_co_ci_u32_e64 v9, null, s25, v10, vcc_lo
	v_add_co_u32 v7, vcc_lo, v7, v6
	s_wait_alu 0xfffd
	s_delay_alu instid0(VALU_DEP_2) | instskip(SKIP_1) | instid1(VALU_DEP_3)
	v_add_co_ci_u32_e64 v10, null, 0, v9, vcc_lo
	v_cmp_ngt_f32_e32 vcc_lo, 0xc2ce8ed0, v12
	v_cndmask_b32_e64 v9, 0, v7, s9
	v_fma_f32 v7, 0x3fb8aa3b, v12, -v4
	s_delay_alu instid0(VALU_DEP_4)
	v_cndmask_b32_e64 v10, s15, v10, s9
	s_wait_loadcnt_dscnt 0x0
	ds_store_b128 v11, v[0:3]
	flat_load_b128 v[0:3], v[9:10]
	v_rndne_f32_e32 v9, v4
	v_sub_f32_e32 v11, v5, v129
	s_delay_alu instid0(VALU_DEP_2) | instskip(SKIP_4) | instid1(VALU_DEP_4)
	v_sub_f32_e32 v4, v4, v9
	v_dual_add_f32 v19, v19, v20 :: v_dual_add_nc_u32 v152, 0x4800, v34
	v_add_nc_u32_e32 v148, 0x5800, v34
	v_cvt_i32_f32_e32 v24, v9
	v_add_nc_u32_e32 v9, 0x3000, v34
	v_add_f32_e32 v17, v17, v19
	v_fmac_f32_e32 v7, 0x32a5705f, v12
	s_delay_alu instid0(VALU_DEP_1) | instskip(SKIP_3) | instid1(VALU_DEP_1)
	v_add_f32_e32 v7, v4, v7
	v_lshl_or_b32 v4, v8, 8, v6
	v_add_nc_u32_e32 v6, 0x1000, v34
	v_mul_f32_e32 v5, 0x3fb8aa3b, v11
	v_fma_f32 v10, 0x3fb8aa3b, v11, -v5
	v_rndne_f32_e32 v23, v5
	s_delay_alu instid0(VALU_DEP_2) | instskip(NEXT) | instid1(VALU_DEP_2)
	v_fmac_f32_e32 v10, 0x32a5705f, v11
	v_sub_f32_e32 v5, v5, v23
	v_cvt_i32_f32_e32 v23, v23
	s_delay_alu instid0(VALU_DEP_2) | instskip(SKIP_2) | instid1(VALU_DEP_2)
	v_add_f32_e32 v8, v5, v10
	v_add_nc_u32_e32 v10, 0x2800, v34
	v_exp_f32_e32 v14, v7
	v_exp_f32_e32 v13, v8
	v_add_nc_u32_e32 v8, 0x2000, v34
	s_delay_alu instid0(TRANS32_DEP_2) | instskip(NEXT) | instid1(TRANS32_DEP_1)
	v_ldexp_f32 v14, v14, v24
	v_ldexp_f32 v13, v13, v23
	s_wait_alu 0xfffd
	s_delay_alu instid0(VALU_DEP_2)
	v_cndmask_b32_e32 v14, 0, v14, vcc_lo
	v_cmp_ngt_f32_e32 vcc_lo, 0xc2ce8ed0, v11
	s_wait_alu 0xfffd
	v_dual_cndmask_b32 v13, 0, v13 :: v_dual_add_nc_u32 v90, 0x3800, v34
	v_cmp_nlt_f32_e32 vcc_lo, 0x42b17218, v12
	s_wait_alu 0xfffd
	v_cndmask_b32_e32 v12, 0x7f800000, v14, vcc_lo
	v_add_f32_e32 v14, v21, v22
	v_cmp_nlt_f32_e32 vcc_lo, 0x42b17218, v11
	s_wait_alu 0xfffd
	s_delay_alu instid0(VALU_DEP_2) | instskip(SKIP_1) | instid1(VALU_DEP_2)
	v_dual_add_f32 v14, v18, v14 :: v_dual_cndmask_b32 v11, 0x7f800000, v13
	v_cvt_f16_f32_e32 v13, v12
	v_add_f32_e32 v14, v16, v14
	s_delay_alu instid0(VALU_DEP_3) | instskip(NEXT) | instid1(VALU_DEP_2)
	v_cvt_f16_f32_e32 v18, v11
	v_dual_fmac_f32 v14, v138, v12 :: v_dual_and_b32 v13, 0xffff, v13
	s_delay_alu instid0(VALU_DEP_2) | instskip(SKIP_2) | instid1(VALU_DEP_4)
	v_and_b32_e32 v16, 0xffff, v18
	v_dual_add_f32 v12, v15, v17 :: v_dual_add_nc_u32 v7, 0x1800, v34
	v_add_nc_u32_e32 v18, 0x7000, v34
	v_mul_u32_u24_e32 v91, 0x10001, v13
	s_delay_alu instid0(VALU_DEP_4) | instskip(NEXT) | instid1(VALU_DEP_4)
	v_mul_u32_u24_e32 v104, 0x10001, v16
	v_dual_fmac_f32 v12, v55, v11 :: v_dual_add_nc_u32 v13, 0x7800, v34
	v_dual_mov_b32 v138, v14 :: v_dual_add_nc_u32 v5, 0x800, v34
	s_clause 0x2
	scratch_store_b32 off, v18, off offset:56
	scratch_store_b32 off, v13, off offset:52
	;; [unrolled: 1-line block ×3, first 2 shown]
	v_pk_mul_f16 v120, v38, v91
	v_pk_mul_f16 v121, v35, v104
	s_wait_loadcnt_dscnt 0x0
	ds_store_b128 v4, v[0:3]
	s_wait_storecnt_dscnt 0x0
	s_barrier_signal -1
	s_barrier_wait -1
	global_inv scope:SCOPE_SE
	ds_load_2addr_b64 v[76:79], v34 offset1:32
	ds_load_2addr_b64 v[72:75], v34 offset0:64 offset1:96
	ds_load_2addr_b64 v[56:59], v34 offset0:128 offset1:160
	ds_load_b128 v[139:142], v137 offset:34816
	ds_load_b128 v[154:157], v137 offset:34832
	ds_load_2addr_b64 v[36:39], v34 offset0:192 offset1:224
	ds_load_2addr_b64 v[48:51], v5 offset1:32
	ds_load_2addr_b64 v[44:47], v5 offset0:64 offset1:96
	ds_load_2addr_b64 v[40:43], v5 offset0:128 offset1:160
	ds_load_b128 v[160:163], v137 offset:34848
	ds_load_b128 v[164:167], v137 offset:34864
	ds_load_2addr_b64 v[52:55], v5 offset0:192 offset1:224
	ds_load_2addr_b64 v[64:67], v6 offset1:32
	ds_load_2addr_b64 v[80:83], v6 offset0:64 offset1:96
	ds_load_2addr_b64 v[92:95], v6 offset0:128 offset1:160
	ds_load_b128 v[168:171], v137 offset:34880
	ds_load_b128 v[172:175], v137 offset:34896
	ds_load_2addr_b64 v[124:127], v6 offset0:192 offset1:224
	ds_load_2addr_b64 v[108:111], v7 offset1:32
	ds_load_2addr_b64 v[116:119], v7 offset0:64 offset1:96
	ds_load_2addr_b64 v[112:115], v7 offset0:128 offset1:160
	ds_load_b128 v[176:179], v137 offset:34912
	ds_load_b128 v[180:183], v137 offset:34928
	ds_load_2addr_b64 v[100:103], v7 offset0:192 offset1:224
	ds_load_2addr_b64 v[96:99], v8 offset1:32
	ds_load_2addr_b64 v[84:87], v8 offset0:64 offset1:96
	ds_load_2addr_b64 v[68:71], v8 offset0:128 offset1:160
	ds_load_b128 v[184:187], v137 offset:34944
	ds_load_b128 v[199:202], v137 offset:34960
	ds_load_2addr_b64 v[60:63], v8 offset0:192 offset1:224
	ds_load_2addr_b64 v[32:35], v10 offset1:32
	ds_load_2addr_b64 v[28:31], v10 offset0:64 offset1:96
	ds_load_2addr_b64 v[24:27], v10 offset0:128 offset1:160
	ds_load_b128 v[215:218], v137 offset:34976
	ds_load_b128 v[250:253], v137 offset:34992
	ds_load_2addr_b64 v[20:23], v10 offset0:192 offset1:224
	ds_load_2addr_b64 v[16:19], v9 offset1:32
	ds_load_2addr_b64 v[12:15], v9 offset0:64 offset1:96
	ds_load_2addr_b64 v[0:3], v9 offset0:128 offset1:160
	ds_load_b128 v[203:206], v137 offset:35008
	ds_load_b128 v[211:214], v137 offset:35024
	ds_load_2addr_b64 v[8:11], v9 offset0:192 offset1:224
	ds_load_2addr_b64 v[4:7], v90 offset1:32
	s_wait_dscnt 0x27
	v_lshrrev_b32_e32 v105, 16, v139
	v_and_b32_e32 v106, 0xffff, v139
	v_lshrrev_b32_e32 v133, 16, v142
	v_and_b32_e32 v134, 0xffff, v142
	s_wait_dscnt 0x20
	v_lshrrev_b32_e32 v207, 16, v165
	v_and_b32_e32 v254, 0xffff, v165
	v_lshrrev_b32_e32 v198, 16, v166
	v_and_b32_e32 v255, 0xffff, v166
	;; [unrolled: 2-line block ×3, first 2 shown]
	s_wait_dscnt 0x1b
	v_lshrrev_b32_e32 v194, 16, v168
	v_and_b32_e32 v195, 0xffff, v168
	v_lshrrev_b32_e32 v188, 16, v169
	v_and_b32_e32 v189, 0xffff, v169
	s_wait_dscnt 0x15
	v_lshrrev_b32_e32 v136, 16, v176
	v_and_b32_e32 v142, 0xffff, v176
	v_lshrrev_b32_e32 v146, 16, v178
	v_and_b32_e32 v159, 0xffff, v178
	s_wait_dscnt 0x14
	v_lshrrev_b32_e32 v178, 16, v183
	v_and_b32_e32 v176, 0xffff, v183
	v_mul_u32_u24_e32 v169, 0x10001, v106
	v_mul_u32_u24_e32 v183, 0x10001, v105
	ds_load_b128 v[165:168], v137 offset:35040
	v_lshrrev_b32_e32 v122, 16, v140
	v_and_b32_e32 v123, 0xffff, v140
	v_pk_mul_f16 v105, v76, v169
	v_pk_mul_f16 v76, v76, v183
	v_and_b32_e32 v132, 0xffff, v141
	v_lshrrev_b32_e32 v131, 16, v141
	s_wait_dscnt 0xf
	v_lshrrev_b32_e32 v247, 16, v199
	v_pk_fma_f16 v89, v89, v91, v105
	v_pk_fma_f16 v76, v88, v104, v76
	v_mul_u32_u24_e32 v88, 0x10001, v123
	v_pk_fma_f16 v91, v77, v169, v120
	v_mul_u32_u24_e32 v120, 0x10001, v122
	v_pk_fma_f16 v77, v77, v183, v121
	v_and_b32_e32 v248, 0xffff, v199
	v_lshrrev_b32_e32 v245, 16, v200
	v_pk_fma_f16 v91, v79, v88, v91
	v_pk_fma_f16 v88, v78, v88, v89
	;; [unrolled: 1-line block ×4, first 2 shown]
	v_mul_u32_u24_e32 v78, 0x10001, v132
	s_wait_dscnt 0x3
	v_lshrrev_b32_e32 v79, 16, v214
	v_and_b32_e32 v246, 0xffff, v200
	v_lshrrev_b32_e32 v242, 16, v201
	v_and_b32_e32 v243, 0xffff, v201
	;; [unrolled: 2-line block ×3, first 2 shown]
	ds_load_b128 v[199:202], v137 offset:35056
	v_pk_fma_f16 v89, v73, v78, v91
	v_pk_fma_f16 v78, v72, v78, v88
	s_wait_dscnt 0x1
	v_lshrrev_b32_e32 v88, 16, v165
	scratch_store_b32 off, v79, off offset:108 ; 4-byte Folded Spill
	v_and_b32_e32 v79, 0xffff, v214
	v_mul_u32_u24_e32 v91, 0x10001, v133
	v_lshrrev_b32_e32 v107, 16, v185
	scratch_store_b32 off, v88, off offset:112 ; 4-byte Folded Spill
	v_mul_u32_u24_e32 v88, 0x10001, v134
	scratch_store_b32 off, v79, off offset:116 ; 4-byte Folded Spill
	v_mul_u32_u24_e32 v79, 0x10001, v131
	v_lshrrev_b32_e32 v196, 16, v154
	v_and_b32_e32 v209, 0xffff, v154
	v_lshrrev_b32_e32 v191, 16, v155
	v_and_b32_e32 v208, 0xffff, v155
	v_pk_fma_f16 v72, v72, v79, v76
	v_pk_fma_f16 v73, v73, v79, v77
	v_and_b32_e32 v76, 0xffff, v165
	v_pk_fma_f16 v77, v74, v88, v78
	v_lshrrev_b32_e32 v78, 16, v166
	v_pk_fma_f16 v72, v74, v91, v72
	v_and_b32_e32 v74, 0xffff, v166
	scratch_store_b32 off, v76, off offset:128 ; 4-byte Folded Spill
	v_pk_fma_f16 v76, v75, v88, v89
	v_pk_fma_f16 v73, v75, v91, v73
	v_and_b32_e32 v75, 0xffff, v168
	scratch_store_b32 off, v74, off offset:96 ; 4-byte Folded Spill
	v_lshrrev_b32_e32 v74, 16, v167
	s_clause 0x1
	scratch_store_b32 off, v107, off offset:120
	scratch_store_b32 off, v78, off offset:92
	v_and_b32_e32 v107, 0xffff, v185
	s_clause 0x1
	scratch_store_b32 off, v75, off offset:72
	scratch_store_b32 off, v74, off offset:76
	v_and_b32_e32 v74, 0xffff, v167
	v_mul_u32_u24_e32 v75, 0x10001, v196
	scratch_store_b32 off, v107, off offset:124 ; 4-byte Folded Spill
	v_lshrrev_b32_e32 v107, 16, v186
	v_lshrrev_b32_e32 v210, 16, v156
	scratch_store_b32 off, v74, off offset:88 ; 4-byte Folded Spill
	v_lshrrev_b32_e32 v74, 16, v168
	v_and_b32_e32 v230, 0xffff, v156
	scratch_store_b32 off, v107, off offset:100 ; 4-byte Folded Spill
	v_and_b32_e32 v107, 0xffff, v186
	v_mul_u32_u24_e32 v78, 0x10001, v208
	scratch_store_b32 off, v74, off offset:68 ; 4-byte Folded Spill
	v_mul_u32_u24_e32 v74, 0x10001, v209
	v_lshrrev_b32_e32 v231, 16, v157
	scratch_store_b32 off, v107, off offset:104 ; 4-byte Folded Spill
	v_lshrrev_b32_e32 v107, 16, v187
	v_and_b32_e32 v232, 0xffff, v157
	v_pk_fma_f16 v76, v57, v74, v76
	v_pk_fma_f16 v74, v56, v74, v77
	v_mul_u32_u24_e32 v77, 0x10001, v191
	scratch_store_b32 off, v107, off offset:80 ; 4-byte Folded Spill
	v_pk_fma_f16 v57, v57, v75, v73
	v_pk_fma_f16 v56, v56, v75, v72
	;; [unrolled: 1-line block ×4, first 2 shown]
	v_mul_u32_u24_e32 v74, 0x10001, v230
	v_pk_fma_f16 v57, v59, v77, v57
	v_pk_fma_f16 v56, v58, v77, v56
	v_mul_u32_u24_e32 v58, 0x10001, v210
	v_lshrrev_b32_e32 v233, 16, v160
	v_and_b32_e32 v236, 0xffff, v160
	v_mul_u32_u24_e32 v59, 0x10001, v232
	v_pk_fma_f16 v72, v37, v74, v72
	v_pk_fma_f16 v73, v36, v74, v73
	v_mul_u32_u24_e32 v131, 0x10001, v231
	v_pk_fma_f16 v37, v37, v58, v57
	v_pk_fma_f16 v36, v36, v58, v56
	v_lshrrev_b32_e32 v237, 16, v161
	v_and_b32_e32 v238, 0xffff, v161
	v_pk_fma_f16 v56, v39, v59, v72
	v_pk_fma_f16 v57, v38, v59, v73
	;; [unrolled: 1-line block ×4, first 2 shown]
	v_mul_u32_u24_e32 v131, 0x10001, v236
	v_mul_u32_u24_e32 v132, 0x10001, v233
	v_lshrrev_b32_e32 v239, 16, v162
	v_and_b32_e32 v241, 0xffff, v162
	v_mul_u32_u24_e32 v133, 0x10001, v238
	v_mul_u32_u24_e32 v134, 0x10001, v237
	v_pk_fma_f16 v56, v49, v131, v56
	v_pk_fma_f16 v49, v49, v132, v58
	v_pk_fma_f16 v57, v48, v131, v57
	v_pk_fma_f16 v48, v48, v132, v59
	v_lshrrev_b32_e32 v244, 16, v163
	v_and_b32_e32 v192, 0xffff, v163
	v_mul_u32_u24_e32 v191, 0x10001, v241
	v_mul_u32_u24_e32 v58, 0x10001, v239
	v_pk_fma_f16 v56, v51, v133, v56
	v_pk_fma_f16 v49, v51, v134, v49
	v_pk_fma_f16 v51, v50, v133, v57
	v_pk_fma_f16 v48, v50, v134, v48
	;; [unrolled: 8-line block ×3, first 2 shown]
	v_and_b32_e32 v107, 0xffff, v187
	v_mul_u32_u24_e32 v133, 0x10001, v249
	v_mul_u32_u24_e32 v134, 0x10001, v190
	v_pk_fma_f16 v132, v47, v50, v132
	v_pk_fma_f16 v45, v47, v131, v45
	v_pk_fma_f16 v47, v46, v50, v49
	v_pk_fma_f16 v44, v46, v131, v44
	scratch_store_b32 off, v107, off offset:84 ; 4-byte Folded Spill
	v_lshrrev_b32_e32 v160, 16, v170
	v_and_b32_e32 v161, 0xffff, v170
	v_lshrrev_b32_e32 v157, 16, v171
	v_and_b32_e32 v158, 0xffff, v171
	;; [unrolled: 2-line block ×11, first 2 shown]
	ds_load_2addr_b64 v[104:107], v90 offset0:64 offset1:96
	v_lshrrev_b32_e32 v170, 16, v211
	v_and_b32_e32 v169, 0xffff, v211
	v_lshrrev_b32_e32 v183, 16, v212
	v_and_b32_e32 v184, 0xffff, v212
	;; [unrolled: 2-line block ×3, first 2 shown]
	ds_load_2addr_b64 v[120:123], v90 offset0:128 offset1:160
	ds_load_2addr_b64 v[88:91], v90 offset0:192 offset1:224
	ds_load_2addr_b64 v[76:79], v153 offset1:32
	ds_load_2addr_b64 v[72:75], v153 offset0:64 offset1:96
	ds_load_2addr_b64 v[36:39], v153 offset0:128 offset1:160
	ds_load_b128 v[165:168], v137 offset:35072
	ds_load_b128 v[211:214], v137 offset:35088
	ds_load_2addr_b64 v[56:59], v153 offset0:192 offset1:224
	v_mul_u32_u24_e32 v131, 0x10001, v254
	v_mul_u32_u24_e32 v153, 0x10001, v207
	v_pk_fma_f16 v132, v41, v133, v132
	v_pk_fma_f16 v41, v41, v134, v45
	v_pk_fma_f16 v133, v40, v133, v47
	v_pk_fma_f16 v40, v40, v134, v44
	v_mul_u32_u24_e32 v134, 0x10001, v255
	v_mul_u32_u24_e32 v190, 0x10001, v198
	v_pk_fma_f16 v132, v43, v131, v132
	v_pk_fma_f16 v191, v43, v153, v41
	v_pk_fma_f16 v131, v42, v131, v133
	v_pk_fma_f16 v133, v42, v153, v40
	;; [unrolled: 6-line block ×3, first 2 shown]
	v_mul_u32_u24_e32 v190, 0x10001, v195
	v_pk_fma_f16 v191, v55, v153, v132
	v_pk_fma_f16 v193, v55, v192, v53
	;; [unrolled: 1-line block ×4, first 2 shown]
	v_mul_u32_u24_e32 v192, 0x10001, v194
	v_pk_fma_f16 v191, v65, v190, v191
	v_mul_u32_u24_e32 v189, 0x10001, v189
	v_pk_fma_f16 v190, v64, v190, v53
	;; [unrolled: 2-line block ×3, first 2 shown]
	v_pk_fma_f16 v64, v64, v192, v153
	v_pk_fma_f16 v153, v67, v189, v191
	;; [unrolled: 1-line block ×3, first 2 shown]
	v_mul_u32_u24_e32 v160, 0x10001, v160
	v_pk_fma_f16 v190, v67, v188, v65
	v_pk_fma_f16 v188, v66, v188, v64
	v_mul_u32_u24_e32 v64, 0x10001, v161
	v_lshrrev_b32_e32 v155, 16, v172
	v_and_b32_e32 v156, 0xffff, v172
	v_mul_u32_u24_e32 v158, 0x10001, v158
	v_mul_u32_u24_e32 v157, 0x10001, v157
	v_pk_fma_f16 v153, v81, v64, v153
	v_pk_fma_f16 v189, v80, v64, v189
	;; [unrolled: 1-line block ×4, first 2 shown]
	v_lshrrev_b32_e32 v145, 16, v173
	v_and_b32_e32 v154, 0xffff, v173
	v_pk_fma_f16 v153, v83, v158, v153
	v_pk_fma_f16 v158, v82, v158, v189
	;; [unrolled: 1-line block ×4, first 2 shown]
	v_mul_u32_u24_e32 v80, 0x10001, v156
	v_mul_u32_u24_e32 v155, 0x10001, v155
	;; [unrolled: 1-line block ×4, first 2 shown]
	v_lshrrev_b32_e32 v130, 16, v177
	v_pk_fma_f16 v153, v93, v80, v153
	v_pk_fma_f16 v156, v92, v80, v158
	;; [unrolled: 1-line block ×4, first 2 shown]
	v_and_b32_e32 v139, 0xffff, v177
	v_pk_fma_f16 v155, v95, v154, v153
	v_pk_fma_f16 v154, v94, v154, v156
	s_wait_dscnt 0x1
	v_and_b32_e32 v153, 0xffff, v211
	v_pk_fma_f16 v156, v95, v145, v93
	v_pk_fma_f16 v145, v94, v145, v92
	v_lshrrev_b32_e32 v92, 16, v212
	v_lshrrev_b32_e32 v164, 16, v180
	v_and_b32_e32 v163, 0xffff, v180
	v_lshrrev_b32_e32 v173, 16, v181
	v_and_b32_e32 v172, 0xffff, v181
	v_lshrrev_b32_e32 v227, 16, v216
	v_and_b32_e32 v177, 0xffff, v216
	v_lshrrev_b32_e32 v216, 16, v217
	v_and_b32_e32 v225, 0xffff, v217
	v_lshrrev_b32_e32 v228, 16, v250
	v_and_b32_e32 v180, 0xffff, v250
	v_lshrrev_b32_e32 v185, 16, v251
	v_and_b32_e32 v181, 0xffff, v251
	v_lshrrev_b32_e32 v223, 16, v252
	v_and_b32_e32 v226, 0xffff, v252
	v_lshrrev_b32_e32 v217, 16, v253
	v_and_b32_e32 v220, 0xffff, v253
	ds_load_2addr_b64 v[48:51], v152 offset1:32
	ds_load_2addr_b64 v[44:47], v152 offset0:64 offset1:96
	ds_load_2addr_b64 v[40:43], v152 offset0:128 offset1:160
	ds_load_b128 v[250:253], v137 offset:35104
	ds_load_b128 v[131:134], v137 offset:35120
	s_clause 0x1
	scratch_store_b32 off, v153, off offset:60
	scratch_store_b32 off, v92, off offset:64
	v_mul_u32_u24_e32 v92, 0x10001, v144
	v_mul_u32_u24_e32 v143, 0x10001, v143
	;; [unrolled: 1-line block ×5, first 2 shown]
	v_pk_fma_f16 v144, v125, v92, v155
	v_pk_fma_f16 v154, v124, v92, v154
	;; [unrolled: 1-line block ×4, first 2 shown]
	ds_load_2addr_b64 v[52:55], v152 offset0:192 offset1:224
	v_pk_fma_f16 v143, v127, v141, v144
	v_pk_fma_f16 v141, v126, v141, v154
	ds_load_2addr_b64 v[64:67], v151 offset1:32
	ds_load_2addr_b64 v[80:83], v151 offset0:64 offset1:96
	ds_load_2addr_b64 v[92:95], v151 offset0:128 offset1:160
	v_pk_fma_f16 v125, v127, v140, v125
	v_pk_fma_f16 v124, v126, v140, v124
	;; [unrolled: 1-line block ×4, first 2 shown]
	ds_load_b128 v[140:143], v137 offset:35136
	ds_load_b128 v[154:157], v137 offset:35152
	v_mul_u32_u24_e32 v136, 0x10001, v136
	v_mul_u32_u24_e32 v139, 0x10001, v139
	v_lshrrev_b32_e32 v233, 16, v167
	v_and_b32_e32 v244, 0xffff, v167
	v_lshrrev_b32_e32 v167, 16, v214
	v_and_b32_e32 v153, 0xffff, v214
	v_pk_fma_f16 v108, v108, v136, v124
	v_pk_fma_f16 v124, v111, v139, v126
	s_wait_dscnt 0x7
	v_lshrrev_b32_e32 v126, 16, v251
	v_and_b32_e32 v191, 0xffff, v251
	v_mul_u32_u24_e32 v130, 0x10001, v130
	v_pk_fma_f16 v109, v109, v136, v125
	v_pk_fma_f16 v136, v110, v139, v127
	v_mul_u32_u24_e32 v144, 0x10001, v159
	v_mul_u32_u24_e32 v145, 0x10001, v146
	;; [unrolled: 1-line block ×3, first 2 shown]
	v_pk_fma_f16 v139, v111, v130, v109
	v_pk_fma_f16 v130, v110, v130, v108
	s_wait_dscnt 0x1
	v_lshrrev_b32_e32 v214, 16, v141
	v_and_b32_e32 v251, 0xffff, v141
	scratch_load_b32 v141, off, off offset:120 th:TH_LOAD_LU ; 4-byte Folded Reload
	v_pk_fma_f16 v124, v117, v144, v124
	v_pk_fma_f16 v136, v116, v144, v136
	v_mul_u32_u24_e32 v144, 0x10001, v147
	v_pk_fma_f16 v117, v117, v145, v139
	v_pk_fma_f16 v116, v116, v145, v130
	v_lshrrev_b32_e32 v152, 16, v199
	v_and_b32_e32 v209, 0xffff, v199
	v_lshrrev_b32_e32 v196, 16, v200
	v_and_b32_e32 v231, 0xffff, v200
	;; [unrolled: 2-line block ×3, first 2 shown]
	ds_load_2addr_b64 v[108:111], v151 offset0:192 offset1:224
	v_lshrrev_b32_e32 v151, 16, v131
	v_and_b32_e32 v192, 0xffff, v131
	v_pk_fma_f16 v124, v119, v144, v124
	v_pk_fma_f16 v130, v118, v144, v136
	v_lshrrev_b32_e32 v193, 16, v132
	v_pk_fma_f16 v131, v119, v146, v117
	v_pk_fma_f16 v136, v118, v146, v116
	v_and_b32_e32 v200, 0xffff, v132
	v_mul_u32_u24_e32 v132, 0x10001, v163
	v_lshrrev_b32_e32 v199, 16, v134
	v_and_b32_e32 v202, 0xffff, v134
	v_mul_u32_u24_e32 v134, 0x10001, v164
	v_mul_u32_u24_e32 v139, 0x10001, v173
	v_pk_fma_f16 v124, v113, v132, v124
	v_pk_fma_f16 v130, v112, v132, v130
	v_mul_u32_u24_e32 v132, 0x10001, v172
	v_pk_fma_f16 v113, v113, v134, v131
	v_pk_fma_f16 v112, v112, v134, v136
	v_mul_u32_u24_e32 v134, 0x10001, v174
	v_mul_u32_u24_e32 v136, 0x10001, v175
	v_pk_fma_f16 v124, v115, v132, v124
	v_pk_fma_f16 v130, v114, v132, v130
	v_pk_fma_f16 v131, v115, v139, v113
	v_pk_fma_f16 v132, v114, v139, v112
	v_mul_u32_u24_e32 v139, 0x10001, v178
	v_pk_fma_f16 v124, v101, v134, v124
	v_pk_fma_f16 v130, v100, v134, v130
	v_mul_u32_u24_e32 v134, 0x10001, v176
	v_pk_fma_f16 v101, v101, v136, v131
	v_pk_fma_f16 v100, v100, v136, v132
	v_lshrrev_b32_e32 v210, 16, v201
	v_and_b32_e32 v161, 0xffff, v201
	v_lshrrev_b32_e32 v232, 16, v165
	v_and_b32_e32 v241, 0xffff, v165
	;; [unrolled: 2-line block ×6, first 2 shown]
	v_pk_fma_f16 v124, v103, v134, v124
	v_pk_fma_f16 v132, v102, v134, v130
	;; [unrolled: 1-line block ×4, first 2 shown]
	v_mul_u32_u24_e32 v139, 0x10001, v179
	v_mul_u32_u24_e32 v140, 0x10001, v182
	ds_load_b128 v[112:115], v137 offset:35168
	ds_load_b128 v[100:103], v137 offset:35184
	v_lshrrev_b32_e32 v239, 16, v166
	v_pk_fma_f16 v124, v97, v139, v124
	v_pk_fma_f16 v132, v96, v139, v132
	scratch_load_b32 v139, off, off offset:124 th:TH_LOAD_LU ; 4-byte Folded Reload
	v_pk_fma_f16 v97, v97, v140, v134
	v_pk_fma_f16 v96, v96, v140, v136
	v_and_b32_e32 v255, 0xffff, v166
	v_and_b32_e32 v166, 0xffff, v212
	v_lshrrev_b32_e32 v160, 16, v250
	v_and_b32_e32 v125, 0xffff, v250
	v_lshrrev_b32_e32 v127, 16, v252
	;; [unrolled: 2-line block ×5, first 2 shown]
	v_and_b32_e32 v253, 0xffff, v143
	s_wait_dscnt 0x1
	v_lshrrev_b32_e32 v176, 16, v112
	v_and_b32_e32 v162, 0xffff, v112
	v_lshrrev_b32_e32 v163, 16, v113
	v_and_b32_e32 v134, 0xffff, v113
	;; [unrolled: 2-line block ×3, first 2 shown]
	s_wait_dscnt 0x0
	v_lshrrev_b32_e32 v178, 16, v100
	v_and_b32_e32 v173, 0xffff, v100
	v_lshrrev_b32_e32 v174, 16, v101
	v_and_b32_e32 v142, 0xffff, v101
	v_and_b32_e32 v143, 0xffff, v102
	v_mul_u32_u24_e32 v101, 0x10001, v248
	v_lshrrev_b32_e32 v248, 16, v103
	v_lshrrev_b32_e32 v219, 16, v206
	v_and_b32_e32 v221, 0xffff, v206
	v_lshrrev_b32_e32 v254, 16, v211
	v_lshrrev_b32_e32 v211, 16, v154
	v_and_b32_e32 v206, 0xffff, v154
	v_lshrrev_b32_e32 v147, 16, v156
	v_and_b32_e32 v130, 0xffff, v156
	;; [unrolled: 2-line block ×4, first 2 shown]
	ds_load_2addr_b64 v[116:119], v148 offset1:32
	v_mul_u32_u24_e32 v164, 0x10001, v223
	v_lshrrev_b32_e32 v229, 16, v204
	v_and_b32_e32 v204, 0xffff, v204
	v_mul_u32_u24_e32 v169, 0x10001, v169
	v_mul_u32_u24_e32 v161, 0x10001, v161
	;; [unrolled: 1-line block ×48, first 2 shown]
	scratch_load_b32 v115, off, off offset:84 th:TH_LOAD_LU ; 4-byte Folded Reload
	s_wait_loadcnt 0x2
	v_mul_u32_u24_e32 v141, 0x10001, v141
	s_delay_alu instid0(VALU_DEP_1) | instskip(SKIP_4) | instid1(VALU_DEP_1)
	v_pk_fma_f16 v136, v99, v141, v97
	v_pk_fma_f16 v141, v98, v141, v96
	scratch_load_b32 v96, off, off offset:104 th:TH_LOAD_LU ; 4-byte Folded Reload
	s_wait_loadcnt 0x2
	v_mul_u32_u24_e32 v139, 0x10001, v139
	v_pk_fma_f16 v112, v99, v139, v124
	v_pk_fma_f16 v124, v98, v139, v132
	v_lshrrev_b32_e32 v132, 16, v114
	v_and_b32_e32 v139, 0xffff, v114
	scratch_load_b32 v114, off, off offset:100 th:TH_LOAD_LU ; 4-byte Folded Reload
	v_mul_u32_u24_e32 v132, 0x10001, v132
	v_mul_u32_u24_e32 v139, 0x10001, v139
	s_wait_loadcnt 0x1
	v_mul_u32_u24_e32 v113, 0x10001, v96
	ds_load_b128 v[96:99], v137 offset:35200
	v_pk_fma_f16 v112, v85, v113, v112
	v_pk_fma_f16 v113, v84, v113, v124
	scratch_load_b32 v124, off, off offset:80 th:TH_LOAD_LU ; 4-byte Folded Reload
	v_mul_u32_u24_e32 v115, 0x10001, v115
	s_delay_alu instid0(VALU_DEP_1) | instskip(SKIP_1) | instid1(VALU_DEP_2)
	v_pk_fma_f16 v100, v87, v115, v112
	v_pk_fma_f16 v112, v86, v115, v113
	;; [unrolled: 1-line block ×3, first 2 shown]
	s_delay_alu instid0(VALU_DEP_2) | instskip(SKIP_3) | instid1(VALU_DEP_1)
	v_pk_fma_f16 v101, v68, v101, v112
	v_mul_u32_u24_e32 v112, 0x10001, v245
	s_wait_loadcnt 0x1
	v_mul_u32_u24_e32 v114, 0x10001, v114
	v_pk_fma_f16 v85, v85, v114, v136
	v_pk_fma_f16 v84, v84, v114, v141
	v_lshrrev_b32_e32 v141, 16, v102
	v_mul_u32_u24_e32 v102, 0x10001, v247
	v_and_b32_e32 v136, 0xffff, v103
	v_mul_u32_u24_e32 v103, 0x10001, v246
	s_delay_alu instid0(VALU_DEP_4) | instskip(NEXT) | instid1(VALU_DEP_3)
	v_mul_u32_u24_e32 v141, 0x10001, v141
	v_mul_u32_u24_e32 v136, 0x10001, v136
	s_wait_loadcnt 0x0
	v_mul_u32_u24_e32 v124, 0x10001, v124
	s_delay_alu instid0(VALU_DEP_1)
	v_pk_fma_f16 v113, v87, v124, v85
	v_pk_fma_f16 v114, v86, v124, v84
	ds_load_b128 v[84:87], v137 offset:35216
	s_wait_dscnt 0x1
	v_lshrrev_b32_e32 v247, 16, v96
	v_and_b32_e32 v245, 0xffff, v96
	v_pk_fma_f16 v69, v69, v102, v113
	v_pk_fma_f16 v68, v68, v102, v114
	;; [unrolled: 1-line block ×4, first 2 shown]
	v_lshrrev_b32_e32 v246, 16, v97
	v_pk_fma_f16 v101, v71, v112, v69
	v_pk_fma_f16 v102, v70, v112, v68
	v_and_b32_e32 v154, 0xffff, v97
	v_lshrrev_b32_e32 v145, 16, v98
	v_and_b32_e32 v156, 0xffff, v98
	v_mul_u32_u24_e32 v97, 0x10001, v243
	v_mul_u32_u24_e32 v98, 0x10001, v242
	v_lshrrev_b32_e32 v243, 16, v99
	v_and_b32_e32 v124, 0xffff, v99
	v_mul_u32_u24_e32 v99, 0x10001, v240
	v_pk_fma_f16 v96, v61, v97, v96
	v_pk_fma_f16 v97, v60, v97, v100
	v_mul_u32_u24_e32 v100, 0x10001, v234
	v_pk_fma_f16 v61, v61, v98, v101
	v_pk_fma_f16 v60, v60, v98, v102
	s_wait_dscnt 0x0
	v_lshrrev_b32_e32 v242, 16, v84
	v_and_b32_e32 v158, 0xffff, v84
	v_pk_fma_f16 v84, v63, v99, v96
	v_pk_fma_f16 v96, v62, v99, v97
	;; [unrolled: 1-line block ×4, first 2 shown]
	v_mul_u32_u24_e32 v62, 0x10001, v235
	v_mul_u32_u24_e32 v63, 0x10001, v224
	v_lshrrev_b32_e32 v144, 16, v85
	v_and_b32_e32 v157, 0xffff, v85
	v_lshrrev_b32_e32 v240, 16, v86
	v_and_b32_e32 v155, 0xffff, v86
	v_mul_u32_u24_e32 v85, 0x10001, v177
	v_pk_fma_f16 v84, v33, v62, v84
	v_pk_fma_f16 v62, v32, v62, v96
	v_mul_u32_u24_e32 v86, 0x10001, v227
	v_pk_fma_f16 v33, v33, v63, v61
	v_pk_fma_f16 v32, v32, v63, v60
	;; [unrolled: 1-line block ×4, first 2 shown]
	v_mul_u32_u24_e32 v62, 0x10001, v225
	v_pk_fma_f16 v33, v35, v86, v33
	v_pk_fma_f16 v32, v34, v86, v32
	v_mul_u32_u24_e32 v34, 0x10001, v216
	v_mul_u32_u24_e32 v35, 0x10001, v222
	v_pk_fma_f16 v60, v29, v62, v60
	v_pk_fma_f16 v61, v28, v62, v61
	v_mul_u32_u24_e32 v62, 0x10001, v215
	v_pk_fma_f16 v29, v29, v34, v33
	v_pk_fma_f16 v28, v28, v34, v32
	;; [unrolled: 1-line block ×4, first 2 shown]
	v_mul_u32_u24_e32 v34, 0x10001, v180
	v_mul_u32_u24_e32 v35, 0x10001, v228
	v_pk_fma_f16 v29, v31, v62, v29
	v_pk_fma_f16 v28, v30, v62, v28
	ds_load_2addr_b64 v[68:71], v148 offset0:64 offset1:96
	ds_load_2addr_b64 v[100:103], v148 offset0:128 offset1:160
	;; [unrolled: 1-line block ×3, first 2 shown]
	v_mul_u32_u24_e32 v30, 0x10001, v181
	v_mul_u32_u24_e32 v31, 0x10001, v185
	v_pk_fma_f16 v148, v25, v34, v32
	v_pk_fma_f16 v25, v25, v35, v29
	;; [unrolled: 1-line block ×4, first 2 shown]
	v_lshrrev_b32_e32 v234, 16, v87
	v_and_b32_e32 v235, 0xffff, v87
	ds_load_2addr_b64 v[84:87], v149 offset1:32
	ds_load_2addr_b64 v[96:99], v149 offset0:64 offset1:96
	ds_load_2addr_b64 v[60:63], v149 offset0:128 offset1:160
	;; [unrolled: 1-line block ×3, first 2 shown]
	v_mul_u32_u24_e32 v149, 0x10001, v226
	v_pk_fma_f16 v148, v27, v30, v148
	v_pk_fma_f16 v25, v27, v31, v25
	v_pk_fma_f16 v27, v26, v30, v29
	v_pk_fma_f16 v24, v26, v31, v24
	v_mul_u32_u24_e32 v177, 0x10001, v220
	v_mul_u32_u24_e32 v180, 0x10001, v217
	v_pk_fma_f16 v148, v21, v149, v148
	v_pk_fma_f16 v21, v21, v164, v25
	v_pk_fma_f16 v149, v20, v149, v27
	v_pk_fma_f16 v20, v20, v164, v24
	v_mul_u32_u24_e32 v164, 0x10001, v171
	;; [unrolled: 6-line block ×3, first 2 shown]
	v_pk_fma_f16 v148, v17, v164, v148
	v_pk_fma_f16 v17, v17, v171, v181
	;; [unrolled: 1-line block ×4, first 2 shown]
	v_mul_u32_u24_e32 v164, 0x10001, v187
	v_pk_fma_f16 v148, v19, v180, v148
	v_pk_fma_f16 v171, v19, v182, v17
	;; [unrolled: 1-line block ×4, first 2 shown]
	v_mul_u32_u24_e32 v177, 0x10001, v218
	ds_load_2addr_b64 v[28:31], v150 offset1:32
	ds_load_2addr_b64 v[24:27], v150 offset0:64 offset1:96
	ds_load_2addr_b64 v[20:23], v150 offset0:128 offset1:160
	ds_load_b128 v[222:225], v137 offset:35232
	ds_load_b128 v[226:229], v137 offset:35248
	v_pk_fma_f16 v148, v13, v164, v148
	v_pk_fma_f16 v164, v12, v164, v17
	ds_load_2addr_b64 v[16:19], v150 offset0:192 offset1:224
	v_mul_u32_u24_e32 v150, 0x10001, v221
	v_mul_u32_u24_e32 v180, 0x10001, v219
	v_pk_fma_f16 v12, v12, v177, v149
	v_pk_fma_f16 v13, v13, v177, v171
	v_mul_u32_u24_e32 v171, 0x10001, v183
	v_pk_fma_f16 v148, v15, v150, v148
	v_pk_fma_f16 v149, v14, v150, v164
	;; [unrolled: 3-line block ×3, first 2 shown]
	v_pk_fma_f16 v148, v1, v169, v148
	v_pk_fma_f16 v149, v0, v169, v149
	v_mul_u32_u24_e32 v169, 0x10001, v184
	v_pk_fma_f16 v0, v0, v150, v170
	ds_load_b128 v[12:15], v137 offset:35264
	ds_load_b128 v[215:218], v137 offset:35280
	s_clause 0x2
	scratch_load_b32 v182, off, off offset:108 th:TH_LOAD_LU
	scratch_load_b32 v189, off, off offset:96 th:TH_LOAD_LU
	;; [unrolled: 1-line block ×3, first 2 shown]
	v_pk_fma_f16 v148, v3, v169, v148
	v_pk_fma_f16 v149, v2, v169, v149
	;; [unrolled: 1-line block ×3, first 2 shown]
	v_mul_u32_u24_e32 v2, 0x10001, v205
	v_pk_fma_f16 v1, v1, v150, v164
	s_wait_dscnt 0x4
	v_lshrrev_b32_e32 v150, 16, v222
	v_and_b32_e32 v164, 0xffff, v222
	ds_load_b128 v[219:222], v137 offset:35296
	v_pk_fma_f16 v148, v9, v2, v148
	v_pk_fma_f16 v2, v8, v2, v149
	scratch_load_b32 v149, off, off offset:116 th:TH_LOAD_LU ; 4-byte Folded Reload
	v_pk_fma_f16 v1, v3, v171, v1
	v_mul_u32_u24_e32 v3, 0x10001, v203
	v_lshrrev_b32_e32 v171, 16, v224
	v_and_b32_e32 v177, 0xffff, v224
	s_wait_dscnt 0x2
	v_lshrrev_b32_e32 v197, 16, v14
	v_and_b32_e32 v198, 0xffff, v14
	v_pk_fma_f16 v1, v9, v3, v1
	v_pk_fma_f16 v0, v8, v3, v0
	v_lshrrev_b32_e32 v195, 16, v12
	v_lshrrev_b32_e32 v203, 16, v15
	v_and_b32_e32 v204, 0xffff, v15
	v_lshrrev_b32_e32 v180, 16, v225
	v_and_b32_e32 v181, 0xffff, v225
	v_lshrrev_b32_e32 v183, 16, v226
	v_lshrrev_b32_e32 v184, 16, v228
	v_and_b32_e32 v185, 0xffff, v228
	v_mul_u32_u24_e32 v228, 0x10001, v233
	v_lshrrev_b32_e32 v186, 16, v229
	v_and_b32_e32 v187, 0xffff, v229
	v_mul_u32_u24_e32 v229, 0x10001, v249
	v_mul_u32_u24_e32 v233, 0x10001, v254
	;; [unrolled: 1-line block ×9, first 2 shown]
	v_lshrrev_b32_e32 v169, 16, v223
	v_and_b32_e32 v170, 0xffff, v223
	s_wait_dscnt 0x1
	v_lshrrev_b32_e32 v205, 16, v215
	v_and_b32_e32 v207, 0xffff, v215
	v_lshrrev_b32_e32 v215, 16, v216
	v_lshrrev_b32_e32 v223, 16, v217
	v_and_b32_e32 v216, 0xffff, v216
	v_and_b32_e32 v217, 0xffff, v217
	scratch_load_b32 v14, off, off offset:68 th:TH_LOAD_LU ; 4-byte Folded Reload
	s_wait_loadcnt 0x4
	v_mul_u32_u24_e32 v182, 0x10001, v182
	s_wait_loadcnt 0x3
	v_mul_u32_u24_e32 v189, 0x10001, v189
	;; [unrolled: 2-line block ×3, first 2 shown]
	v_pk_fma_f16 v8, v11, v182, v1
	v_pk_fma_f16 v9, v10, v182, v0
	s_clause 0x1
	scratch_load_b32 v0, off, off offset:128 th:TH_LOAD_LU
	scratch_load_b32 v1, off, off offset:112 th:TH_LOAD_LU
	v_and_b32_e32 v182, 0xffff, v227
	s_wait_loadcnt 0x3
	v_mul_u32_u24_e32 v149, 0x10001, v149
	s_delay_alu instid0(VALU_DEP_1)
	v_pk_fma_f16 v3, v11, v149, v148
	v_pk_fma_f16 v2, v10, v149, v2
	v_lshrrev_b32_e32 v149, 16, v227
	scratch_load_b32 v227, off, off offset:56 th:TH_LOAD_LU ; 4-byte Folded Reload
	v_and_b32_e32 v148, 0xffff, v226
	s_wait_loadcnt 0x3
	v_mul_u32_u24_e32 v14, 0x10001, v14
	s_wait_loadcnt 0x2
	v_mul_u32_u24_e32 v0, 0x10001, v0
	;; [unrolled: 2-line block ×3, first 2 shown]
	s_delay_alu instid0(VALU_DEP_2) | instskip(SKIP_1) | instid1(VALU_DEP_3)
	v_pk_fma_f16 v11, v5, v0, v3
	v_pk_fma_f16 v188, v4, v0, v2
	;; [unrolled: 1-line block ×4, first 2 shown]
	s_delay_alu instid0(VALU_DEP_4) | instskip(NEXT) | instid1(VALU_DEP_4)
	v_pk_fma_f16 v8, v7, v189, v11
	v_pk_fma_f16 v9, v6, v189, v188
	s_delay_alu instid0(VALU_DEP_4) | instskip(NEXT) | instid1(VALU_DEP_4)
	v_pk_fma_f16 v10, v7, v194, v5
	v_pk_fma_f16 v11, v6, v194, v4
	s_clause 0x1
	scratch_load_b32 v4, off, off offset:88 th:TH_LOAD_LU
	scratch_load_b32 v5, off, off offset:76 th:TH_LOAD_LU
	v_lshrrev_b32_e32 v189, 16, v13
	v_and_b32_e32 v194, 0xffff, v13
	scratch_load_b32 v13, off, off offset:72 th:TH_LOAD_LU ; 4-byte Folded Reload
	v_and_b32_e32 v188, 0xffff, v12
	s_wait_loadcnt 0x2
	v_mul_u32_u24_e32 v4, 0x10001, v4
	s_wait_loadcnt 0x1
	v_mul_u32_u24_e32 v12, 0x10001, v5
	;; [unrolled: 2-line block ×3, first 2 shown]
	v_pk_fma_f16 v8, v105, v4, v8
	v_pk_fma_f16 v9, v104, v4, v9
	;; [unrolled: 1-line block ×4, first 2 shown]
	v_mul_u32_u24_e32 v104, 0x10001, v209
	v_pk_fma_f16 v12, v107, v13, v8
	v_pk_fma_f16 v13, v106, v13, v9
	;; [unrolled: 1-line block ×3, first 2 shown]
	v_mul_u32_u24_e32 v105, 0x10001, v152
	v_pk_fma_f16 v14, v106, v14, v11
	v_pk_fma_f16 v12, v121, v104, v12
	;; [unrolled: 1-line block ×3, first 2 shown]
	v_mul_u32_u24_e32 v104, 0x10001, v231
	v_mul_u32_u24_e32 v106, 0x10001, v196
	v_pk_fma_f16 v15, v121, v105, v15
	v_pk_fma_f16 v14, v120, v105, v14
	ds_load_b128 v[8:11], v137 offset:35312
	v_pk_fma_f16 v105, v123, v104, v12
	v_pk_fma_f16 v104, v122, v104, v13
	;; [unrolled: 1-line block ×3, first 2 shown]
	s_wait_dscnt 0x1
	v_lshrrev_b32_e32 v121, 16, v220
	v_pk_fma_f16 v106, v122, v106, v14
	v_and_b32_e32 v122, 0xffff, v220
	v_lshrrev_b32_e32 v123, 16, v221
	v_and_b32_e32 v152, 0xffff, v221
	v_pk_fma_f16 v105, v89, v161, v105
	v_mul_u32_u24_e32 v220, 0x10001, v237
	v_mul_u32_u24_e32 v221, 0x10001, v236
	v_pk_fma_f16 v89, v89, v210, v107
	scratch_load_b32 v236, off, off offset:64 th:TH_LOAD_LU ; 4-byte Folded Reload
	v_pk_fma_f16 v104, v88, v161, v104
	v_pk_fma_f16 v105, v91, v220, v105
	;; [unrolled: 1-line block ×4, first 2 shown]
	v_mul_u32_u24_e32 v91, 0x10001, v232
	scratch_load_b32 v232, off, off offset:52 th:TH_LOAD_LU ; 4-byte Folded Reload
	v_pk_fma_f16 v104, v90, v220, v104
	v_pk_fma_f16 v88, v90, v221, v88
	v_mul_u32_u24_e32 v90, 0x10001, v241
	v_mul_u32_u24_e32 v106, 0x10001, v255
	ds_load_2addr_b64 v[0:3], v227 offset1:32
	ds_load_2addr_b64 v[4:7], v227 offset0:64 offset1:96
	v_lshrrev_b32_e32 v137, 16, v219
	v_pk_fma_f16 v105, v77, v90, v105
	v_pk_fma_f16 v90, v76, v90, v104
	v_mul_u32_u24_e32 v104, 0x10001, v239
	v_pk_fma_f16 v77, v77, v91, v89
	v_pk_fma_f16 v76, v76, v91, v88
	v_and_b32_e32 v120, 0xffff, v219
	v_lshrrev_b32_e32 v196, 16, v222
	v_and_b32_e32 v219, 0xffff, v222
	ds_load_2addr_b64 v[12:15], v227 offset0:128 offset1:160
	s_wait_dscnt 0x3
	v_lshrrev_b32_e32 v161, 16, v8
	v_and_b32_e32 v210, 0xffff, v8
	v_lshrrev_b32_e32 v220, 16, v9
	v_and_b32_e32 v221, 0xffff, v9
	;; [unrolled: 2-line block ×4, first 2 shown]
	ds_load_2addr_b64 v[8:11], v227 offset0:192 offset1:224
	v_pk_fma_f16 v105, v79, v106, v105
	v_pk_fma_f16 v106, v78, v106, v90
	v_mul_u32_u24_e32 v107, 0x10001, v244
	v_pk_fma_f16 v227, v79, v104, v77
	v_pk_fma_f16 v104, v78, v104, v76
	v_mul_u32_u24_e32 v231, 0x10001, v238
	v_mul_u32_u24_e32 v237, 0x10001, v251
	v_pk_fma_f16 v105, v73, v107, v105
	v_pk_fma_f16 v106, v72, v107, v106
	;; [unrolled: 1-line block ×4, first 2 shown]
	v_mul_u32_u24_e32 v238, 0x10001, v252
	v_pk_fma_f16 v227, v75, v229, v105
	v_pk_fma_f16 v228, v74, v229, v106
	;; [unrolled: 1-line block ×4, first 2 shown]
	v_mul_u32_u24_e32 v239, 0x10001, v250
	v_mul_u32_u24_e32 v241, 0x10001, v253
	;; [unrolled: 1-line block ×3, first 2 shown]
	v_lshrrev_b32_e32 v209, 16, v218
	v_and_b32_e32 v218, 0xffff, v218
	s_wait_loadcnt 0x1
	v_mul_u32_u24_e32 v236, 0x10001, v236
	s_wait_loadcnt 0x0
	ds_load_2addr_b64 v[88:91], v232 offset1:32
	ds_load_2addr_b64 v[76:79], v232 offset0:64 offset1:96
	ds_load_2addr_b64 v[104:107], v232 offset0:128 offset1:160
	;; [unrolled: 1-line block ×3, first 2 shown]
	scratch_load_b32 v232, off, off offset:60 th:TH_LOAD_LU ; 4-byte Folded Reload
	s_wait_loadcnt 0x0
	v_mul_u32_u24_e32 v232, 0x10001, v232
	s_delay_alu instid0(VALU_DEP_1) | instskip(SKIP_3) | instid1(VALU_DEP_4)
	v_pk_fma_f16 v227, v37, v232, v227
	v_pk_fma_f16 v37, v37, v233, v229
	;; [unrolled: 1-line block ×5, first 2 shown]
	s_delay_alu instid0(VALU_DEP_4) | instskip(NEXT) | instid1(VALU_DEP_4)
	v_pk_fma_f16 v37, v39, v236, v37
	v_pk_fma_f16 v39, v38, v166, v228
	s_delay_alu instid0(VALU_DEP_4)
	v_pk_fma_f16 v36, v38, v236, v36
	v_mul_u32_u24_e32 v38, 0x10001, v243
	v_pk_fma_f16 v166, v57, v168, v227
	v_pk_fma_f16 v37, v57, v165, v37
	v_pk_fma_f16 v39, v56, v168, v39
	v_pk_fma_f16 v36, v56, v165, v36
	v_mul_u32_u24_e32 v56, 0x10001, v158
	v_pk_fma_f16 v57, v59, v153, v166
	v_pk_fma_f16 v37, v59, v167, v37
	v_pk_fma_f16 v39, v58, v153, v39
	v_pk_fma_f16 v36, v58, v167, v36
	v_mul_u32_u24_e32 v58, 0x10001, v242
	v_pk_fma_f16 v57, v49, v125, v57
	v_pk_fma_f16 v37, v49, v160, v37
	v_pk_fma_f16 v39, v48, v125, v39
	v_pk_fma_f16 v36, v48, v160, v36
	v_mul_u32_u24_e32 v48, 0x10001, v157
	v_pk_fma_f16 v49, v51, v191, v57
	v_pk_fma_f16 v37, v51, v126, v37
	v_pk_fma_f16 v39, v50, v191, v39
	v_pk_fma_f16 v36, v50, v126, v36
	v_mul_u32_u24_e32 v50, 0x10001, v144
	v_pk_fma_f16 v49, v45, v208, v49
	v_pk_fma_f16 v37, v45, v127, v37
	v_pk_fma_f16 v39, v44, v208, v39
	v_pk_fma_f16 v36, v44, v127, v36
	v_mul_u32_u24_e32 v44, 0x10001, v155
	v_pk_fma_f16 v45, v47, v230, v49
	v_pk_fma_f16 v37, v47, v159, v37
	v_pk_fma_f16 v39, v46, v230, v39
	v_pk_fma_f16 v36, v46, v159, v36
	v_mul_u32_u24_e32 v46, 0x10001, v240
	v_pk_fma_f16 v45, v41, v192, v45
	v_pk_fma_f16 v37, v41, v151, v37
	v_pk_fma_f16 v39, v40, v192, v39
	v_pk_fma_f16 v36, v40, v151, v36
	v_mul_u32_u24_e32 v40, 0x10001, v235
	v_pk_fma_f16 v41, v43, v200, v45
	v_pk_fma_f16 v37, v43, v193, v37
	v_pk_fma_f16 v39, v42, v200, v39
	v_pk_fma_f16 v36, v42, v193, v36
	v_mul_u32_u24_e32 v42, 0x10001, v234
	v_pk_fma_f16 v41, v53, v201, v41
	v_pk_fma_f16 v37, v53, v190, v37
	v_pk_fma_f16 v39, v52, v201, v39
	v_pk_fma_f16 v36, v52, v190, v36
	v_mul_u32_u24_e32 v43, 0x10001, v164
	v_pk_fma_f16 v41, v55, v202, v41
	v_pk_fma_f16 v37, v55, v199, v37
	v_pk_fma_f16 v39, v54, v202, v39
	v_pk_fma_f16 v36, v54, v199, v36
	v_mul_u32_u24_e32 v45, 0x10001, v150
	v_pk_fma_f16 v41, v65, v213, v41
	v_pk_fma_f16 v37, v65, v133, v37
	v_pk_fma_f16 v39, v64, v213, v39
	v_pk_fma_f16 v36, v64, v133, v36
	v_mul_u32_u24_e32 v47, 0x10001, v170
	v_pk_fma_f16 v41, v67, v237, v41
	v_pk_fma_f16 v37, v67, v214, v37
	v_pk_fma_f16 v39, v66, v237, v39
	v_pk_fma_f16 v36, v66, v214, v36
	v_mul_u32_u24_e32 v49, 0x10001, v169
	v_pk_fma_f16 v41, v81, v238, v41
	v_pk_fma_f16 v37, v81, v239, v37
	v_pk_fma_f16 v39, v80, v238, v39
	v_pk_fma_f16 v36, v80, v239, v36
	v_mul_u32_u24_e32 v51, 0x10001, v177
	v_pk_fma_f16 v41, v83, v241, v41
	v_pk_fma_f16 v37, v83, v212, v37
	v_pk_fma_f16 v39, v82, v241, v39
	v_pk_fma_f16 v36, v82, v212, v36
	v_mul_u32_u24_e32 v52, 0x10001, v171
	v_pk_fma_f16 v41, v93, v206, v41
	v_pk_fma_f16 v37, v93, v211, v37
	v_pk_fma_f16 v39, v92, v206, v39
	v_pk_fma_f16 v36, v92, v211, v36
	v_mul_u32_u24_e32 v53, 0x10001, v181
	v_pk_fma_f16 v41, v95, v175, v41
	v_pk_fma_f16 v37, v95, v146, v37
	v_pk_fma_f16 v39, v94, v175, v39
	v_pk_fma_f16 v36, v94, v146, v36
	v_mul_u32_u24_e32 v54, 0x10001, v180
	v_pk_fma_f16 v41, v109, v130, v41
	v_pk_fma_f16 v37, v109, v147, v37
	v_pk_fma_f16 v39, v108, v130, v39
	v_pk_fma_f16 v36, v108, v147, v36
	v_mul_u32_u24_e32 v55, 0x10001, v148
	v_pk_fma_f16 v41, v111, v131, v41
	v_pk_fma_f16 v37, v111, v172, v37
	v_pk_fma_f16 v39, v110, v131, v39
	v_pk_fma_f16 v36, v110, v172, v36
	v_mul_u32_u24_e32 v57, 0x10001, v183
	v_pk_fma_f16 v41, v117, v162, v41
	v_pk_fma_f16 v37, v117, v176, v37
	v_pk_fma_f16 v39, v116, v162, v39
	v_pk_fma_f16 v36, v116, v176, v36
	v_mul_u32_u24_e32 v59, 0x10001, v182
	v_pk_fma_f16 v41, v119, v134, v41
	v_pk_fma_f16 v37, v119, v163, v37
	v_pk_fma_f16 v39, v118, v134, v39
	v_pk_fma_f16 v36, v118, v163, v36
	v_mul_u32_u24_e32 v64, 0x10001, v149
	v_pk_fma_f16 v41, v69, v139, v41
	v_pk_fma_f16 v37, v69, v132, v37
	v_pk_fma_f16 v39, v68, v139, v39
	v_pk_fma_f16 v36, v68, v132, v36
	v_mul_u32_u24_e32 v65, 0x10001, v185
	v_pk_fma_f16 v41, v71, v140, v41
	v_pk_fma_f16 v37, v71, v179, v37
	v_pk_fma_f16 v39, v70, v140, v39
	v_pk_fma_f16 v36, v70, v179, v36
	v_mul_u32_u24_e32 v66, 0x10001, v184
	v_pk_fma_f16 v41, v101, v173, v41
	v_pk_fma_f16 v37, v101, v178, v37
	v_pk_fma_f16 v39, v100, v173, v39
	v_pk_fma_f16 v36, v100, v178, v36
	v_mul_u32_u24_e32 v67, 0x10001, v187
	v_pk_fma_f16 v41, v103, v142, v41
	v_pk_fma_f16 v37, v103, v174, v37
	v_pk_fma_f16 v39, v102, v142, v39
	v_pk_fma_f16 v36, v102, v174, v36
	v_mul_u32_u24_e32 v68, 0x10001, v186
	v_pk_fma_f16 v41, v113, v143, v41
	v_pk_fma_f16 v37, v113, v141, v37
	v_pk_fma_f16 v39, v112, v143, v39
	v_pk_fma_f16 v36, v112, v141, v36
	v_mul_u32_u24_e32 v69, 0x10001, v188
	v_pk_fma_f16 v41, v115, v136, v41
	v_pk_fma_f16 v37, v115, v244, v37
	v_pk_fma_f16 v39, v114, v136, v39
	v_pk_fma_f16 v36, v114, v244, v36
	v_mul_u32_u24_e32 v70, 0x10001, v195
	v_pk_fma_f16 v41, v85, v245, v41
	v_pk_fma_f16 v37, v85, v247, v37
	v_pk_fma_f16 v39, v84, v245, v39
	v_pk_fma_f16 v36, v84, v247, v36
	v_mul_u32_u24_e32 v80, 0x10001, v189
	v_pk_fma_f16 v41, v87, v154, v41
	v_pk_fma_f16 v37, v87, v246, v37
	v_pk_fma_f16 v39, v86, v154, v39
	v_pk_fma_f16 v36, v86, v246, v36
	v_mul_u32_u24_e32 v71, 0x10001, v194
	v_pk_fma_f16 v41, v97, v156, v41
	v_pk_fma_f16 v37, v97, v145, v37
	v_pk_fma_f16 v39, v96, v156, v39
	v_pk_fma_f16 v36, v96, v145, v36
	v_mul_u32_u24_e32 v81, 0x10001, v198
	v_pk_fma_f16 v41, v99, v124, v41
	v_pk_fma_f16 v37, v99, v38, v37
	v_pk_fma_f16 v39, v98, v124, v39
	v_pk_fma_f16 v36, v98, v38, v36
	v_mul_u32_u24_e32 v38, 0x10001, v197
	v_pk_fma_f16 v41, v61, v56, v41
	v_pk_fma_f16 v37, v61, v58, v37
	v_pk_fma_f16 v39, v60, v56, v39
	v_pk_fma_f16 v36, v60, v58, v36
	v_mul_u32_u24_e32 v56, 0x10001, v204
	v_pk_fma_f16 v41, v63, v48, v41
	v_pk_fma_f16 v37, v63, v50, v37
	v_pk_fma_f16 v39, v62, v48, v39
	v_pk_fma_f16 v36, v62, v50, v36
	v_mul_u32_u24_e32 v48, 0x10001, v203
	v_pk_fma_f16 v41, v33, v44, v41
	v_pk_fma_f16 v33, v33, v46, v37
	v_pk_fma_f16 v37, v32, v44, v39
	v_pk_fma_f16 v32, v32, v46, v36
	v_mul_u32_u24_e32 v36, 0x10001, v207
	v_pk_fma_f16 v39, v35, v40, v41
	v_pk_fma_f16 v33, v35, v42, v33
	v_pk_fma_f16 v35, v34, v40, v37
	v_pk_fma_f16 v32, v34, v42, v32
	v_mul_u32_u24_e32 v34, 0x10001, v205
	v_pk_fma_f16 v37, v29, v43, v39
	v_pk_fma_f16 v29, v29, v45, v33
	v_pk_fma_f16 v33, v28, v43, v35
	v_pk_fma_f16 v28, v28, v45, v32
	v_mul_u32_u24_e32 v32, 0x10001, v216
	v_pk_fma_f16 v35, v31, v47, v37
	v_pk_fma_f16 v29, v31, v49, v29
	v_pk_fma_f16 v31, v30, v47, v33
	v_pk_fma_f16 v28, v30, v49, v28
	v_mul_u32_u24_e32 v30, 0x10001, v215
	v_pk_fma_f16 v33, v25, v51, v35
	v_pk_fma_f16 v25, v25, v52, v29
	v_pk_fma_f16 v29, v24, v51, v31
	v_pk_fma_f16 v24, v24, v52, v28
	v_mul_u32_u24_e32 v28, 0x10001, v217
	v_pk_fma_f16 v31, v27, v53, v33
	v_pk_fma_f16 v25, v27, v54, v25
	v_pk_fma_f16 v27, v26, v53, v29
	v_pk_fma_f16 v24, v26, v54, v24
	v_mul_u32_u24_e32 v26, 0x10001, v223
	v_pk_fma_f16 v29, v21, v55, v31
	v_pk_fma_f16 v21, v21, v57, v25
	v_pk_fma_f16 v25, v20, v55, v27
	v_pk_fma_f16 v20, v20, v57, v24
	v_mul_u32_u24_e32 v24, 0x10001, v218
	v_pk_fma_f16 v27, v23, v59, v29
	v_pk_fma_f16 v21, v23, v64, v21
	v_pk_fma_f16 v23, v22, v59, v25
	v_pk_fma_f16 v20, v22, v64, v20
	v_mul_u32_u24_e32 v22, 0x10001, v209
	v_pk_fma_f16 v25, v17, v65, v27
	v_pk_fma_f16 v17, v17, v66, v21
	v_pk_fma_f16 v21, v16, v65, v23
	v_pk_fma_f16 v16, v16, v66, v20
	v_mul_u32_u24_e32 v20, 0x10001, v120
	v_pk_fma_f16 v23, v19, v67, v25
	v_pk_fma_f16 v17, v19, v68, v17
	v_pk_fma_f16 v19, v18, v67, v21
	v_pk_fma_f16 v16, v18, v68, v16
	v_mul_u32_u24_e32 v18, 0x10001, v137
	s_wait_dscnt 0x7
	v_pk_fma_f16 v21, v1, v69, v23
	v_pk_fma_f16 v1, v1, v70, v17
	v_pk_fma_f16 v17, v0, v69, v19
	v_pk_fma_f16 v0, v0, v70, v16
	v_mul_u32_u24_e32 v16, 0x10001, v122
	v_pk_fma_f16 v19, v3, v71, v21
	v_pk_fma_f16 v1, v3, v80, v1
	v_pk_fma_f16 v3, v2, v71, v17
	v_pk_fma_f16 v0, v2, v80, v0
	v_mul_u32_u24_e32 v2, 0x10001, v121
	s_wait_dscnt 0x6
	v_pk_fma_f16 v17, v5, v81, v19
	v_pk_fma_f16 v1, v5, v38, v1
	v_pk_fma_f16 v3, v4, v81, v3
	v_pk_fma_f16 v0, v4, v38, v0
	v_mul_u32_u24_e32 v4, 0x10001, v152
	v_pk_fma_f16 v5, v7, v56, v17
	v_pk_fma_f16 v1, v7, v48, v1
	v_pk_fma_f16 v3, v6, v56, v3
	;; [unrolled: 11-line block ×4, first 2 shown]
	v_pk_fma_f16 v0, v10, v22, v0
	v_mul_u32_u24_e32 v8, 0x10001, v210
	s_wait_dscnt 0x3
	v_pk_fma_f16 v5, v89, v20, v5
	v_pk_fma_f16 v1, v89, v18, v1
	v_pk_fma_f16 v3, v88, v20, v3
	v_pk_fma_f16 v0, v88, v18, v0
	scratch_load_b32 v55, off, off offset:48 th:TH_LOAD_LU ; 4-byte Folded Reload
	v_pk_fma_f16 v5, v91, v16, v5
	v_pk_fma_f16 v1, v91, v2, v1
	;; [unrolled: 1-line block ×4, first 2 shown]
	v_mul_u32_u24_e32 v2, 0x10001, v220
	s_wait_dscnt 0x2
	v_pk_fma_f16 v5, v77, v4, v5
	v_pk_fma_f16 v1, v77, v6, v1
	v_pk_fma_f16 v3, v76, v4, v3
	v_pk_fma_f16 v0, v76, v6, v0
	v_mul_u32_u24_e32 v6, 0x10001, v222
	v_pk_fma_f16 v5, v79, v7, v5
	v_pk_fma_f16 v1, v79, v12, v1
	;; [unrolled: 1-line block ×4, first 2 shown]
	s_wait_storecnt 0x0
	s_wait_loadcnt_dscnt 0x0
	s_barrier_signal -1
	v_pk_fma_f16 v1, v105, v9, v1
	s_barrier_wait -1
	v_pk_fma_f16 v0, v104, v9, v0
	global_inv scope:SCOPE_SE
	scratch_load_b32 v169, off, off offset:20 ; 4-byte Folded Reload
	v_pk_fma_f16 v1, v107, v2, v1
	v_pk_fma_f16 v5, v105, v8, v5
	;; [unrolled: 1-line block ×3, first 2 shown]
	v_mul_u32_u24_e32 v2, 0x10001, v225
	v_pk_fma_f16 v3, v104, v8, v3
	v_pk_fma_f16 v1, v73, v6, v1
	s_clause 0x1
	scratch_load_b32 v168, off, off offset:16
	scratch_load_b32 v171, off, off offset:24
	v_pk_fma_f16 v0, v72, v6, v0
	v_mul_u32_u24_e32 v10, 0x10001, v221
	v_mul_u32_u24_e32 v4, 0x10001, v224
	v_pk_fma_f16 v35, v75, v2, v1
	v_mul_u32_u24_e32 v7, 0x10001, v226
	v_pk_fma_f16 v88, v74, v2, v0
	s_clause 0x4
	scratch_load_b32 v2, off, off offset:28
	scratch_load_b32 v1, off, off offset:32
	scratch_load_b32 v6, off, off offset:36
	scratch_load_b32 v8, off, off offset:40
	scratch_load_b32 v9, off, off offset:44
	v_pk_fma_f16 v5, v107, v10, v5
	v_pk_fma_f16 v3, v106, v10, v3
	v_mov_b32_e32 v10, 32
	s_delay_alu instid0(VALU_DEP_3) | instskip(NEXT) | instid1(VALU_DEP_3)
	v_pk_fma_f16 v5, v73, v4, v5
	v_pk_fma_f16 v3, v72, v4, v3
	s_delay_alu instid0(VALU_DEP_2) | instskip(SKIP_1) | instid1(VALU_DEP_3)
	v_pk_fma_f16 v38, v75, v7, v5
	v_mov_b32_e32 v4, v128
	v_pk_fma_f16 v89, v74, v7, v3
	v_mov_b32_e32 v5, v129
	v_mbcnt_lo_u32_b32 v7, -1, 0
	s_wait_loadcnt 0x7
	v_or_b32_e32 v167, 1, v169
.LBB59_72:
	s_wait_loadcnt 0x3
	v_cmp_lt_i32_e32 vcc_lo, v1, v10
	s_cmp_eq_u64 s[16:17], 0
	v_lshlrev_b32_e32 v20, 2, v135
	s_cselect_b32 s2, -1, 0
	s_cmp_lg_u32 s18, 0
	s_wait_alu 0xfffd
	v_cndmask_b32_e32 v0, v7, v1, vcc_lo
	v_cmp_lt_i32_e32 vcc_lo, v2, v10
	s_cselect_b32 s3, -1, 0
	s_wait_alu 0xfffe
	s_or_b32 s2, s3, s2
	v_lshlrev_b32_e32 v0, 2, v0
	s_wait_alu 0xfffd
	v_cndmask_b32_e32 v2, v7, v2, vcc_lo
	s_wait_loadcnt 0x2
	v_cmp_lt_i32_e32 vcc_lo, v6, v10
	ds_bpermute_b32 v1, v0, v138
	v_lshlrev_b32_e32 v2, 2, v2
	s_wait_alu 0xfffd
	v_cndmask_b32_e32 v6, v7, v6, vcc_lo
	s_wait_loadcnt 0x1
	v_cmp_lt_i32_e32 vcc_lo, v8, v10
	s_wait_dscnt 0x0
	s_delay_alu instid0(VALU_DEP_2)
	v_dual_add_f32 v1, v138, v1 :: v_dual_lshlrev_b32 v6, 2, v6
	ds_bpermute_b32 v0, v0, v55
	ds_bpermute_b32 v3, v2, v1
	s_wait_dscnt 0x0
	v_dual_add_f32 v1, v1, v3 :: v_dual_add_f32 v0, v55, v0
	ds_bpermute_b32 v2, v2, v0
	s_wait_dscnt 0x0
	v_add_f32_e32 v0, v0, v2
	ds_bpermute_b32 v2, v6, v1
	ds_bpermute_b32 v3, v6, v0
	s_wait_dscnt 0x1
	s_wait_alu 0xfffd
	v_dual_add_f32 v1, v1, v2 :: v_dual_cndmask_b32 v6, v7, v8
	s_wait_loadcnt 0x0
	v_cmp_lt_i32_e32 vcc_lo, v9, v10
	s_wait_dscnt 0x0
	v_add_f32_e32 v0, v0, v3
	v_lshlrev_b32_e32 v6, 2, v6
	ds_bpermute_b32 v2, v6, v1
	ds_bpermute_b32 v3, v6, v0
	s_wait_alu 0xfffd
	v_cndmask_b32_e32 v6, v7, v9, vcc_lo
	s_wait_alu 0xfffe
	s_and_b32 vcc_lo, exec_lo, s2
	s_delay_alu instid0(VALU_DEP_1)
	v_lshlrev_b32_e32 v6, 2, v6
	s_wait_dscnt 0x0
	v_dual_add_f32 v1, v1, v2 :: v_dual_add_f32 v2, v0, v3
	ds_bpermute_b32 v0, v6, v1
	ds_bpermute_b32 v3, v6, v2
	s_wait_dscnt 0x0
	v_dual_add_f32 v0, v1, v0 :: v_dual_add_f32 v1, v2, v3
	s_wait_alu 0xfffe
	s_cbranch_vccnz .LBB59_75
; %bb.73:
	v_dual_mov_b32 v2, 0 :: v_dual_max_num_f32 v3, v4, v4
	s_lshl_b64 s[2:3], s[28:29], 2
	v_max_num_f32_e32 v8, v5, v5
	s_wait_alu 0xfffe
	s_add_nc_u64 s[2:3], s[16:17], s[2:3]
	global_load_b32 v2, v2, s[2:3]
	s_wait_loadcnt 0x0
	v_max_num_f32_e32 v7, v2, v2
	s_delay_alu instid0(VALU_DEP_1) | instskip(SKIP_1) | instid1(VALU_DEP_2)
	v_max_num_f32_e32 v6, v3, v7
	v_max_num_f32_e32 v7, v8, v7
	v_sub_f32_e32 v3, v4, v6
	v_sub_f32_e32 v4, v2, v6
	s_delay_alu instid0(VALU_DEP_3) | instskip(NEXT) | instid1(VALU_DEP_2)
	v_sub_f32_e32 v8, v2, v7
	v_dual_mul_f32 v2, 0x3fb8aa3b, v3 :: v_dual_mul_f32 v9, 0x3fb8aa3b, v4
	s_delay_alu instid0(VALU_DEP_2) | instskip(SKIP_1) | instid1(VALU_DEP_3)
	v_mul_f32_e32 v11, 0x3fb8aa3b, v8
	v_cmp_ngt_f32_e32 vcc_lo, 0xc2ce8ed0, v3
	v_rndne_f32_e32 v13, v2
	v_sub_f32_e32 v5, v5, v7
	v_fma_f32 v14, 0x3fb8aa3b, v4, -v9
	v_rndne_f32_e32 v15, v9
	v_fma_f32 v12, 0x3fb8aa3b, v3, -v2
	v_rndne_f32_e32 v19, v11
	v_sub_f32_e32 v2, v2, v13
	s_delay_alu instid0(VALU_DEP_4)
	v_dual_mul_f32 v10, 0x3fb8aa3b, v5 :: v_dual_sub_f32 v9, v9, v15
	v_fmac_f32_e32 v14, 0x32a5705f, v4
	v_fma_f32 v18, 0x3fb8aa3b, v8, -v11
	v_sub_f32_e32 v11, v11, v19
	v_fmac_f32_e32 v12, 0x32a5705f, v3
	v_fma_f32 v16, 0x3fb8aa3b, v5, -v10
	v_add_f32_e32 v9, v9, v14
	v_rndne_f32_e32 v17, v10
	s_delay_alu instid0(VALU_DEP_4) | instskip(SKIP_1) | instid1(VALU_DEP_4)
	v_add_f32_e32 v2, v2, v12
	v_cvt_i32_f32_e32 v12, v13
	v_exp_f32_e32 v9, v9
	v_cvt_i32_f32_e32 v13, v15
	v_cvt_i32_f32_e32 v15, v19
	v_exp_f32_e32 v2, v2
	v_cvt_i32_f32_e32 v14, v17
	s_delay_alu instid0(TRANS32_DEP_2) | instid1(VALU_DEP_3)
	v_ldexp_f32 v9, v9, v13
	v_fmac_f32_e32 v18, 0x32a5705f, v8
	v_fmac_f32_e32 v16, 0x32a5705f, v5
	s_delay_alu instid0(TRANS32_DEP_1) | instskip(NEXT) | instid1(VALU_DEP_3)
	v_ldexp_f32 v2, v2, v12
	v_add_f32_e32 v11, v11, v18
	s_wait_alu 0xfffd
	s_delay_alu instid0(VALU_DEP_2) | instskip(SKIP_1) | instid1(VALU_DEP_3)
	v_cndmask_b32_e32 v2, 0, v2, vcc_lo
	v_cmp_ngt_f32_e32 vcc_lo, 0xc2ce8ed0, v5
	v_exp_f32_e32 v11, v11
	s_delay_alu instid0(TRANS32_DEP_1) | instskip(SKIP_1) | instid1(VALU_DEP_1)
	v_ldexp_f32 v11, v11, v15
	v_sub_f32_e32 v10, v10, v17
	v_add_f32_e32 v10, v10, v16
	s_delay_alu instid0(VALU_DEP_1) | instskip(NEXT) | instid1(TRANS32_DEP_1)
	v_exp_f32_e32 v10, v10
	v_ldexp_f32 v10, v10, v14
	s_wait_alu 0xfffd
	s_delay_alu instid0(VALU_DEP_1)
	v_cndmask_b32_e32 v10, 0, v10, vcc_lo
	v_cmp_ngt_f32_e32 vcc_lo, 0xc2ce8ed0, v4
	s_wait_alu 0xfffd
	v_cndmask_b32_e32 v9, 0, v9, vcc_lo
	v_cmp_nlt_f32_e32 vcc_lo, 0x42b17218, v3
	s_wait_alu 0xfffd
	v_cndmask_b32_e32 v12, 0x7f800000, v2, vcc_lo
	v_cmp_nlt_f32_e32 vcc_lo, 0x42b17218, v5
	s_wait_alu 0xfffd
	v_cndmask_b32_e32 v5, 0x7f800000, v10, vcc_lo
	v_cmp_ngt_f32_e32 vcc_lo, 0xc2ce8ed0, v8
	v_cvt_f16_f32_e32 v10, v12
	s_wait_alu 0xfffd
	v_cndmask_b32_e32 v3, 0, v11, vcc_lo
	v_cmp_nlt_f32_e32 vcc_lo, 0x42b17218, v4
	v_cvt_f16_f32_e32 v4, v5
	s_wait_alu 0xfffd
	v_cndmask_b32_e32 v2, 0x7f800000, v9, vcc_lo
	v_cmp_nlt_f32_e32 vcc_lo, 0x42b17218, v8
	v_and_b32_e32 v8, 0xffff, v10
	v_and_b32_e32 v4, 0xffff, v4
	s_wait_alu 0xfffd
	v_cndmask_b32_e32 v3, 0x7f800000, v3, vcc_lo
	s_delay_alu instid0(VALU_DEP_2) | instskip(NEXT) | instid1(VALU_DEP_2)
	v_mul_u32_u24_e32 v4, 0x10001, v4
	v_fmac_f32_e32 v3, v1, v5
	v_mul_u32_u24_e32 v5, 0x10001, v8
	s_delay_alu instid0(VALU_DEP_3) | instskip(SKIP_1) | instid1(VALU_DEP_3)
	v_pk_mul_f16 v88, v88, v4
	v_pk_mul_f16 v35, v35, v4
	;; [unrolled: 1-line block ×4, first 2 shown]
	v_dual_mov_b32 v4, v6 :: v_dual_mov_b32 v5, v7
	v_fmac_f32_e32 v2, v0, v12
	s_delay_alu instid0(VALU_DEP_1)
	v_dual_mov_b32 v0, v2 :: v_dual_mov_b32 v1, v3
	s_mov_b32 s2, exec_lo
	v_cmpx_gt_i32_e64 s26, v171
	s_cbranch_execnz .LBB59_76
.LBB59_74:
	s_nop 0
	s_sendmsg sendmsg(MSG_DEALLOC_VGPRS)
	s_endpgm
.LBB59_75:
	s_delay_alu instid0(VALU_DEP_1)
	v_dual_mov_b32 v2, v0 :: v_dual_mov_b32 v3, v1
	s_mov_b32 s2, exec_lo
	v_cmpx_gt_i32_e64 s26, v171
	s_cbranch_execz .LBB59_74
.LBB59_76:
	s_load_b32 s1, s[0:1], 0xd4
	v_mov_b32_e32 v8, 1.0
	s_wait_kmcnt 0x0
	s_cmp_lg_u32 s1, 1
	s_cselect_b32 s4, -1, 0
	s_cmp_eq_u32 s1, 1
	s_cselect_b32 s2, -1, 0
	s_wait_alu 0xfffe
	s_and_b32 vcc_lo, exec_lo, s4
	s_wait_alu 0xfffe
	s_cbranch_vccnz .LBB59_78
; %bb.77:
	v_div_scale_f32 v6, null, v2, v2, 1.0
	s_delay_alu instid0(VALU_DEP_1) | instskip(NEXT) | instid1(TRANS32_DEP_1)
	v_rcp_f32_e32 v7, v6
	v_fma_f32 v8, -v6, v7, 1.0
	s_delay_alu instid0(VALU_DEP_1) | instskip(SKIP_1) | instid1(VALU_DEP_1)
	v_fmac_f32_e32 v7, v8, v7
	v_div_scale_f32 v8, vcc_lo, 1.0, v2, 1.0
	v_mul_f32_e32 v9, v8, v7
	s_delay_alu instid0(VALU_DEP_1) | instskip(NEXT) | instid1(VALU_DEP_1)
	v_fma_f32 v10, -v6, v9, v8
	v_fmac_f32_e32 v9, v10, v7
	s_delay_alu instid0(VALU_DEP_1) | instskip(SKIP_1) | instid1(VALU_DEP_1)
	v_fma_f32 v6, -v6, v9, v8
	s_wait_alu 0xfffd
	v_div_fmas_f32 v6, v6, v7, v9
	s_delay_alu instid0(VALU_DEP_1)
	v_div_fixup_f32 v8, v6, v2, 1.0
.LBB59_78:
	s_mul_i32 s3, s30, s26
	v_cvt_f32_f16_e32 v11, v89
	s_wait_alu 0xfffe
	s_add_co_i32 s3, s3, s33
	v_cvt_f32_f16_e32 v12, v38
	s_wait_alu 0xfffe
	v_add_nc_u32_e32 v2, s3, v169
	v_mov_b32_e32 v10, 0
	v_cmp_eq_u32_e32 vcc_lo, 0, v135
	s_delay_alu instid0(VALU_DEP_3) | instskip(SKIP_1) | instid1(VALU_DEP_1)
	v_mad_co_u64_u32 v[6:7], null, v2, s27, s[28:29]
	v_lshrrev_b32_e32 v2, 16, v89
	v_cvt_f32_f16_e32 v2, v2
	s_delay_alu instid0(VALU_DEP_3) | instskip(SKIP_1) | instid1(VALU_DEP_1)
	v_mad_co_u64_u32 v[6:7], null, s1, v6, s[18:19]
	v_lshrrev_b32_e32 v7, 16, v38
	v_cvt_f32_f16_e32 v7, v7
	s_delay_alu instid0(VALU_DEP_3) | instskip(NEXT) | instid1(VALU_DEP_1)
	v_lshl_add_u32 v9, v6, 7, v20
	v_lshlrev_b64_e32 v[13:14], 2, v[9:10]
	v_mul_f32_e32 v9, v8, v11
	v_mul_f32_e32 v11, v8, v12
	;; [unrolled: 1-line block ×4, first 2 shown]
	v_add_co_u32 v7, s0, s20, v13
	s_wait_alu 0xf1ff
	v_add_co_ci_u32_e64 v8, null, s21, v14, s0
	s_and_b32 s0, vcc_lo, s4
	global_store_b128 v[7:8], v[9:12], off
	s_wait_alu 0xfffe
	s_and_saveexec_b32 s4, s0
	s_cbranch_execz .LBB59_80
; %bb.79:
	v_ashrrev_i32_e32 v7, 31, v6
	v_dual_mov_b32 v8, v4 :: v_dual_mov_b32 v9, v0
	s_delay_alu instid0(VALU_DEP_2) | instskip(NEXT) | instid1(VALU_DEP_1)
	v_lshlrev_b64_e32 v[6:7], 3, v[6:7]
	v_add_co_u32 v6, vcc_lo, s22, v6
	s_wait_alu 0xfffd
	s_delay_alu instid0(VALU_DEP_2)
	v_add_co_ci_u32_e64 v7, null, s23, v7, vcc_lo
	global_store_b64 v[6:7], v[8:9], off
.LBB59_80:
	s_wait_alu 0xfffe
	s_or_b32 exec_lo, exec_lo, s4
	v_cmp_gt_i32_e32 vcc_lo, s26, v168
	s_and_b32 exec_lo, exec_lo, vcc_lo
	s_cbranch_execz .LBB59_74
; %bb.81:
	v_mov_b32_e32 v0, 1.0
	s_and_not1_b32 vcc_lo, exec_lo, s2
	s_wait_alu 0xfffe
	s_cbranch_vccnz .LBB59_83
; %bb.82:
	v_div_scale_f32 v0, null, v3, v3, 1.0
	s_delay_alu instid0(VALU_DEP_1) | instskip(NEXT) | instid1(TRANS32_DEP_1)
	v_rcp_f32_e32 v2, v0
	v_fma_f32 v4, -v0, v2, 1.0
	s_delay_alu instid0(VALU_DEP_1) | instskip(SKIP_1) | instid1(VALU_DEP_1)
	v_fmac_f32_e32 v2, v4, v2
	v_div_scale_f32 v4, vcc_lo, 1.0, v3, 1.0
	v_mul_f32_e32 v6, v4, v2
	s_delay_alu instid0(VALU_DEP_1) | instskip(NEXT) | instid1(VALU_DEP_1)
	v_fma_f32 v7, -v0, v6, v4
	v_fmac_f32_e32 v6, v7, v2
	s_delay_alu instid0(VALU_DEP_1) | instskip(SKIP_1) | instid1(VALU_DEP_1)
	v_fma_f32 v0, -v0, v6, v4
	s_wait_alu 0xfffd
	v_div_fmas_f32 v0, v0, v2, v6
	s_delay_alu instid0(VALU_DEP_1)
	v_div_fixup_f32 v0, v0, v3, 1.0
.LBB59_83:
	v_lshrrev_b32_e32 v6, 16, v88
	v_lshrrev_b32_e32 v7, 16, v35
	v_cvt_f32_f16_e32 v8, v88
	v_cvt_f32_f16_e32 v9, v35
	s_delay_alu instid0(VALU_DEP_4)
	v_cvt_f32_f16_e32 v10, v6
	v_add_nc_u32_e32 v2, s3, v167
	v_cvt_f32_f16_e32 v11, v7
	v_mov_b32_e32 v4, 0
	v_mul_f32_e32 v6, v0, v8
	v_mul_f32_e32 v7, v0, v10
	v_mad_co_u64_u32 v[2:3], null, v2, s27, s[28:29]
	v_mul_f32_e32 v8, v0, v9
	v_mul_f32_e32 v9, v0, v11
	s_delay_alu instid0(VALU_DEP_3) | instskip(NEXT) | instid1(VALU_DEP_1)
	v_mad_co_u64_u32 v[2:3], null, s1, v2, s[18:19]
	v_lshl_add_u32 v3, v2, 7, v20
	s_delay_alu instid0(VALU_DEP_1) | instskip(NEXT) | instid1(VALU_DEP_1)
	v_lshlrev_b64_e32 v[3:4], 2, v[3:4]
	v_add_co_u32 v3, vcc_lo, s20, v3
	s_wait_alu 0xfffd
	s_delay_alu instid0(VALU_DEP_2)
	v_add_co_ci_u32_e64 v4, null, s21, v4, vcc_lo
	global_store_b128 v[3:4], v[6:9], off
	s_and_b32 exec_lo, exec_lo, s0
	s_cbranch_execz .LBB59_74
; %bb.84:
	v_ashrrev_i32_e32 v3, 31, v2
	v_mov_b32_e32 v0, v5
	s_delay_alu instid0(VALU_DEP_2) | instskip(NEXT) | instid1(VALU_DEP_1)
	v_lshlrev_b64_e32 v[2:3], 3, v[2:3]
	v_add_co_u32 v2, vcc_lo, s22, v2
	s_wait_alu 0xfffd
	s_delay_alu instid0(VALU_DEP_2)
	v_add_co_ci_u32_e64 v3, null, s23, v3, vcc_lo
	global_store_b64 v[2:3], v[0:1], off
	s_nop 0
	s_sendmsg sendmsg(MSG_DEALLOC_VGPRS)
	s_endpgm
	.section	.rodata,"a",@progbits
	.p2align	6, 0x0
	.amdhsa_kernel _ZL15flash_attn_tileILi128ELi128ELi16ELi1ELb0EEvPKcS1_S1_S1_S1_PKiPfP15HIP_vector_typeIfLj2EEffffjfiS5_IjLj3EEiiiiiiiiiiiliiliiiiil
		.amdhsa_group_segment_fixed_size 43008
		.amdhsa_private_segment_fixed_size 144
		.amdhsa_kernarg_size 464
		.amdhsa_user_sgpr_count 2
		.amdhsa_user_sgpr_dispatch_ptr 0
		.amdhsa_user_sgpr_queue_ptr 0
		.amdhsa_user_sgpr_kernarg_segment_ptr 1
		.amdhsa_user_sgpr_dispatch_id 0
		.amdhsa_user_sgpr_private_segment_size 0
		.amdhsa_wavefront_size32 1
		.amdhsa_uses_dynamic_stack 0
		.amdhsa_enable_private_segment 1
		.amdhsa_system_sgpr_workgroup_id_x 1
		.amdhsa_system_sgpr_workgroup_id_y 1
		.amdhsa_system_sgpr_workgroup_id_z 1
		.amdhsa_system_sgpr_workgroup_info 0
		.amdhsa_system_vgpr_workitem_id 1
		.amdhsa_next_free_vgpr 256
		.amdhsa_next_free_sgpr 47
		.amdhsa_reserve_vcc 1
		.amdhsa_float_round_mode_32 0
		.amdhsa_float_round_mode_16_64 0
		.amdhsa_float_denorm_mode_32 3
		.amdhsa_float_denorm_mode_16_64 3
		.amdhsa_fp16_overflow 0
		.amdhsa_workgroup_processor_mode 1
		.amdhsa_memory_ordered 1
		.amdhsa_forward_progress 1
		.amdhsa_inst_pref_size 255
		.amdhsa_round_robin_scheduling 0
		.amdhsa_exception_fp_ieee_invalid_op 0
		.amdhsa_exception_fp_denorm_src 0
		.amdhsa_exception_fp_ieee_div_zero 0
		.amdhsa_exception_fp_ieee_overflow 0
		.amdhsa_exception_fp_ieee_underflow 0
		.amdhsa_exception_fp_ieee_inexact 0
		.amdhsa_exception_int_div_zero 0
	.end_amdhsa_kernel
	.section	.text._ZL15flash_attn_tileILi128ELi128ELi16ELi1ELb0EEvPKcS1_S1_S1_S1_PKiPfP15HIP_vector_typeIfLj2EEffffjfiS5_IjLj3EEiiiiiiiiiiiliiliiiiil,"axG",@progbits,_ZL15flash_attn_tileILi128ELi128ELi16ELi1ELb0EEvPKcS1_S1_S1_S1_PKiPfP15HIP_vector_typeIfLj2EEffffjfiS5_IjLj3EEiiiiiiiiiiiliiliiiiil,comdat
.Lfunc_end59:
	.size	_ZL15flash_attn_tileILi128ELi128ELi16ELi1ELb0EEvPKcS1_S1_S1_S1_PKiPfP15HIP_vector_typeIfLj2EEffffjfiS5_IjLj3EEiiiiiiiiiiiliiliiiiil, .Lfunc_end59-_ZL15flash_attn_tileILi128ELi128ELi16ELi1ELb0EEvPKcS1_S1_S1_S1_PKiPfP15HIP_vector_typeIfLj2EEffffjfiS5_IjLj3EEiiiiiiiiiiiliiliiiiil
                                        ; -- End function
	.set _ZL15flash_attn_tileILi128ELi128ELi16ELi1ELb0EEvPKcS1_S1_S1_S1_PKiPfP15HIP_vector_typeIfLj2EEffffjfiS5_IjLj3EEiiiiiiiiiiiliiliiiiil.num_vgpr, 256
	.set _ZL15flash_attn_tileILi128ELi128ELi16ELi1ELb0EEvPKcS1_S1_S1_S1_PKiPfP15HIP_vector_typeIfLj2EEffffjfiS5_IjLj3EEiiiiiiiiiiiliiliiiiil.num_agpr, 0
	.set _ZL15flash_attn_tileILi128ELi128ELi16ELi1ELb0EEvPKcS1_S1_S1_S1_PKiPfP15HIP_vector_typeIfLj2EEffffjfiS5_IjLj3EEiiiiiiiiiiiliiliiiiil.numbered_sgpr, 47
	.set _ZL15flash_attn_tileILi128ELi128ELi16ELi1ELb0EEvPKcS1_S1_S1_S1_PKiPfP15HIP_vector_typeIfLj2EEffffjfiS5_IjLj3EEiiiiiiiiiiiliiliiiiil.num_named_barrier, 0
	.set _ZL15flash_attn_tileILi128ELi128ELi16ELi1ELb0EEvPKcS1_S1_S1_S1_PKiPfP15HIP_vector_typeIfLj2EEffffjfiS5_IjLj3EEiiiiiiiiiiiliiliiiiil.private_seg_size, 144
	.set _ZL15flash_attn_tileILi128ELi128ELi16ELi1ELb0EEvPKcS1_S1_S1_S1_PKiPfP15HIP_vector_typeIfLj2EEffffjfiS5_IjLj3EEiiiiiiiiiiiliiliiiiil.uses_vcc, 1
	.set _ZL15flash_attn_tileILi128ELi128ELi16ELi1ELb0EEvPKcS1_S1_S1_S1_PKiPfP15HIP_vector_typeIfLj2EEffffjfiS5_IjLj3EEiiiiiiiiiiiliiliiiiil.uses_flat_scratch, 1
	.set _ZL15flash_attn_tileILi128ELi128ELi16ELi1ELb0EEvPKcS1_S1_S1_S1_PKiPfP15HIP_vector_typeIfLj2EEffffjfiS5_IjLj3EEiiiiiiiiiiiliiliiiiil.has_dyn_sized_stack, 0
	.set _ZL15flash_attn_tileILi128ELi128ELi16ELi1ELb0EEvPKcS1_S1_S1_S1_PKiPfP15HIP_vector_typeIfLj2EEffffjfiS5_IjLj3EEiiiiiiiiiiiliiliiiiil.has_recursion, 0
	.set _ZL15flash_attn_tileILi128ELi128ELi16ELi1ELb0EEvPKcS1_S1_S1_S1_PKiPfP15HIP_vector_typeIfLj2EEffffjfiS5_IjLj3EEiiiiiiiiiiiliiliiiiil.has_indirect_call, 0
	.section	.AMDGPU.csdata,"",@progbits
; Kernel info:
; codeLenInByte = 35024
; TotalNumSgprs: 49
; NumVgprs: 256
; ScratchSize: 144
; MemoryBound: 0
; FloatMode: 240
; IeeeMode: 1
; LDSByteSize: 43008 bytes/workgroup (compile time only)
; SGPRBlocks: 0
; VGPRBlocks: 31
; NumSGPRsForWavesPerEU: 49
; NumVGPRsForWavesPerEU: 256
; Occupancy: 5
; WaveLimiterHint : 1
; COMPUTE_PGM_RSRC2:SCRATCH_EN: 1
; COMPUTE_PGM_RSRC2:USER_SGPR: 2
; COMPUTE_PGM_RSRC2:TRAP_HANDLER: 0
; COMPUTE_PGM_RSRC2:TGID_X_EN: 1
; COMPUTE_PGM_RSRC2:TGID_Y_EN: 1
; COMPUTE_PGM_RSRC2:TGID_Z_EN: 1
; COMPUTE_PGM_RSRC2:TIDIG_COMP_CNT: 1
	.section	.text._ZL33flash_attn_stream_k_fixup_uniformILi128ELi16ELi1EEvPfPK15HIP_vector_typeIfLj2EEiiiiiiS1_IjLj3EES5_S5_,"axG",@progbits,_ZL33flash_attn_stream_k_fixup_uniformILi128ELi16ELi1EEvPfPK15HIP_vector_typeIfLj2EEiiiiiiS1_IjLj3EES5_S5_,comdat
	.globl	_ZL33flash_attn_stream_k_fixup_uniformILi128ELi16ELi1EEvPfPK15HIP_vector_typeIfLj2EEiiiiiiS1_IjLj3EES5_S5_ ; -- Begin function _ZL33flash_attn_stream_k_fixup_uniformILi128ELi16ELi1EEvPfPK15HIP_vector_typeIfLj2EEiiiiiiS1_IjLj3EES5_S5_
	.p2align	8
	.type	_ZL33flash_attn_stream_k_fixup_uniformILi128ELi16ELi1EEvPfPK15HIP_vector_typeIfLj2EEiiiiiiS1_IjLj3EES5_S5_,@function
_ZL33flash_attn_stream_k_fixup_uniformILi128ELi16ELi1EEvPfPK15HIP_vector_typeIfLj2EEiiiiiiS1_IjLj3EES5_S5_: ; @_ZL33flash_attn_stream_k_fixup_uniformILi128ELi16ELi1EEvPfPK15HIP_vector_typeIfLj2EEiiiiiiS1_IjLj3EES5_S5_
; %bb.0:
	s_clause 0x1
	s_load_b256 s[4:11], s[0:1], 0x1c
	s_load_b128 s[12:15], s[0:1], 0x3c
	s_wait_kmcnt 0x0
	s_mul_hi_u32 s2, s7, ttmp9
	s_delay_alu instid0(SALU_CYCLE_1) | instskip(NEXT) | instid1(SALU_CYCLE_1)
	s_add_co_i32 s2, ttmp9, s2
	s_lshr_b32 s2, s2, s8
	s_delay_alu instid0(SALU_CYCLE_1) | instskip(SKIP_2) | instid1(SALU_CYCLE_1)
	s_mul_i32 s3, s2, s9
	s_load_b64 s[8:9], s[0:1], 0x10
	s_sub_co_i32 s7, ttmp9, s3
	s_mul_hi_u32 s3, s7, s10
	s_delay_alu instid0(SALU_CYCLE_1) | instskip(NEXT) | instid1(SALU_CYCLE_1)
	s_add_co_i32 s3, s7, s3
	s_lshr_b32 s3, s3, s11
	s_delay_alu instid0(SALU_CYCLE_1) | instskip(NEXT) | instid1(SALU_CYCLE_1)
	s_mul_i32 s10, s3, s12
	s_sub_co_i32 s7, s7, s10
	s_delay_alu instid0(SALU_CYCLE_1) | instskip(NEXT) | instid1(SALU_CYCLE_1)
	s_mul_hi_u32 s10, s7, s13
	s_add_co_i32 s10, s7, s10
	s_delay_alu instid0(SALU_CYCLE_1) | instskip(NEXT) | instid1(SALU_CYCLE_1)
	s_lshr_b32 s11, s10, s14
	s_mul_i32 s10, s11, s15
	s_delay_alu instid0(SALU_CYCLE_1) | instskip(SKIP_2) | instid1(SALU_CYCLE_1)
	s_sub_co_i32 s12, s7, s10
	s_and_b32 s7, ttmp7, 0xffff
	s_lshl_b32 s10, s12, 4
	s_add_co_i32 s13, s10, s7
	s_lshr_b32 s10, ttmp7, 16
	s_wait_kmcnt 0x0
	s_cmp_lt_i32 s13, s8
	s_cselect_b32 s13, -1, 0
	s_add_co_i32 s14, s11, s10
	s_delay_alu instid0(SALU_CYCLE_1) | instskip(SKIP_1) | instid1(SALU_CYCLE_1)
	s_cmp_lt_i32 s14, s5
	s_cselect_b32 s14, -1, 0
	s_and_b32 s13, s13, s14
	s_delay_alu instid0(SALU_CYCLE_1)
	s_and_not1_b32 vcc_lo, exec_lo, s13
	s_cbranch_vccnz .LBB60_6
; %bb.1:
	s_mul_i32 s2, s2, s8
	s_mul_i32 s5, s3, s5
	s_add_co_i32 s2, s2, s7
	s_delay_alu instid0(SALU_CYCLE_1) | instskip(NEXT) | instid1(SALU_CYCLE_1)
	s_mul_i32 s2, s2, s9
	s_add_co_i32 s8, s2, s10
	s_load_b128 s[0:3], s[0:1], 0x0
	s_add_co_i32 s5, s8, s5
	s_mul_i32 s8, s9, s12
	s_add_co_i32 s5, s5, s11
	s_lshl_b32 s8, s8, 11
	s_lshl_b32 s5, s5, 7
	s_add_co_i32 s9, s7, s10
	s_add_co_i32 s8, s8, s5
	s_delay_alu instid0(SALU_CYCLE_1) | instskip(SKIP_3) | instid1(SALU_CYCLE_1)
	v_or_b32_e32 v1, s8, v0
	s_mul_i32 s8, s6, ttmp9
	s_wait_alu 0xfffe
	s_add_co_i32 s5, s8, s6
	s_add_co_i32 s7, s5, -2
	v_ashrrev_i32_e32 v2, 31, v1
	s_delay_alu instid0(VALU_DEP_1) | instskip(SKIP_1) | instid1(VALU_DEP_1)
	v_lshlrev_b64_e32 v[1:2], 2, v[1:2]
	s_wait_kmcnt 0x0
	v_add_co_u32 v1, vcc_lo, s0, v1
	s_delay_alu instid0(VALU_DEP_1)
	v_add_co_ci_u32_e64 v2, null, s1, v2, vcc_lo
	s_lshl_b32 s0, s5, 4
	s_wait_alu 0xfffe
	s_add_co_i32 s0, s9, s0
	global_load_b32 v5, v[1:2], off
	s_wait_alu 0xfffe
	s_add_co_i32 s0, s0, -16
	s_wait_alu 0xfffe
	s_ashr_i32 s1, s0, 31
	s_wait_alu 0xfffe
	s_lshl_b64 s[0:1], s[0:1], 3
	s_cmp_lt_i32 s7, s8
	s_wait_alu 0xfffe
	s_add_nc_u64 s[0:1], s[2:3], s[0:1]
	s_load_b32 s10, s[0:1], 0x4
	s_cbranch_scc1 .LBB60_4
; %bb.2:
	s_load_b32 s0, s[0:1], 0x0
	s_add_co_i32 s7, ttmp9, 1
	s_wait_kmcnt 0x0
	v_mov_b32_e32 v6, s10
	s_mul_i32 s1, s6, s7
	s_lshl_b32 s7, s9, 7
	s_wait_alu 0xfffe
	s_lshl_b32 s11, s1, 11
	s_lshl_b32 s6, s4, 6
	s_wait_alu 0xfffe
	s_add_co_i32 s11, s7, s11
	s_lshl_b32 s1, s1, 4
	s_wait_alu 0xfffe
	v_or_b32_e32 v0, s11, v0
	s_ashr_i32 s7, s6, 31
	s_add_co_i32 s1, s9, s1
	s_lshl_b32 s4, s4, 4
	s_lshl_b64 s[6:7], s[6:7], 2
	v_add_nc_u32_e32 v3, 0xfffff000, v0
	s_wait_alu 0xfffe
	s_add_co_i32 s4, s1, s4
	s_add_nc_u64 s[6:7], s[2:3], s[6:7]
	s_add_co_i32 s1, s5, -1
	s_sub_co_i32 s4, s4, 32
.LBB60_3:                               ; =>This Inner Loop Header: Depth=1
	v_ashrrev_i32_e32 v4, 31, v3
	s_ashr_i32 s5, s4, 31
	v_mov_b32_e32 v10, v6
	s_lshl_b64 s[10:11], s[4:5], 3
	s_wait_loadcnt 0x0
	v_mov_b32_e32 v9, v5
	v_lshlrev_b64_e32 v[7:8], 2, v[3:4]
	s_wait_alu 0xfffe
	s_add_nc_u64 s[10:11], s[2:3], s[10:11]
	v_max_num_f32_e64 v4, s0, s0
	s_load_b64 s[10:11], s[10:11], 0x0
	v_add_nc_u32_e32 v3, 0xfffff800, v3
	v_add_co_u32 v7, vcc_lo, s6, v7
	s_wait_alu 0xfffd
	v_add_co_ci_u32_e64 v8, null, s7, v8, vcc_lo
	v_readfirstlane_b32 s5, v4
	global_load_b32 v0, v[7:8], off
	s_wait_kmcnt 0x0
	v_max_num_f32_e64 v4, s10, s10
	s_delay_alu instid0(VALU_DEP_1) | instskip(SKIP_1) | instid1(SALU_CYCLE_3)
	v_readfirstlane_b32 s9, v4
	s_max_num_f32 s5, s5, s9
	s_sub_f32 s0, s0, s5
	s_sub_f32 s9, s10, s5
	s_wait_alu 0xfffe
	s_delay_alu instid0(SALU_CYCLE_1) | instskip(NEXT) | instid1(SALU_CYCLE_1)
	s_mul_f32 s10, s0, 0x3fb8aa3b
	s_mul_f32 s12, s9, 0x3fb8aa3b
	s_wait_alu 0xfffe
	s_delay_alu instid0(SALU_CYCLE_1)
	s_xor_b32 s13, s10, 0x80000000
	s_rndne_f32 s14, s10
	s_fmamk_f32 s13, s0, 0x3fb8aa3b, s13
	s_cmp_nlt_f32 s0, 0xc2ce8ed0
	s_rndne_f32 s15, s12
	s_wait_alu 0xfffe
	s_sub_f32 s10, s10, s14
	s_fmamk_f32 s13, s0, 0x32a5705f, s13
	s_cvt_i32_f32 s14, s14
	s_cselect_b32 vcc_lo, -1, 0
	s_cmp_ngt_f32 s0, 0x42b17218
	s_wait_alu 0xfffe
	s_add_f32 s10, s10, s13
	s_sub_f32 s13, s12, s15
	s_wait_alu 0xfffe
	s_delay_alu instid0(SALU_CYCLE_1) | instskip(SKIP_1) | instid1(TRANS32_DEP_1)
	v_s_exp_f32 s10, s10
	s_wait_alu 0xf1ff
	v_ldexp_f32 v4, s10, s14
	s_cvt_i32_f32 s10, s15
	s_delay_alu instid0(VALU_DEP_1) | instskip(SKIP_3) | instid1(VALU_DEP_1)
	v_cndmask_b32_e32 v4, 0, v4, vcc_lo
	s_cselect_b32 vcc_lo, -1, 0
	s_cmp_ge_f32 s0, 0xc1a00000
	s_wait_alu 0xfffe
	v_cndmask_b32_e32 v4, 0x7f800000, v4, vcc_lo
	s_cselect_b32 vcc_lo, -1, 0
	s_xor_b32 s0, s12, 0x80000000
	s_cmp_nlt_f32 s9, 0xc2ce8ed0
	s_wait_alu 0xfffe
	s_fmamk_f32 s0, s9, 0x3fb8aa3b, s0
	s_wait_alu 0xfffe
	s_delay_alu instid0(SALU_CYCLE_2) | instskip(SKIP_1) | instid1(SALU_CYCLE_2)
	s_fmamk_f32 s0, s9, 0x32a5705f, s0
	s_wait_alu 0xfffe
	s_add_f32 s0, s13, s0
	s_wait_alu 0xfffe
	s_delay_alu instid0(SALU_CYCLE_2) | instskip(SKIP_1) | instid1(TRANS32_DEP_1)
	v_s_exp_f32 s0, s0
	s_wait_alu 0xf1ff
	v_ldexp_f32 v7, s0, s10
	s_cselect_b32 s0, -1, 0
	s_cmp_ngt_f32 s9, 0x42b17218
	s_wait_alu 0xfffe
	s_delay_alu instid0(VALU_DEP_1) | instskip(SKIP_3) | instid1(VALU_DEP_1)
	v_cndmask_b32_e64 v7, 0, v7, s0
	s_cselect_b32 s0, -1, 0
	s_cmp_ge_f32 s9, 0xc1a00000
	s_wait_alu 0xfffe
	v_cndmask_b32_e64 v7, 0x7f800000, v7, s0
	s_cselect_b32 s0, -1, 0
	s_add_co_i32 s1, s1, -1
	s_add_co_i32 s4, s4, -16
	s_wait_alu 0xfffe
	s_cmp_le_i32 s1, s8
	v_cndmask_b32_e64 v7, 0, v7, s0
	s_mov_b32 s0, s5
	s_wait_loadcnt 0x0
	s_delay_alu instid0(VALU_DEP_1) | instskip(NEXT) | instid1(VALU_DEP_1)
	v_dual_mul_f32 v5, v0, v7 :: v_dual_cndmask_b32 v4, 0, v4
	v_dual_mul_f32 v8, s11, v7 :: v_dual_fmac_f32 v5, v9, v4
	s_delay_alu instid0(VALU_DEP_1) | instskip(NEXT) | instid1(VALU_DEP_1)
	v_mov_b32_e32 v6, v8
	v_fmac_f32_e32 v6, v10, v4
	s_cbranch_scc0 .LBB60_3
	s_branch .LBB60_5
.LBB60_4:
	s_wait_kmcnt 0x0
	v_mov_b32_e32 v6, s10
.LBB60_5:
	s_wait_loadcnt 0x0
	s_delay_alu instid0(VALU_DEP_1) | instskip(NEXT) | instid1(VALU_DEP_1)
	v_div_scale_f32 v0, null, v6, v6, v5
	v_rcp_f32_e32 v3, v0
	s_delay_alu instid0(TRANS32_DEP_1) | instskip(NEXT) | instid1(VALU_DEP_1)
	v_fma_f32 v4, -v0, v3, 1.0
	v_fmac_f32_e32 v3, v4, v3
	v_div_scale_f32 v4, vcc_lo, v5, v6, v5
	s_delay_alu instid0(VALU_DEP_1) | instskip(NEXT) | instid1(VALU_DEP_1)
	v_mul_f32_e32 v7, v4, v3
	v_fma_f32 v8, -v0, v7, v4
	s_delay_alu instid0(VALU_DEP_1) | instskip(NEXT) | instid1(VALU_DEP_1)
	v_fmac_f32_e32 v7, v8, v3
	v_fma_f32 v0, -v0, v7, v4
	s_wait_alu 0xfffd
	s_delay_alu instid0(VALU_DEP_1) | instskip(NEXT) | instid1(VALU_DEP_1)
	v_div_fmas_f32 v0, v0, v3, v7
	v_div_fixup_f32 v0, v0, v6, v5
	global_store_b32 v[1:2], v0, off
.LBB60_6:
	s_endpgm
	.section	.rodata,"a",@progbits
	.p2align	6, 0x0
	.amdhsa_kernel _ZL33flash_attn_stream_k_fixup_uniformILi128ELi16ELi1EEvPfPK15HIP_vector_typeIfLj2EEiiiiiiS1_IjLj3EES5_S5_
		.amdhsa_group_segment_fixed_size 0
		.amdhsa_private_segment_fixed_size 0
		.amdhsa_kernarg_size 76
		.amdhsa_user_sgpr_count 2
		.amdhsa_user_sgpr_dispatch_ptr 0
		.amdhsa_user_sgpr_queue_ptr 0
		.amdhsa_user_sgpr_kernarg_segment_ptr 1
		.amdhsa_user_sgpr_dispatch_id 0
		.amdhsa_user_sgpr_private_segment_size 0
		.amdhsa_wavefront_size32 1
		.amdhsa_uses_dynamic_stack 0
		.amdhsa_enable_private_segment 0
		.amdhsa_system_sgpr_workgroup_id_x 1
		.amdhsa_system_sgpr_workgroup_id_y 1
		.amdhsa_system_sgpr_workgroup_id_z 1
		.amdhsa_system_sgpr_workgroup_info 0
		.amdhsa_system_vgpr_workitem_id 0
		.amdhsa_next_free_vgpr 11
		.amdhsa_next_free_sgpr 16
		.amdhsa_reserve_vcc 1
		.amdhsa_float_round_mode_32 0
		.amdhsa_float_round_mode_16_64 0
		.amdhsa_float_denorm_mode_32 3
		.amdhsa_float_denorm_mode_16_64 3
		.amdhsa_fp16_overflow 0
		.amdhsa_workgroup_processor_mode 1
		.amdhsa_memory_ordered 1
		.amdhsa_forward_progress 1
		.amdhsa_inst_pref_size 9
		.amdhsa_round_robin_scheduling 0
		.amdhsa_exception_fp_ieee_invalid_op 0
		.amdhsa_exception_fp_denorm_src 0
		.amdhsa_exception_fp_ieee_div_zero 0
		.amdhsa_exception_fp_ieee_overflow 0
		.amdhsa_exception_fp_ieee_underflow 0
		.amdhsa_exception_fp_ieee_inexact 0
		.amdhsa_exception_int_div_zero 0
	.end_amdhsa_kernel
	.section	.text._ZL33flash_attn_stream_k_fixup_uniformILi128ELi16ELi1EEvPfPK15HIP_vector_typeIfLj2EEiiiiiiS1_IjLj3EES5_S5_,"axG",@progbits,_ZL33flash_attn_stream_k_fixup_uniformILi128ELi16ELi1EEvPfPK15HIP_vector_typeIfLj2EEiiiiiiS1_IjLj3EES5_S5_,comdat
.Lfunc_end60:
	.size	_ZL33flash_attn_stream_k_fixup_uniformILi128ELi16ELi1EEvPfPK15HIP_vector_typeIfLj2EEiiiiiiS1_IjLj3EES5_S5_, .Lfunc_end60-_ZL33flash_attn_stream_k_fixup_uniformILi128ELi16ELi1EEvPfPK15HIP_vector_typeIfLj2EEiiiiiiS1_IjLj3EES5_S5_
                                        ; -- End function
	.set _ZL33flash_attn_stream_k_fixup_uniformILi128ELi16ELi1EEvPfPK15HIP_vector_typeIfLj2EEiiiiiiS1_IjLj3EES5_S5_.num_vgpr, 11
	.set _ZL33flash_attn_stream_k_fixup_uniformILi128ELi16ELi1EEvPfPK15HIP_vector_typeIfLj2EEiiiiiiS1_IjLj3EES5_S5_.num_agpr, 0
	.set _ZL33flash_attn_stream_k_fixup_uniformILi128ELi16ELi1EEvPfPK15HIP_vector_typeIfLj2EEiiiiiiS1_IjLj3EES5_S5_.numbered_sgpr, 16
	.set _ZL33flash_attn_stream_k_fixup_uniformILi128ELi16ELi1EEvPfPK15HIP_vector_typeIfLj2EEiiiiiiS1_IjLj3EES5_S5_.num_named_barrier, 0
	.set _ZL33flash_attn_stream_k_fixup_uniformILi128ELi16ELi1EEvPfPK15HIP_vector_typeIfLj2EEiiiiiiS1_IjLj3EES5_S5_.private_seg_size, 0
	.set _ZL33flash_attn_stream_k_fixup_uniformILi128ELi16ELi1EEvPfPK15HIP_vector_typeIfLj2EEiiiiiiS1_IjLj3EES5_S5_.uses_vcc, 1
	.set _ZL33flash_attn_stream_k_fixup_uniformILi128ELi16ELi1EEvPfPK15HIP_vector_typeIfLj2EEiiiiiiS1_IjLj3EES5_S5_.uses_flat_scratch, 0
	.set _ZL33flash_attn_stream_k_fixup_uniformILi128ELi16ELi1EEvPfPK15HIP_vector_typeIfLj2EEiiiiiiS1_IjLj3EES5_S5_.has_dyn_sized_stack, 0
	.set _ZL33flash_attn_stream_k_fixup_uniformILi128ELi16ELi1EEvPfPK15HIP_vector_typeIfLj2EEiiiiiiS1_IjLj3EES5_S5_.has_recursion, 0
	.set _ZL33flash_attn_stream_k_fixup_uniformILi128ELi16ELi1EEvPfPK15HIP_vector_typeIfLj2EEiiiiiiS1_IjLj3EES5_S5_.has_indirect_call, 0
	.section	.AMDGPU.csdata,"",@progbits
; Kernel info:
; codeLenInByte = 1120
; TotalNumSgprs: 18
; NumVgprs: 11
; ScratchSize: 0
; MemoryBound: 0
; FloatMode: 240
; IeeeMode: 1
; LDSByteSize: 0 bytes/workgroup (compile time only)
; SGPRBlocks: 0
; VGPRBlocks: 1
; NumSGPRsForWavesPerEU: 18
; NumVGPRsForWavesPerEU: 11
; Occupancy: 16
; WaveLimiterHint : 0
; COMPUTE_PGM_RSRC2:SCRATCH_EN: 0
; COMPUTE_PGM_RSRC2:USER_SGPR: 2
; COMPUTE_PGM_RSRC2:TRAP_HANDLER: 0
; COMPUTE_PGM_RSRC2:TGID_X_EN: 1
; COMPUTE_PGM_RSRC2:TGID_Y_EN: 1
; COMPUTE_PGM_RSRC2:TGID_Z_EN: 1
; COMPUTE_PGM_RSRC2:TIDIG_COMP_CNT: 0
	.section	.text._ZL33flash_attn_stream_k_fixup_generalILi128ELi16ELi1EEvPfPK15HIP_vector_typeIfLj2EEiiiiS1_IjLj3EES5_S5_S5_,"axG",@progbits,_ZL33flash_attn_stream_k_fixup_generalILi128ELi16ELi1EEvPfPK15HIP_vector_typeIfLj2EEiiiiS1_IjLj3EES5_S5_S5_,comdat
	.globl	_ZL33flash_attn_stream_k_fixup_generalILi128ELi16ELi1EEvPfPK15HIP_vector_typeIfLj2EEiiiiS1_IjLj3EES5_S5_S5_ ; -- Begin function _ZL33flash_attn_stream_k_fixup_generalILi128ELi16ELi1EEvPfPK15HIP_vector_typeIfLj2EEiiiiS1_IjLj3EES5_S5_S5_
	.p2align	8
	.type	_ZL33flash_attn_stream_k_fixup_generalILi128ELi16ELi1EEvPfPK15HIP_vector_typeIfLj2EEiiiiS1_IjLj3EES5_S5_S5_,@function
_ZL33flash_attn_stream_k_fixup_generalILi128ELi16ELi1EEvPfPK15HIP_vector_typeIfLj2EEiiiiS1_IjLj3EES5_S5_S5_: ; @_ZL33flash_attn_stream_k_fixup_generalILi128ELi16ELi1EEvPfPK15HIP_vector_typeIfLj2EEiiiiS1_IjLj3EES5_S5_S5_
; %bb.0:
	s_clause 0x1
	s_load_b128 s[4:7], s[0:1], 0x10
	s_load_b32 s16, s[0:1], 0x50
	s_mov_b32 s2, ttmp9
	s_ashr_i32 s3, ttmp9, 31
	s_mov_b32 s17, 0
	s_delay_alu instid0(SALU_CYCLE_1) | instskip(SKIP_3) | instid1(SALU_CYCLE_1)
	s_mov_b32 s8, s17
	s_wait_kmcnt 0x0
	s_ashr_i32 s19, s7, 31
	s_mov_b32 s18, s7
	s_mul_u64 s[2:3], s[18:19], s[2:3]
	s_delay_alu instid0(SALU_CYCLE_1) | instskip(NEXT) | instid1(SALU_CYCLE_1)
	s_mov_b32 s9, s3
	s_cmp_lg_u64 s[8:9], 0
	s_cbranch_scc0 .LBB61_21
; %bb.1:
	s_add_nc_u64 s[8:9], s[16:17], 0
	s_mov_b32 s15, s17
	s_xor_b64 s[8:9], s[8:9], 0
	s_mov_b32 s23, s17
	s_cvt_f32_u32 s7, s8
	s_cvt_f32_u32 s10, s9
	s_sub_nc_u64 s[12:13], 0, s[8:9]
	s_delay_alu instid0(SALU_CYCLE_2) | instskip(NEXT) | instid1(SALU_CYCLE_3)
	s_fmamk_f32 s7, s10, 0x4f800000, s7
	v_s_rcp_f32 s7, s7
	s_delay_alu instid0(TRANS32_DEP_1) | instskip(SKIP_1) | instid1(SALU_CYCLE_2)
	s_mul_f32 s7, s7, 0x5f7ffffc
	s_wait_alu 0xfffe
	s_mul_f32 s10, s7, 0x2f800000
	s_delay_alu instid0(SALU_CYCLE_3) | instskip(NEXT) | instid1(SALU_CYCLE_3)
	s_trunc_f32 s10, s10
	s_fmamk_f32 s7, s10, 0xcf800000, s7
	s_cvt_u32_f32 s11, s10
	s_wait_alu 0xfffe
	s_delay_alu instid0(SALU_CYCLE_1) | instskip(NEXT) | instid1(SALU_CYCLE_3)
	s_cvt_u32_f32 s10, s7
	s_mul_u64 s[20:21], s[12:13], s[10:11]
	s_delay_alu instid0(SALU_CYCLE_1)
	s_mul_hi_u32 s25, s10, s21
	s_mul_i32 s24, s10, s21
	s_mul_hi_u32 s14, s10, s20
	s_mul_i32 s22, s11, s20
	s_add_nc_u64 s[14:15], s[14:15], s[24:25]
	s_mul_hi_u32 s7, s11, s20
	s_mul_hi_u32 s26, s11, s21
	s_add_co_u32 s14, s14, s22
	s_wait_alu 0xfffe
	s_add_co_ci_u32 s22, s15, s7
	s_mul_i32 s20, s11, s21
	s_add_co_ci_u32 s21, s26, 0
	s_delay_alu instid0(SALU_CYCLE_1)
	s_add_nc_u64 s[14:15], s[22:23], s[20:21]
	s_mov_b32 s21, s17
	s_add_co_u32 s10, s10, s14
	s_cselect_b32 s7, -1, 0
	s_wait_alu 0xfffe
	s_cmp_lg_u32 s7, 0
	s_add_co_ci_u32 s11, s11, s15
	s_mov_b32 s15, s17
	s_mul_u64 s[12:13], s[12:13], s[10:11]
	s_delay_alu instid0(SALU_CYCLE_1)
	s_mul_hi_u32 s23, s10, s13
	s_mul_i32 s22, s10, s13
	s_mul_hi_u32 s14, s10, s12
	s_mul_i32 s20, s11, s12
	s_add_nc_u64 s[14:15], s[14:15], s[22:23]
	s_mul_hi_u32 s7, s11, s12
	s_mul_hi_u32 s24, s11, s13
	s_mul_i32 s12, s11, s13
	s_add_co_u32 s13, s14, s20
	s_wait_alu 0xfffe
	s_add_co_ci_u32 s20, s15, s7
	s_add_co_ci_u32 s13, s24, 0
	s_mov_b32 s15, s17
	s_add_nc_u64 s[12:13], s[20:21], s[12:13]
	s_delay_alu instid0(SALU_CYCLE_1) | instskip(SKIP_1) | instid1(SALU_CYCLE_1)
	s_add_co_u32 s7, s10, s12
	s_cselect_b32 s10, -1, 0
	s_cmp_lg_u32 s10, 0
	s_add_co_ci_u32 s20, s11, s13
	s_ashr_i32 s10, s3, 31
	s_delay_alu instid0(SALU_CYCLE_1) | instskip(NEXT) | instid1(SALU_CYCLE_1)
	s_mov_b32 s11, s10
	s_add_nc_u64 s[12:13], s[2:3], s[10:11]
	s_delay_alu instid0(SALU_CYCLE_1) | instskip(NEXT) | instid1(SALU_CYCLE_1)
	s_xor_b64 s[12:13], s[12:13], s[10:11]
	s_mul_hi_u32 s23, s12, s20
	s_mul_i32 s22, s12, s20
	s_wait_alu 0xfffe
	s_mul_hi_u32 s14, s12, s7
	s_mul_hi_u32 s24, s13, s7
	s_mul_i32 s7, s13, s7
	s_add_nc_u64 s[14:15], s[14:15], s[22:23]
	s_mul_hi_u32 s3, s13, s20
	s_wait_alu 0xfffe
	s_add_co_u32 s7, s14, s7
	s_mul_i32 s22, s13, s20
	s_add_co_ci_u32 s20, s15, s24
	s_add_co_ci_u32 s23, s3, 0
	s_delay_alu instid0(SALU_CYCLE_1) | instskip(NEXT) | instid1(SALU_CYCLE_1)
	s_add_nc_u64 s[14:15], s[20:21], s[22:23]
	s_mul_u64 s[20:21], s[8:9], s[14:15]
	s_delay_alu instid0(SALU_CYCLE_1)
	s_sub_co_u32 s3, s12, s20
	s_cselect_b32 s7, -1, 0
	s_sub_co_i32 s12, s13, s21
	s_wait_alu 0xfffe
	s_cmp_lg_u32 s7, 0
	s_sub_co_ci_u32 s12, s12, s9
	s_sub_co_u32 s20, s3, s8
	s_cselect_b32 s22, -1, 0
	s_delay_alu instid0(SALU_CYCLE_1) | instskip(SKIP_2) | instid1(SALU_CYCLE_1)
	s_cmp_lg_u32 s22, 0
	s_add_nc_u64 s[22:23], s[14:15], 1
	s_sub_co_ci_u32 s12, s12, 0
	s_cmp_ge_u32 s12, s9
	s_cselect_b32 s24, -1, 0
	s_cmp_ge_u32 s20, s8
	s_cselect_b32 s20, -1, 0
	s_cmp_eq_u32 s12, s9
	s_cselect_b32 s12, s20, s24
	s_add_nc_u64 s[24:25], s[14:15], 2
	s_cmp_lg_u32 s12, 0
	s_cselect_b32 s12, s24, s22
	s_cselect_b32 s20, s25, s23
	s_cmp_lg_u32 s7, 0
	s_sub_co_ci_u32 s7, s13, s21
	s_wait_alu 0xfffe
	s_cmp_ge_u32 s7, s9
	s_cselect_b32 s13, -1, 0
	s_cmp_ge_u32 s3, s8
	s_cselect_b32 s3, -1, 0
	s_cmp_eq_u32 s7, s9
	s_cselect_b32 s3, s3, s13
	s_delay_alu instid0(SALU_CYCLE_1) | instskip(SKIP_4) | instid1(SALU_CYCLE_1)
	s_cmp_lg_u32 s3, 0
	s_mov_b32 s3, s17
	s_cselect_b32 s9, s20, s15
	s_cselect_b32 s8, s12, s14
	s_xor_b64 s[10:11], s[10:11], 0
	s_xor_b64 s[8:9], s[8:9], s[10:11]
	s_delay_alu instid0(SALU_CYCLE_1)
	s_sub_nc_u64 s[20:21], s[8:9], s[10:11]
	s_and_not1_b32 vcc_lo, exec_lo, s3
	s_cbranch_vccnz .LBB61_3
.LBB61_2:
	v_cvt_f32_u32_e32 v1, s16
	s_sub_co_i32 s7, 0, s16
	s_delay_alu instid0(VALU_DEP_1) | instskip(NEXT) | instid1(TRANS32_DEP_1)
	v_rcp_iflag_f32_e32 v1, v1
	v_mul_f32_e32 v1, 0x4f7ffffe, v1
	s_delay_alu instid0(VALU_DEP_1) | instskip(NEXT) | instid1(VALU_DEP_1)
	v_cvt_u32_f32_e32 v1, v1
	v_readfirstlane_b32 s3, v1
	s_wait_alu 0xfffe
	s_mul_i32 s7, s7, s3
	s_wait_alu 0xfffe
	s_mul_hi_u32 s7, s3, s7
	s_wait_alu 0xfffe
	s_add_co_i32 s3, s3, s7
	s_delay_alu instid0(SALU_CYCLE_1) | instskip(NEXT) | instid1(SALU_CYCLE_1)
	s_mul_hi_u32 s3, s2, s3
	s_mul_i32 s7, s3, s16
	s_wait_alu 0xfffe
	s_sub_co_i32 s2, s2, s7
	s_add_co_i32 s7, s3, 1
	s_sub_co_i32 s8, s2, s16
	s_cmp_ge_u32 s2, s16
	s_wait_alu 0xfffe
	s_cselect_b32 s3, s7, s3
	s_cselect_b32 s2, s8, s2
	s_add_co_i32 s7, s3, 1
	s_cmp_ge_u32 s2, s16
	s_wait_alu 0xfffe
	s_cselect_b32 s20, s7, s3
.LBB61_3:
	s_add_co_i32 s2, ttmp9, 1
	s_mov_b32 s8, 0
	s_ashr_i32 s3, s2, 31
	s_delay_alu instid0(SALU_CYCLE_1) | instskip(NEXT) | instid1(SALU_CYCLE_1)
	s_mul_u64 s[2:3], s[18:19], s[2:3]
	s_mov_b32 s9, s3
	s_delay_alu instid0(SALU_CYCLE_1)
	s_cmp_lg_u64 s[8:9], 0
	s_cbranch_scc0 .LBB61_22
; %bb.4:
	s_add_nc_u64 s[10:11], s[16:17], 0
	s_mov_b32 s23, s8
	s_xor_b64 s[10:11], s[10:11], 0
	s_mov_b32 s27, s8
	s_cvt_f32_u32 s7, s10
	s_cvt_f32_u32 s9, s11
	s_sub_nc_u64 s[14:15], 0, s[10:11]
	s_wait_alu 0xfffe
	s_delay_alu instid0(SALU_CYCLE_1) | instskip(SKIP_1) | instid1(SALU_CYCLE_2)
	s_fmamk_f32 s7, s9, 0x4f800000, s7
	s_wait_alu 0xfffe
	v_s_rcp_f32 s7, s7
	s_delay_alu instid0(TRANS32_DEP_1) | instskip(SKIP_1) | instid1(SALU_CYCLE_2)
	s_mul_f32 s7, s7, 0x5f7ffffc
	s_wait_alu 0xfffe
	s_mul_f32 s9, s7, 0x2f800000
	s_delay_alu instid0(SALU_CYCLE_3) | instskip(NEXT) | instid1(SALU_CYCLE_3)
	s_trunc_f32 s9, s9
	s_fmamk_f32 s7, s9, 0xcf800000, s7
	s_cvt_u32_f32 s13, s9
	s_wait_alu 0xfffe
	s_delay_alu instid0(SALU_CYCLE_1) | instskip(NEXT) | instid1(SALU_CYCLE_3)
	s_cvt_u32_f32 s12, s7
	s_mul_u64 s[24:25], s[14:15], s[12:13]
	s_delay_alu instid0(SALU_CYCLE_1)
	s_mul_hi_u32 s29, s12, s25
	s_mul_i32 s28, s12, s25
	s_mul_hi_u32 s22, s12, s24
	s_mul_i32 s9, s13, s24
	s_add_nc_u64 s[22:23], s[22:23], s[28:29]
	s_mul_hi_u32 s7, s13, s24
	s_mul_hi_u32 s21, s13, s25
	s_add_co_u32 s9, s22, s9
	s_wait_alu 0xfffe
	s_add_co_ci_u32 s26, s23, s7
	s_mul_i32 s24, s13, s25
	s_add_co_ci_u32 s25, s21, 0
	s_delay_alu instid0(SALU_CYCLE_1)
	s_add_nc_u64 s[22:23], s[26:27], s[24:25]
	s_mov_b32 s25, s8
	s_add_co_u32 s12, s12, s22
	s_cselect_b32 s7, -1, 0
	s_wait_alu 0xfffe
	s_cmp_lg_u32 s7, 0
	s_add_co_ci_u32 s13, s13, s23
	s_mov_b32 s23, s8
	s_mul_u64 s[14:15], s[14:15], s[12:13]
	s_delay_alu instid0(SALU_CYCLE_1)
	s_mul_hi_u32 s27, s12, s15
	s_mul_i32 s26, s12, s15
	s_mul_hi_u32 s22, s12, s14
	s_mul_i32 s9, s13, s14
	s_add_nc_u64 s[22:23], s[22:23], s[26:27]
	s_mul_hi_u32 s7, s13, s14
	s_mul_hi_u32 s21, s13, s15
	s_add_co_u32 s9, s22, s9
	s_wait_alu 0xfffe
	s_add_co_ci_u32 s24, s23, s7
	s_mul_i32 s14, s13, s15
	s_add_co_ci_u32 s15, s21, 0
	s_mov_b32 s23, s8
	s_add_nc_u64 s[14:15], s[24:25], s[14:15]
	s_delay_alu instid0(SALU_CYCLE_1) | instskip(SKIP_1) | instid1(SALU_CYCLE_1)
	s_add_co_u32 s7, s12, s14
	s_cselect_b32 s9, -1, 0
	s_cmp_lg_u32 s9, 0
	s_add_co_ci_u32 s9, s13, s15
	s_ashr_i32 s12, s3, 31
	s_delay_alu instid0(SALU_CYCLE_1) | instskip(NEXT) | instid1(SALU_CYCLE_1)
	s_mov_b32 s13, s12
	s_add_nc_u64 s[14:15], s[2:3], s[12:13]
	s_delay_alu instid0(SALU_CYCLE_1) | instskip(NEXT) | instid1(SALU_CYCLE_1)
	s_xor_b64 s[14:15], s[14:15], s[12:13]
	s_mul_hi_u32 s27, s14, s9
	s_mul_i32 s26, s14, s9
	s_wait_alu 0xfffe
	s_mul_hi_u32 s22, s14, s7
	s_mul_hi_u32 s21, s15, s7
	s_mul_i32 s7, s15, s7
	s_add_nc_u64 s[22:23], s[22:23], s[26:27]
	s_mul_hi_u32 s3, s15, s9
	s_wait_alu 0xfffe
	s_add_co_u32 s7, s22, s7
	s_add_co_ci_u32 s24, s23, s21
	s_mul_i32 s26, s15, s9
	s_add_co_ci_u32 s27, s3, 0
	s_delay_alu instid0(SALU_CYCLE_1) | instskip(NEXT) | instid1(SALU_CYCLE_1)
	s_add_nc_u64 s[22:23], s[24:25], s[26:27]
	s_mul_u64 s[24:25], s[10:11], s[22:23]
	s_add_nc_u64 s[26:27], s[22:23], 1
	s_sub_co_u32 s3, s14, s24
	s_cselect_b32 s7, -1, 0
	s_sub_co_i32 s9, s15, s25
	s_wait_alu 0xfffe
	s_cmp_lg_u32 s7, 0
	s_add_nc_u64 s[28:29], s[22:23], 2
	s_sub_co_ci_u32 s9, s9, s11
	s_sub_co_u32 s14, s3, s10
	s_cselect_b32 s21, -1, 0
	s_delay_alu instid0(SALU_CYCLE_1) | instskip(SKIP_1) | instid1(SALU_CYCLE_1)
	s_cmp_lg_u32 s21, 0
	s_sub_co_ci_u32 s9, s9, 0
	s_cmp_ge_u32 s9, s11
	s_cselect_b32 s21, -1, 0
	s_cmp_ge_u32 s14, s10
	s_cselect_b32 s14, -1, 0
	s_cmp_eq_u32 s9, s11
	s_cselect_b32 s9, s14, s21
	s_delay_alu instid0(SALU_CYCLE_1)
	s_cmp_lg_u32 s9, 0
	s_cselect_b32 s9, s28, s26
	s_cselect_b32 s14, s29, s27
	s_cmp_lg_u32 s7, 0
	s_sub_co_ci_u32 s7, s15, s25
	s_wait_alu 0xfffe
	s_cmp_ge_u32 s7, s11
	s_cselect_b32 s15, -1, 0
	s_cmp_ge_u32 s3, s10
	s_cselect_b32 s3, -1, 0
	s_cmp_eq_u32 s7, s11
	s_cselect_b32 s3, s3, s15
	s_delay_alu instid0(SALU_CYCLE_1) | instskip(SKIP_3) | instid1(SALU_CYCLE_1)
	s_cmp_lg_u32 s3, 0
	s_cselect_b32 s11, s14, s23
	s_cselect_b32 s10, s9, s22
	s_xor_b64 s[12:13], s[12:13], 0
	s_xor_b64 s[10:11], s[10:11], s[12:13]
	s_delay_alu instid0(SALU_CYCLE_1)
	s_sub_nc_u64 s[10:11], s[10:11], s[12:13]
	s_load_b96 s[12:14], s[0:1], 0x44
	s_and_not1_b32 vcc_lo, exec_lo, s8
	s_cbranch_vccnz .LBB61_6
.LBB61_5:
	v_cvt_f32_u32_e32 v1, s16
	s_sub_co_i32 s7, 0, s16
	s_delay_alu instid0(VALU_DEP_1) | instskip(NEXT) | instid1(TRANS32_DEP_1)
	v_rcp_iflag_f32_e32 v1, v1
	v_mul_f32_e32 v1, 0x4f7ffffe, v1
	s_delay_alu instid0(VALU_DEP_1) | instskip(NEXT) | instid1(VALU_DEP_1)
	v_cvt_u32_f32_e32 v1, v1
	v_readfirstlane_b32 s3, v1
	s_wait_alu 0xfffe
	s_mul_i32 s7, s7, s3
	s_wait_alu 0xfffe
	s_mul_hi_u32 s7, s3, s7
	s_wait_alu 0xfffe
	s_add_co_i32 s3, s3, s7
	s_delay_alu instid0(SALU_CYCLE_1) | instskip(NEXT) | instid1(SALU_CYCLE_1)
	s_mul_hi_u32 s3, s2, s3
	s_mul_i32 s7, s3, s16
	s_wait_alu 0xfffe
	s_sub_co_i32 s2, s2, s7
	s_add_co_i32 s7, s3, 1
	s_sub_co_i32 s8, s2, s16
	s_cmp_ge_u32 s2, s16
	s_wait_alu 0xfffe
	s_cselect_b32 s3, s7, s3
	s_cselect_b32 s2, s8, s2
	s_add_co_i32 s7, s3, 1
	s_cmp_ge_u32 s2, s16
	s_wait_alu 0xfffe
	s_cselect_b32 s10, s7, s3
.LBB61_6:
	s_mov_b32 s21, 0
	s_wait_kmcnt 0x0
	s_mov_b32 s22, s12
	s_mov_b32 s23, s21
	s_cmp_eq_u32 s20, s10
	s_mul_u64 s[2:3], s[20:21], s[22:23]
	s_cselect_b32 s7, -1, 0
	s_add_co_i32 s2, s3, s20
	s_mov_b32 s11, s21
	s_lshr_b32 s12, s2, s13
	s_mul_u64 s[2:3], s[10:11], s[22:23]
	s_mul_i32 s2, s12, s14
	s_delay_alu instid0(SALU_CYCLE_1) | instskip(SKIP_2) | instid1(SALU_CYCLE_1)
	s_cmp_eq_u32 s2, s20
	s_cselect_b32 s2, -1, 0
	s_add_co_i32 s3, s3, s10
	s_lshr_b32 s3, s3, s13
	s_delay_alu instid0(SALU_CYCLE_1)
	s_cmp_eq_u32 s12, s3
	s_mul_i32 s3, s3, s14
	s_cselect_b32 s8, -1, 0
	s_cmp_lg_u32 s3, s10
	s_cselect_b32 s3, -1, 0
	s_wait_alu 0xfffe
	s_or_b32 s2, s7, s2
	s_and_b32 s3, s8, s3
	s_delay_alu instid0(SALU_CYCLE_1) | instskip(NEXT) | instid1(SALU_CYCLE_1)
	s_or_b32 s2, s2, s3
	s_and_b32 vcc_lo, exec_lo, s2
	s_cbranch_vccnz .LBB61_24
; %bb.7:
	s_load_b256 s[24:31], s[0:1], 0x20
	s_mov_b32 s3, s21
	s_and_b32 s15, ttmp7, 0xffff
	s_wait_kmcnt 0x0
	s_mov_b32 s2, s24
	s_delay_alu instid0(SALU_CYCLE_1) | instskip(NEXT) | instid1(SALU_CYCLE_1)
	s_mul_u64 s[2:3], s[20:21], s[2:3]
	s_add_co_i32 s2, s3, s20
	s_delay_alu instid0(SALU_CYCLE_1) | instskip(SKIP_4) | instid1(SALU_CYCLE_1)
	s_lshr_b32 s3, s2, s25
	s_load_b32 s2, s[0:1], 0x40
	s_mul_i32 s7, s3, s26
	s_wait_alu 0xfffe
	s_sub_co_i32 s8, s20, s7
	s_mul_hi_u32 s7, s8, s27
	s_wait_alu 0xfffe
	s_add_co_i32 s7, s8, s7
	s_wait_alu 0xfffe
	s_lshr_b32 s7, s7, s28
	s_wait_alu 0xfffe
	s_mul_i32 s9, s7, s29
	s_delay_alu instid0(SALU_CYCLE_1) | instskip(NEXT) | instid1(SALU_CYCLE_1)
	s_sub_co_i32 s8, s8, s9
	s_mul_hi_u32 s9, s8, s30
	s_delay_alu instid0(SALU_CYCLE_1) | instskip(NEXT) | instid1(SALU_CYCLE_1)
	s_add_co_i32 s9, s8, s9
	s_lshr_b32 s24, s9, s31
	s_mov_b32 s9, s21
	s_wait_kmcnt 0x0
	s_mul_i32 s2, s24, s2
	s_delay_alu instid0(SALU_CYCLE_1) | instskip(NEXT) | instid1(SALU_CYCLE_1)
	s_sub_co_i32 s8, s8, s2
	s_mul_u64 s[10:11], s[8:9], s[22:23]
	s_delay_alu instid0(SALU_CYCLE_1) | instskip(NEXT) | instid1(SALU_CYCLE_1)
	s_add_co_i32 s2, s8, s11
	s_lshr_b32 s21, s2, s13
	s_delay_alu instid0(SALU_CYCLE_1) | instskip(NEXT) | instid1(SALU_CYCLE_1)
	s_lshl_b32 s2, s21, 4
	s_add_co_i32 s8, s2, s15
	s_lshr_b32 s2, ttmp7, 16
	s_cmp_lt_i32 s8, s4
	s_cselect_b32 s8, -1, 0
	s_add_co_i32 s9, s24, s2
	s_delay_alu instid0(SALU_CYCLE_1) | instskip(SKIP_1) | instid1(SALU_CYCLE_1)
	s_cmp_lt_i32 s9, s6
	s_cselect_b32 s9, -1, 0
	s_and_b32 s8, s8, s9
	s_delay_alu instid0(SALU_CYCLE_1)
	s_and_not1_b32 vcc_lo, exec_lo, s8
	s_cbranch_vccnz .LBB61_24
; %bb.8:
	s_mul_i32 s3, s3, s4
	s_mul_i32 s7, s7, s6
	s_add_co_i32 s3, s3, s15
	s_load_b128 s[8:11], s[0:1], 0x0
	s_mul_i32 s3, s3, s5
	s_mul_i32 s1, s5, s21
	s_add_co_i32 s3, s3, s2
	s_lshl_b32 s1, s1, 11
	s_add_co_i32 s0, s3, s7
	s_add_co_i32 s15, s15, s2
	;; [unrolled: 1-line block ×3, first 2 shown]
	v_cvt_f32_u32_e32 v4, s16
	s_lshl_b32 s0, s0, 7
	s_add_co_i32 s34, ttmp9, -1
	s_add_co_i32 s1, s1, s0
	s_delay_alu instid0(VALU_DEP_1)
	v_rcp_iflag_f32_e32 v4, v4
	v_or_b32_e32 v1, s1, v0
	s_add_nc_u64 s[0:1], s[16:17], 0
	v_lshl_or_b32 v0, s15, 7, v0
	s_wait_alu 0xfffe
	s_xor_b64 s[6:7], s[0:1], 0
	s_lshl_b32 s0, ttmp9, 4
	v_ashrrev_i32_e32 v2, 31, v1
	s_wait_alu 0xfffe
	s_cvt_f32_u32 s1, s6
	s_cvt_f32_u32 s2, s7
	s_add_co_i32 s0, s0, s15
	s_sub_nc_u64 s[30:31], 0, s[6:7]
	v_lshlrev_b64_e32 v[1:2], 2, v[1:2]
	s_wait_alu 0xfffe
	s_fmamk_f32 s2, s2, 0x4f800000, s1
	s_ashr_i32 s1, s0, 31
	s_wait_alu 0xfffe
	s_lshl_b64 s[0:1], s[0:1], 3
	v_s_rcp_f32 s2, s2
	s_wait_kmcnt 0x0
	v_add_co_u32 v1, vcc_lo, s8, v1
	s_delay_alu instid0(VALU_DEP_1)
	v_add_co_ci_u32_e64 v2, null, s9, v2, vcc_lo
	s_wait_alu 0xfffe
	s_add_nc_u64 s[0:1], s[10:11], s[0:1]
	s_mov_b32 s8, 0
	s_load_b64 s[26:27], s[0:1], 0x0
	global_load_b32 v3, v[1:2], off
	s_mul_f32 s2, s2, 0x5f7ffffc
	v_mul_f32_e32 v4, 0x4f7ffffe, v4
	s_lshl_b32 s0, s16, 6
	s_wait_alu 0xfffe
	s_mul_f32 s1, s2, 0x2f800000
	s_wait_alu 0xfffe
	s_delay_alu instid0(SALU_CYCLE_2)
	s_trunc_f32 s3, s1
	s_mov_b32 s1, s8
	s_wait_alu 0xfffe
	s_lshl_b64 s[0:1], s[0:1], 2
	s_fmamk_f32 s2, s3, 0xcf800000, s2
	s_cvt_u32_f32 s29, s3
	s_wait_alu 0xfffe
	s_add_nc_u64 s[24:25], s[10:11], s[0:1]
	s_cvt_u32_f32 s28, s2
	s_wait_kmcnt 0x0
	v_mov_b32_e32 v5, s27
	v_cvt_u32_f32_e32 v4, v4
.LBB61_9:                               ; =>This Inner Loop Header: Depth=1
	s_wait_alu 0xfffe
	s_ashr_i32 s35, s34, 31
	s_mov_b32 s2, -1
	s_wait_alu 0xfffe
	s_mul_u64 s[0:1], s[34:35], s[18:19]
                                        ; implicit-def: $sgpr38_sgpr39
	s_wait_alu 0xfffe
	s_mov_b32 s9, s1
	s_wait_alu 0xfffe
	s_cmp_lg_u64 s[8:9], 0
	s_cbranch_scc0 .LBB61_11
; %bb.10:                               ;   in Loop: Header=BB61_9 Depth=1
	s_mul_u64 s[2:3], s[30:31], s[28:29]
	s_mov_b32 s37, s8
	s_wait_alu 0xfffe
	s_mul_hi_u32 s5, s28, s3
	s_mul_i32 s4, s28, s3
	s_mul_hi_u32 s36, s28, s2
	s_mul_hi_u32 s9, s29, s2
	s_wait_alu 0xfffe
	s_add_nc_u64 s[4:5], s[36:37], s[4:5]
	s_mul_i32 s2, s29, s2
	s_mul_hi_u32 s17, s29, s3
	s_wait_alu 0xfffe
	s_add_co_u32 s2, s4, s2
	s_add_co_ci_u32 s2, s5, s9
	s_add_co_ci_u32 s5, s17, 0
	s_mul_i32 s4, s29, s3
	s_mov_b32 s3, s8
	s_mov_b32 s39, s8
	s_wait_alu 0xfffe
	s_add_nc_u64 s[2:3], s[2:3], s[4:5]
	s_wait_alu 0xfffe
	s_add_co_u32 s2, s28, s2
	s_cselect_b32 s4, -1, 0
	s_wait_alu 0xfffe
	s_cmp_lg_u32 s4, 0
	s_add_co_ci_u32 s3, s29, s3
	s_wait_alu 0xfffe
	s_mul_u64 s[4:5], s[30:31], s[2:3]
	s_wait_alu 0xfffe
	s_mul_hi_u32 s37, s2, s5
	s_mul_i32 s36, s2, s5
	s_mul_hi_u32 s38, s2, s4
	s_mul_hi_u32 s9, s3, s4
	s_mul_i32 s4, s3, s4
	s_wait_alu 0xfffe
	s_add_nc_u64 s[36:37], s[38:39], s[36:37]
	s_mul_hi_u32 s17, s3, s5
	s_wait_alu 0xfffe
	s_add_co_u32 s4, s36, s4
	s_add_co_ci_u32 s4, s37, s9
	s_add_co_ci_u32 s37, s17, 0
	s_mul_i32 s36, s3, s5
	s_mov_b32 s5, s8
	s_wait_alu 0xfffe
	s_add_nc_u64 s[4:5], s[4:5], s[36:37]
	s_mov_b32 s37, s8
	s_wait_alu 0xfffe
	s_add_co_u32 s9, s2, s4
	s_cselect_b32 s2, -1, 0
	s_wait_alu 0xfffe
	s_cmp_lg_u32 s2, 0
	s_add_co_ci_u32 s17, s3, s5
	s_ashr_i32 s2, s1, 31
	s_wait_alu 0xfffe
	s_mov_b32 s3, s2
	s_wait_alu 0xfffe
	s_add_nc_u64 s[4:5], s[0:1], s[2:3]
	s_wait_alu 0xfffe
	s_xor_b64 s[4:5], s[4:5], s[2:3]
	s_wait_alu 0xfffe
	s_mul_hi_u32 s39, s4, s17
	s_mul_i32 s38, s4, s17
	s_mul_hi_u32 s36, s4, s9
	s_mul_i32 s21, s5, s9
	s_wait_alu 0xfffe
	s_add_nc_u64 s[36:37], s[36:37], s[38:39]
	s_mul_hi_u32 s9, s5, s9
	s_mul_hi_u32 s1, s5, s17
	s_wait_alu 0xfffe
	s_add_co_u32 s21, s36, s21
	s_add_co_ci_u32 s36, s37, s9
	s_add_co_ci_u32 s39, s1, 0
	s_mul_i32 s38, s5, s17
	s_mov_b32 s37, s8
	s_wait_alu 0xfffe
	s_add_nc_u64 s[36:37], s[36:37], s[38:39]
	s_wait_alu 0xfffe
	s_mul_u64 s[38:39], s[6:7], s[36:37]
	s_add_nc_u64 s[40:41], s[36:37], 1
	s_sub_co_u32 s1, s4, s38
	s_cselect_b32 s4, -1, 0
	s_sub_co_i32 s9, s5, s39
	s_wait_alu 0xfffe
	s_cmp_lg_u32 s4, 0
	s_add_nc_u64 s[42:43], s[36:37], 2
	s_sub_co_ci_u32 s9, s9, s7
	s_sub_co_u32 s17, s1, s6
	s_cselect_b32 s21, -1, 0
	s_delay_alu instid0(SALU_CYCLE_1)
	s_cmp_lg_u32 s21, 0
	s_wait_alu 0xfffe
	s_sub_co_ci_u32 s9, s9, 0
	s_wait_alu 0xfffe
	s_cmp_ge_u32 s9, s7
	s_cselect_b32 s21, -1, 0
	s_cmp_ge_u32 s17, s6
	s_cselect_b32 s17, -1, 0
	s_cmp_eq_u32 s9, s7
	s_wait_alu 0xfffe
	s_cselect_b32 s9, s17, s21
	s_wait_alu 0xfffe
	s_cmp_lg_u32 s9, 0
	s_cselect_b32 s9, s42, s40
	s_cselect_b32 s17, s43, s41
	s_cmp_lg_u32 s4, 0
	s_sub_co_ci_u32 s4, s5, s39
	s_wait_alu 0xfffe
	s_cmp_ge_u32 s4, s7
	s_cselect_b32 s5, -1, 0
	s_cmp_ge_u32 s1, s6
	s_cselect_b32 s1, -1, 0
	s_cmp_eq_u32 s4, s7
	s_wait_alu 0xfffe
	s_cselect_b32 s1, s1, s5
	s_wait_alu 0xfffe
	s_cmp_lg_u32 s1, 0
	s_cselect_b32 s5, s17, s37
	s_cselect_b32 s4, s9, s36
	s_xor_b64 s[2:3], s[2:3], 0
	s_wait_alu 0xfffe
	s_xor_b64 s[4:5], s[4:5], s[2:3]
	s_wait_alu 0xfffe
	s_sub_nc_u64 s[38:39], s[4:5], s[2:3]
	s_mov_b32 s2, 0
.LBB61_11:                              ;   in Loop: Header=BB61_9 Depth=1
	s_wait_alu 0xfffe
	s_and_not1_b32 vcc_lo, exec_lo, s2
	s_wait_alu 0xfffe
	s_cbranch_vccnz .LBB61_13
; %bb.12:                               ;   in Loop: Header=BB61_9 Depth=1
	v_readfirstlane_b32 s1, v4
	s_sub_co_i32 s2, 0, s16
	s_wait_alu 0xfffe
	s_mul_i32 s2, s2, s1
	s_wait_alu 0xfffe
	s_mul_hi_u32 s2, s1, s2
	s_wait_alu 0xfffe
	s_add_co_i32 s1, s1, s2
	s_wait_alu 0xfffe
	s_mul_hi_u32 s1, s0, s1
	s_wait_alu 0xfffe
	s_mul_i32 s2, s1, s16
	s_wait_alu 0xfffe
	s_sub_co_i32 s0, s0, s2
	s_add_co_i32 s2, s1, 1
	s_wait_alu 0xfffe
	s_sub_co_i32 s3, s0, s16
	s_cmp_ge_u32 s0, s16
	s_cselect_b32 s1, s2, s1
	s_wait_alu 0xfffe
	s_cselect_b32 s0, s3, s0
	s_add_co_i32 s2, s1, 1
	s_wait_alu 0xfffe
	s_cmp_ge_u32 s0, s16
	s_cselect_b32 s38, s2, s1
.LBB61_13:                              ;   in Loop: Header=BB61_9 Depth=1
	v_readfirstlane_b32 s9, v0
	s_cmp_lg_u32 s20, s38
	s_mov_b32 s0, -1
                                        ; implicit-def: $sgpr21
                                        ; implicit-def: $vgpr6
                                        ; implicit-def: $vgpr7
                                        ; implicit-def: $sgpr17
                                        ; implicit-def: $sgpr27
	s_cbranch_scc1 .LBB61_16
; %bb.14:                               ;   in Loop: Header=BB61_9 Depth=1
	s_wait_alu 0xfffe
	s_and_not1_b32 vcc_lo, exec_lo, s0
	s_wait_alu 0xfffe
	s_cbranch_vccz .LBB61_19
.LBB61_15:                              ;   in Loop: Header=BB61_9 Depth=1
	s_and_not1_b32 vcc_lo, exec_lo, s21
	s_wait_alu 0xfffe
	s_cbranch_vccnz .LBB61_20
	s_branch .LBB61_23
.LBB61_16:                              ;   in Loop: Header=BB61_9 Depth=1
	s_add_co_i32 s0, s34, s16
	s_mov_b32 s1, s8
	s_wait_alu 0xfffe
	s_lshl_b32 s0, s0, 4
	v_max_num_f32_e64 v6, s26, s26
	s_wait_alu 0xfffe
	s_add_co_i32 s0, s0, s15
	s_mov_b32 s39, s8
	s_wait_alu 0xfffe
	s_lshl_b64 s[0:1], s[0:1], 3
	s_mul_u64 s[40:41], s[38:39], s[22:23]
	s_wait_alu 0xfffe
	s_add_nc_u64 s[0:1], s[10:11], s[0:1]
	s_mov_b32 s27, s20
	s_load_b64 s[36:37], s[0:1], 0x0
	v_readfirstlane_b32 s0, v6
	s_wait_kmcnt 0x0
	v_max_num_f32_e64 v7, s36, s36
	s_delay_alu instid0(VALU_DEP_1) | instskip(SKIP_2) | instid1(SALU_CYCLE_2)
	v_readfirstlane_b32 s1, v7
	s_max_num_f32 s9, s0, s1
	s_wait_alu 0xfffe
	s_sub_f32 s33, s26, s9
	s_sub_f32 s35, s36, s9
	s_wait_alu 0xfffe
	s_delay_alu instid0(SALU_CYCLE_1)
	s_cmp_nlt_f32 s33, 0xc2ce8ed0
	s_cselect_b32 s0, -1, 0
	s_cmp_ngt_f32 s33, 0x42b17218
	s_cselect_b32 s1, -1, 0
	s_cmp_ge_f32 s33, 0xc1a00000
	s_cselect_b32 s2, -1, 0
	s_cmp_nlt_f32 s35, 0xc2ce8ed0
	s_cselect_b32 s3, -1, 0
	s_cmp_ngt_f32 s35, 0x42b17218
	s_cselect_b32 s4, -1, 0
	s_cmp_ge_f32 s35, 0xc1a00000
	s_cselect_b32 s5, -1, 0
	s_add_co_i32 s17, s41, s38
	s_wait_alu 0xfffe
	s_lshr_b32 s17, s17, s13
	s_wait_alu 0xfffe
	s_mul_i32 s21, s17, s14
	s_delay_alu instid0(SALU_CYCLE_1)
	s_cmp_eq_u32 s21, s38
	s_cselect_b32 s21, -1, 0
	s_cmp_lt_u32 s17, s12
	s_cselect_b32 s17, -1, 0
	s_wait_alu 0xfffe
	s_or_b32 s17, s17, s21
	s_mov_b32 s21, -1
	s_wait_alu 0xfffe
	s_and_b32 vcc_lo, exec_lo, s17
	s_mov_b32 s17, s34
	s_wait_alu 0xfffe
	s_cbranch_vccnz .LBB61_18
; %bb.17:                               ;   in Loop: Header=BB61_9 Depth=1
	s_add_co_i32 s17, s34, -1
	s_mov_b32 s21, 0
	s_mov_b32 s27, s38
.LBB61_18:                              ;   in Loop: Header=BB61_9 Depth=1
	v_lshl_add_u32 v6, s34, 11, v0
	s_mul_f32 s36, s35, 0x3fb8aa3b
	s_mul_f32 s38, s33, 0x3fb8aa3b
	s_wait_alu 0xfffe
	s_delay_alu instid0(SALU_CYCLE_1)
	s_xor_b32 s39, s36, 0x80000000
	v_ashrrev_i32_e32 v7, 31, v6
	s_rndne_f32 s40, s36
	s_fmamk_f32 s39, s35, 0x3fb8aa3b, s39
	s_xor_b32 s41, s38, 0x80000000
	s_rndne_f32 s42, s38
	v_lshlrev_b64_e32 v[6:7], 2, v[6:7]
	s_sub_f32 s36, s36, s40
	s_fmamk_f32 s35, s35, 0x32a5705f, s39
	s_fmamk_f32 s39, s33, 0x3fb8aa3b, s41
	s_sub_f32 s38, s38, s42
	s_delay_alu instid0(VALU_DEP_1)
	v_add_co_u32 v6, vcc_lo, s24, v6
	s_wait_alu 0xfffd
	v_add_co_ci_u32_e64 v7, null, s25, v7, vcc_lo
	s_wait_alu 0xfffe
	s_add_f32 s35, s36, s35
	s_fmamk_f32 s33, s33, 0x32a5705f, s39
	s_cvt_i32_f32 s36, s40
	global_load_b32 v6, v[6:7], off
	s_wait_alu 0xfffe
	v_s_exp_f32 s35, s35
	s_add_f32 s33, s38, s33
	s_wait_alu 0xfffe
	s_delay_alu instid0(SALU_CYCLE_2) | instskip(NEXT) | instid1(TRANS32_DEP_2)
	v_s_exp_f32 s33, s33
	v_ldexp_f32 v7, s35, s36
	s_cvt_i32_f32 s35, s42
	s_wait_alu 0xf1fe
	s_delay_alu instid0(TRANS32_DEP_1) | instid1(SALU_CYCLE_2)
	v_ldexp_f32 v8, s33, s35
	s_delay_alu instid0(VALU_DEP_2) | instskip(NEXT) | instid1(VALU_DEP_2)
	v_cndmask_b32_e64 v7, 0, v7, s3
	v_cndmask_b32_e64 v8, 0, v8, s0
	s_delay_alu instid0(VALU_DEP_2) | instskip(NEXT) | instid1(VALU_DEP_2)
	v_cndmask_b32_e64 v7, 0x7f800000, v7, s4
	v_cndmask_b32_e64 v8, 0x7f800000, v8, s1
	;; [unrolled: 3-line block ×3, first 2 shown]
	s_wait_loadcnt 0x0
	s_delay_alu instid0(VALU_DEP_2) | instskip(SKIP_1) | instid1(VALU_DEP_1)
	v_mul_f32_e32 v6, v6, v7
	v_mul_f32_e32 v7, s37, v7
	v_fmac_f32_e32 v7, v5, v8
	s_delay_alu instid0(VALU_DEP_3)
	v_fmac_f32_e32 v6, v3, v8
	s_cbranch_execnz .LBB61_15
.LBB61_19:                              ;   in Loop: Header=BB61_9 Depth=1
	s_wait_loadcnt 0x0
	v_dual_mov_b32 v7, v5 :: v_dual_mov_b32 v6, v3
	s_add_co_i32 s17, s34, -1
	s_mov_b32 s27, s20
	s_mov_b32 s9, s26
	s_cbranch_execz .LBB61_23
.LBB61_20:                              ;   in Loop: Header=BB61_9 Depth=1
	v_mov_b32_e32 v5, v7
	s_wait_loadcnt 0x0
	v_mov_b32_e32 v3, v6
	s_wait_alu 0xfffe
	s_mov_b32 s20, s27
	s_mov_b32 s34, s17
	s_mov_b32 s26, s9
	s_branch .LBB61_9
.LBB61_21:
                                        ; implicit-def: $sgpr20_sgpr21
	s_branch .LBB61_2
.LBB61_22:
                                        ; implicit-def: $sgpr10_sgpr11
	s_load_b96 s[12:14], s[0:1], 0x44
	s_branch .LBB61_5
.LBB61_23:
	v_div_scale_f32 v0, null, v7, v7, v6
	s_wait_loadcnt 0x0
	s_delay_alu instid0(VALU_DEP_1) | instskip(NEXT) | instid1(TRANS32_DEP_1)
	v_rcp_f32_e32 v3, v0
	v_fma_f32 v4, -v0, v3, 1.0
	s_delay_alu instid0(VALU_DEP_1) | instskip(SKIP_1) | instid1(VALU_DEP_1)
	v_fmac_f32_e32 v3, v4, v3
	v_div_scale_f32 v4, vcc_lo, v6, v7, v6
	v_mul_f32_e32 v5, v4, v3
	s_delay_alu instid0(VALU_DEP_1) | instskip(NEXT) | instid1(VALU_DEP_1)
	v_fma_f32 v8, -v0, v5, v4
	v_fmac_f32_e32 v5, v8, v3
	s_delay_alu instid0(VALU_DEP_1) | instskip(SKIP_1) | instid1(VALU_DEP_1)
	v_fma_f32 v0, -v0, v5, v4
	s_wait_alu 0xfffd
	v_div_fmas_f32 v0, v0, v3, v5
	s_delay_alu instid0(VALU_DEP_1)
	v_div_fixup_f32 v0, v0, v7, v6
	global_store_b32 v[1:2], v0, off
.LBB61_24:
	s_endpgm
	.section	.rodata,"a",@progbits
	.p2align	6, 0x0
	.amdhsa_kernel _ZL33flash_attn_stream_k_fixup_generalILi128ELi16ELi1EEvPfPK15HIP_vector_typeIfLj2EEiiiiS1_IjLj3EES5_S5_S5_
		.amdhsa_group_segment_fixed_size 0
		.amdhsa_private_segment_fixed_size 0
		.amdhsa_kernarg_size 336
		.amdhsa_user_sgpr_count 2
		.amdhsa_user_sgpr_dispatch_ptr 0
		.amdhsa_user_sgpr_queue_ptr 0
		.amdhsa_user_sgpr_kernarg_segment_ptr 1
		.amdhsa_user_sgpr_dispatch_id 0
		.amdhsa_user_sgpr_private_segment_size 0
		.amdhsa_wavefront_size32 1
		.amdhsa_uses_dynamic_stack 0
		.amdhsa_enable_private_segment 0
		.amdhsa_system_sgpr_workgroup_id_x 1
		.amdhsa_system_sgpr_workgroup_id_y 1
		.amdhsa_system_sgpr_workgroup_id_z 1
		.amdhsa_system_sgpr_workgroup_info 0
		.amdhsa_system_vgpr_workitem_id 0
		.amdhsa_next_free_vgpr 9
		.amdhsa_next_free_sgpr 44
		.amdhsa_reserve_vcc 1
		.amdhsa_float_round_mode_32 0
		.amdhsa_float_round_mode_16_64 0
		.amdhsa_float_denorm_mode_32 3
		.amdhsa_float_denorm_mode_16_64 3
		.amdhsa_fp16_overflow 0
		.amdhsa_workgroup_processor_mode 1
		.amdhsa_memory_ordered 1
		.amdhsa_forward_progress 1
		.amdhsa_inst_pref_size 28
		.amdhsa_round_robin_scheduling 0
		.amdhsa_exception_fp_ieee_invalid_op 0
		.amdhsa_exception_fp_denorm_src 0
		.amdhsa_exception_fp_ieee_div_zero 0
		.amdhsa_exception_fp_ieee_overflow 0
		.amdhsa_exception_fp_ieee_underflow 0
		.amdhsa_exception_fp_ieee_inexact 0
		.amdhsa_exception_int_div_zero 0
	.end_amdhsa_kernel
	.section	.text._ZL33flash_attn_stream_k_fixup_generalILi128ELi16ELi1EEvPfPK15HIP_vector_typeIfLj2EEiiiiS1_IjLj3EES5_S5_S5_,"axG",@progbits,_ZL33flash_attn_stream_k_fixup_generalILi128ELi16ELi1EEvPfPK15HIP_vector_typeIfLj2EEiiiiS1_IjLj3EES5_S5_S5_,comdat
.Lfunc_end61:
	.size	_ZL33flash_attn_stream_k_fixup_generalILi128ELi16ELi1EEvPfPK15HIP_vector_typeIfLj2EEiiiiS1_IjLj3EES5_S5_S5_, .Lfunc_end61-_ZL33flash_attn_stream_k_fixup_generalILi128ELi16ELi1EEvPfPK15HIP_vector_typeIfLj2EEiiiiS1_IjLj3EES5_S5_S5_
                                        ; -- End function
	.set _ZL33flash_attn_stream_k_fixup_generalILi128ELi16ELi1EEvPfPK15HIP_vector_typeIfLj2EEiiiiS1_IjLj3EES5_S5_S5_.num_vgpr, 9
	.set _ZL33flash_attn_stream_k_fixup_generalILi128ELi16ELi1EEvPfPK15HIP_vector_typeIfLj2EEiiiiS1_IjLj3EES5_S5_S5_.num_agpr, 0
	.set _ZL33flash_attn_stream_k_fixup_generalILi128ELi16ELi1EEvPfPK15HIP_vector_typeIfLj2EEiiiiS1_IjLj3EES5_S5_S5_.numbered_sgpr, 44
	.set _ZL33flash_attn_stream_k_fixup_generalILi128ELi16ELi1EEvPfPK15HIP_vector_typeIfLj2EEiiiiS1_IjLj3EES5_S5_S5_.num_named_barrier, 0
	.set _ZL33flash_attn_stream_k_fixup_generalILi128ELi16ELi1EEvPfPK15HIP_vector_typeIfLj2EEiiiiS1_IjLj3EES5_S5_S5_.private_seg_size, 0
	.set _ZL33flash_attn_stream_k_fixup_generalILi128ELi16ELi1EEvPfPK15HIP_vector_typeIfLj2EEiiiiS1_IjLj3EES5_S5_S5_.uses_vcc, 1
	.set _ZL33flash_attn_stream_k_fixup_generalILi128ELi16ELi1EEvPfPK15HIP_vector_typeIfLj2EEiiiiS1_IjLj3EES5_S5_S5_.uses_flat_scratch, 0
	.set _ZL33flash_attn_stream_k_fixup_generalILi128ELi16ELi1EEvPfPK15HIP_vector_typeIfLj2EEiiiiS1_IjLj3EES5_S5_S5_.has_dyn_sized_stack, 0
	.set _ZL33flash_attn_stream_k_fixup_generalILi128ELi16ELi1EEvPfPK15HIP_vector_typeIfLj2EEiiiiS1_IjLj3EES5_S5_S5_.has_recursion, 0
	.set _ZL33flash_attn_stream_k_fixup_generalILi128ELi16ELi1EEvPfPK15HIP_vector_typeIfLj2EEiiiiS1_IjLj3EES5_S5_S5_.has_indirect_call, 0
	.section	.AMDGPU.csdata,"",@progbits
; Kernel info:
; codeLenInByte = 3556
; TotalNumSgprs: 46
; NumVgprs: 9
; ScratchSize: 0
; MemoryBound: 0
; FloatMode: 240
; IeeeMode: 1
; LDSByteSize: 0 bytes/workgroup (compile time only)
; SGPRBlocks: 0
; VGPRBlocks: 1
; NumSGPRsForWavesPerEU: 46
; NumVGPRsForWavesPerEU: 9
; Occupancy: 16
; WaveLimiterHint : 0
; COMPUTE_PGM_RSRC2:SCRATCH_EN: 0
; COMPUTE_PGM_RSRC2:USER_SGPR: 2
; COMPUTE_PGM_RSRC2:TRAP_HANDLER: 0
; COMPUTE_PGM_RSRC2:TGID_X_EN: 1
; COMPUTE_PGM_RSRC2:TGID_Y_EN: 1
; COMPUTE_PGM_RSRC2:TGID_Z_EN: 1
; COMPUTE_PGM_RSRC2:TIDIG_COMP_CNT: 0
	.section	.text._ZL15flash_attn_tileILi128ELi128ELi8ELi1ELb0EEvPKcS1_S1_S1_S1_PKiPfP15HIP_vector_typeIfLj2EEffffjfiS5_IjLj3EEiiiiiiiiiiiliiliiiiil,"axG",@progbits,_ZL15flash_attn_tileILi128ELi128ELi8ELi1ELb0EEvPKcS1_S1_S1_S1_PKiPfP15HIP_vector_typeIfLj2EEffffjfiS5_IjLj3EEiiiiiiiiiiiliiliiiiil,comdat
	.globl	_ZL15flash_attn_tileILi128ELi128ELi8ELi1ELb0EEvPKcS1_S1_S1_S1_PKiPfP15HIP_vector_typeIfLj2EEffffjfiS5_IjLj3EEiiiiiiiiiiiliiliiiiil ; -- Begin function _ZL15flash_attn_tileILi128ELi128ELi8ELi1ELb0EEvPKcS1_S1_S1_S1_PKiPfP15HIP_vector_typeIfLj2EEffffjfiS5_IjLj3EEiiiiiiiiiiiliiliiiiil
	.p2align	8
	.type	_ZL15flash_attn_tileILi128ELi128ELi8ELi1ELb0EEvPKcS1_S1_S1_S1_PKiPfP15HIP_vector_typeIfLj2EEffffjfiS5_IjLj3EEiiiiiiiiiiiliiliiiiil,@function
_ZL15flash_attn_tileILi128ELi128ELi8ELi1ELb0EEvPKcS1_S1_S1_S1_PKiPfP15HIP_vector_typeIfLj2EEffffjfiS5_IjLj3EEiiiiiiiiiiiliiliiiiil: ; @_ZL15flash_attn_tileILi128ELi128ELi8ELi1ELb0EEvPKcS1_S1_S1_S1_PKiPfP15HIP_vector_typeIfLj2EEffffjfiS5_IjLj3EEiiiiiiiiiiiliiliiiiil
; %bb.0:
	s_clause 0x1
	s_load_b128 s[20:23], s[0:1], 0x5c
	s_load_b64 s[36:37], s[0:1], 0x80
	s_lshr_b32 s4, ttmp7, 16
	s_load_b64 s[38:39], s[0:1], 0xb8
	s_mov_b64 s[34:35], 0
	s_wait_kmcnt 0x0
	s_cvt_f32_u32 s2, s23
	s_sub_co_i32 s3, 0, s23
	s_delay_alu instid0(SALU_CYCLE_2) | instskip(NEXT) | instid1(TRANS32_DEP_1)
	v_rcp_iflag_f32_e32 v1, s2
	v_readfirstlane_b32 s2, v1
	s_mul_f32 s2, s2, 0x4f7ffffe
	s_wait_alu 0xfffe
	s_delay_alu instid0(SALU_CYCLE_2) | instskip(SKIP_1) | instid1(SALU_CYCLE_2)
	s_cvt_u32_f32 s2, s2
	s_wait_alu 0xfffe
	s_mul_i32 s3, s3, s2
	s_wait_alu 0xfffe
	s_mul_hi_u32 s3, s2, s3
	s_wait_alu 0xfffe
	s_add_co_i32 s2, s2, s3
	s_wait_alu 0xfffe
	s_mul_hi_u32 s2, s4, s2
	s_wait_alu 0xfffe
	s_mul_i32 s3, s2, s23
	s_add_co_i32 s5, s2, 1
	s_wait_alu 0xfffe
	s_sub_co_i32 s3, s4, s3
	s_wait_alu 0xfffe
	s_sub_co_i32 s6, s3, s23
	s_cmp_ge_u32 s3, s23
	s_cselect_b32 s2, s5, s2
	s_cselect_b32 s3, s6, s3
	s_wait_alu 0xfffe
	s_add_co_i32 s5, s2, 1
	s_cmp_ge_u32 s3, s23
	s_cselect_b32 s30, s5, s2
	s_abs_i32 s2, s37
	s_abs_i32 s7, s23
	s_wait_alu 0xfffe
	s_cvt_f32_u32 s3, s2
	s_sub_co_i32 s5, 0, s2
	s_mul_i32 s6, s30, s23
	s_wait_alu 0xfffe
	v_rcp_iflag_f32_e32 v1, s3
	s_sub_co_i32 s28, s4, s6
	s_xor_b32 s4, s23, s37
	s_delay_alu instid0(SALU_CYCLE_1) | instskip(NEXT) | instid1(TRANS32_DEP_1)
	s_ashr_i32 s4, s4, 31
	v_readfirstlane_b32 s3, v1
	s_mul_f32 s3, s3, 0x4f7ffffe
	s_wait_alu 0xfffe
	s_delay_alu instid0(SALU_CYCLE_2) | instskip(SKIP_1) | instid1(SALU_CYCLE_2)
	s_cvt_u32_f32 s3, s3
	s_wait_alu 0xfffe
	s_mul_i32 s5, s5, s3
	s_delay_alu instid0(SALU_CYCLE_1) | instskip(NEXT) | instid1(SALU_CYCLE_1)
	s_mul_hi_u32 s5, s3, s5
	s_add_co_i32 s3, s3, s5
	s_wait_alu 0xfffe
	s_mul_hi_u32 s3, s7, s3
	s_wait_alu 0xfffe
	s_mul_i32 s5, s3, s2
	s_add_co_i32 s6, s3, 1
	s_sub_co_i32 s5, s7, s5
	s_delay_alu instid0(SALU_CYCLE_1)
	s_sub_co_i32 s7, s5, s2
	s_cmp_ge_u32 s5, s2
	s_cselect_b32 s3, s6, s3
	s_cselect_b32 s5, s7, s5
	s_wait_alu 0xfffe
	s_add_co_i32 s6, s3, 1
	s_cmp_ge_u32 s5, s2
	s_cselect_b32 s2, s6, s3
	s_mov_b32 s3, 0
	s_wait_alu 0xfffe
	s_xor_b32 s2, s2, s4
	s_wait_alu 0xfffe
	s_sub_co_i32 s31, s2, s4
	s_load_b512 s[4:19], s[0:1], 0x0
	s_abs_i32 s42, s31
	s_delay_alu instid0(SALU_CYCLE_1) | instskip(SKIP_1) | instid1(SALU_CYCLE_2)
	s_cvt_f32_u32 s2, s42
	s_wait_alu 0xfffe
	v_rcp_iflag_f32_e32 v1, s2
	s_delay_alu instid0(TRANS32_DEP_1) | instskip(SKIP_2) | instid1(SALU_CYCLE_2)
	v_readfirstlane_b32 s2, v1
	s_mul_f32 s2, s2, 0x4f7ffffe
	s_wait_alu 0xfffe
	s_cvt_u32_f32 s24, s2
	s_sub_co_i32 s2, 0, s42
	s_wait_alu 0xfffe
	s_delay_alu instid0(SALU_CYCLE_1)
	s_mul_i32 s2, s2, s24
	s_wait_alu 0xfffe
	s_mul_hi_u32 s25, s24, s2
	s_abs_i32 s2, s28
	s_add_co_i32 s40, s24, s25
	s_wait_kmcnt 0x0
	s_cmp_eq_u64 s[10:11], 0
	s_cbranch_scc1 .LBB62_2
; %bb.1:
	s_abs_i32 s26, s38
	s_delay_alu instid0(SALU_CYCLE_1) | instskip(NEXT) | instid1(SALU_CYCLE_3)
	s_cvt_f32_u32 s24, s26
	v_rcp_iflag_f32_e32 v1, s24
	s_delay_alu instid0(TRANS32_DEP_1) | instskip(SKIP_2) | instid1(SALU_CYCLE_2)
	v_readfirstlane_b32 s24, v1
	s_mul_f32 s24, s24, 0x4f7ffffe
	s_wait_alu 0xfffe
	s_cvt_u32_f32 s27, s24
	s_sub_co_i32 s24, 0, s26
	s_wait_alu 0xfffe
	s_delay_alu instid0(SALU_CYCLE_1) | instskip(SKIP_4) | instid1(SALU_CYCLE_1)
	s_mul_i32 s24, s24, s27
	s_wait_alu 0xfffe
	s_mul_hi_u32 s29, s27, s24
	s_load_b64 s[24:25], s[0:1], 0xc8
	s_add_co_i32 s27, s27, s29
	s_mul_hi_u32 s27, s30, s27
	s_delay_alu instid0(SALU_CYCLE_1) | instskip(NEXT) | instid1(SALU_CYCLE_1)
	s_mul_i32 s27, s27, s26
	s_sub_co_i32 s27, s30, s27
	s_delay_alu instid0(SALU_CYCLE_1) | instskip(SKIP_2) | instid1(SALU_CYCLE_1)
	s_sub_co_i32 s29, s27, s26
	s_cmp_ge_u32 s27, s26
	s_cselect_b32 s27, s29, s27
	s_sub_co_i32 s29, s27, s26
	s_cmp_ge_u32 s27, s26
	s_cselect_b32 s26, s29, s27
	s_delay_alu instid0(SALU_CYCLE_1)
	s_ashr_i32 s27, s26, 31
	s_wait_kmcnt 0x0
	s_mul_u64 s[24:25], s[24:25], s[26:27]
	s_wait_alu 0xfffe
	s_add_nc_u64 s[34:35], s[10:11], s[24:25]
.LBB62_2:
	s_clause 0x1
	s_load_b128 s[24:27], s[0:1], 0x40
	s_load_b32 s10, s[0:1], 0x50
	v_mov_b32_e32 v25, 1.0
	s_mov_b32 s41, s3
	s_wait_kmcnt 0x0
	s_cmp_le_f32 s25, 0
	s_cbranch_scc1 .LBB62_4
; %bb.3:
	v_sub_co_u32 v1, s10, s28, s10
	s_and_b32 s25, s10, exec_lo
	s_cselect_b32 s25, s26, s27
	s_add_co_i32 s26, s28, 1
	v_readfirstlane_b32 s11, v1
	s_lshl_b32 s11, s11, 1
	s_wait_alu 0xfffe
	s_or_b32 s11, s11, 1
	s_and_b32 s10, s10, exec_lo
	s_wait_alu 0xfffe
	s_cselect_b32 s10, s26, s11
	s_cmp_neq_f32 s25, 1.0
	s_wait_alu 0xfffe
	s_cvt_f32_i32 s10, s10
	s_wait_alu 0xfffe
	s_delay_alu instid0(SALU_CYCLE_2)
	s_cselect_b32 s11, s10, 1.0
	s_wait_alu 0xfffe
	s_cmp_neq_f32 s11, 0
	s_cselect_b32 s10, s25, 1.0
	s_wait_alu 0xfffe
	v_frexp_mant_f32_e64 v1, |s10|
	s_delay_alu instid0(VALU_DEP_1) | instskip(SKIP_3) | instid1(SALU_CYCLE_1)
	v_readfirstlane_b32 s25, v1
	v_cvt_f64_f32_e64 v[1:2], |s10|
	s_cmp_lt_f32 s25, 0x3f2aaaab
	s_cselect_b32 s26, -1, 0
	s_and_b32 s27, s26, exec_lo
	s_cselect_b32 s27, 2.0, 1.0
	s_delay_alu instid0(SALU_CYCLE_1) | instskip(SKIP_1) | instid1(SALU_CYCLE_2)
	s_mul_f32 s25, s25, s27
	s_wait_alu 0xfffe
	s_add_f32 s27, s25, 1.0
	s_add_f32 s33, s25, -1.0
	s_delay_alu instid0(SALU_CYCLE_2) | instskip(SKIP_1) | instid1(SALU_CYCLE_3)
	v_s_rcp_f32 s29, s27
	s_add_f32 s43, s27, -1.0
	s_sub_f32 s25, s25, s43
	s_delay_alu instid0(TRANS32_DEP_1) | instskip(NEXT) | instid1(SALU_CYCLE_3)
	s_mul_f32 s37, s33, s29
	s_mul_f32 s38, s27, s37
	s_delay_alu instid0(SALU_CYCLE_3) | instskip(NEXT) | instid1(VALU_DEP_1)
	s_xor_b32 s44, s38, 0x80000000
	v_frexp_exp_i32_f64_e32 v1, v[1:2]
	s_fmac_f32 s44, s37, s27
	s_wait_alu 0xfffe
	s_delay_alu instid0(SALU_CYCLE_2) | instskip(NEXT) | instid1(SALU_CYCLE_3)
	s_fmac_f32 s44, s37, s25
	s_add_f32 s25, s38, s44
	s_wait_alu 0xfffe
	s_delay_alu instid0(SALU_CYCLE_2) | instskip(SKIP_2) | instid1(SALU_CYCLE_1)
	s_sub_f32 s27, s33, s25
	s_sub_f32 s38, s25, s38
	s_wait_alu 0xfffe
	s_sub_f32 s33, s33, s27
	s_delay_alu instid0(SALU_CYCLE_1) | instskip(NEXT) | instid1(SALU_CYCLE_2)
	s_sub_f32 s38, s38, s44
	s_sub_f32 s25, s33, s25
	s_wait_alu 0xfffe
	s_delay_alu instid0(SALU_CYCLE_2) | instskip(SKIP_2) | instid1(SALU_CYCLE_1)
	s_add_f32 s25, s38, s25
	s_mov_b32 s38, 0x3e76c4e1
	s_wait_alu 0xfffe
	s_add_f32 s25, s27, s25
	s_wait_alu 0xfffe
	s_delay_alu instid0(SALU_CYCLE_2) | instskip(SKIP_1) | instid1(SALU_CYCLE_2)
	s_mul_f32 s25, s29, s25
	s_wait_alu 0xfffe
	s_add_f32 s27, s37, s25
	s_wait_alu 0xfffe
	s_delay_alu instid0(SALU_CYCLE_2) | instskip(SKIP_2) | instid1(SALU_CYCLE_1)
	s_sub_f32 s29, s27, s37
	s_mul_f32 s33, s27, s27
	s_wait_alu 0xfffe
	s_sub_f32 s25, s25, s29
	s_delay_alu instid0(SALU_CYCLE_1) | instskip(SKIP_4) | instid1(SALU_CYCLE_2)
	s_xor_b32 s29, s33, 0x80000000
	s_wait_alu 0xfffe
	s_fmac_f32 s29, s27, s27
	s_add_f32 s37, s25, s25
	s_wait_alu 0xfffe
	s_fmac_f32 s29, s27, s37
	s_wait_alu 0xfffe
	s_delay_alu instid0(SALU_CYCLE_2) | instskip(NEXT) | instid1(SALU_CYCLE_3)
	s_add_f32 s37, s33, s29
	s_fmaak_f32 s38, s37, s38, 0x3e91f4c4
	s_sub_f32 s33, s37, s33
	s_delay_alu instid0(SALU_CYCLE_2) | instskip(NEXT) | instid1(SALU_CYCLE_2)
	s_fmaak_f32 s38, s37, s38, 0x3ecccdef
	s_sub_f32 s29, s29, s33
	s_mul_f32 s33, s27, s37
	s_delay_alu instid0(SALU_CYCLE_1) | instskip(NEXT) | instid1(SALU_CYCLE_2)
	s_mul_f32 s43, s37, s38
	s_xor_b32 s45, s33, 0x80000000
	s_delay_alu instid0(SALU_CYCLE_2) | instskip(SKIP_2) | instid1(SALU_CYCLE_2)
	s_xor_b32 s44, s43, 0x80000000
	s_fmac_f32 s45, s37, s27
	s_fmac_f32 s44, s37, s38
	;; [unrolled: 1-line block ×3, first 2 shown]
	s_wait_alu 0xfffe
	s_delay_alu instid0(SALU_CYCLE_1) | instskip(NEXT) | instid1(SALU_CYCLE_1)
	s_fmac_f32 s44, s29, s38
	s_fmac_f32 s45, s29, s27
	s_delay_alu instid0(SALU_CYCLE_2) | instskip(NEXT) | instid1(SALU_CYCLE_3)
	s_add_f32 s38, s43, s44
	s_sub_f32 s43, s38, s43
	s_add_f32 s46, s38, 0x3f2aaaaa
	s_delay_alu instid0(SALU_CYCLE_2) | instskip(NEXT) | instid1(SALU_CYCLE_2)
	s_sub_f32 s43, s44, s43
	s_add_f32 s44, s46, 0xbf2aaaaa
	s_delay_alu instid0(SALU_CYCLE_2) | instskip(NEXT) | instid1(SALU_CYCLE_2)
	s_add_f32 s37, s43, 0x31739010
	s_sub_f32 s38, s38, s44
	s_delay_alu instid0(SALU_CYCLE_3) | instskip(SKIP_2) | instid1(SALU_CYCLE_1)
	s_add_f32 s29, s37, s38
	s_add_f32 s37, s33, s45
	s_wait_alu 0xfffe
	s_add_f32 s38, s46, s29
	s_delay_alu instid0(SALU_CYCLE_1) | instskip(NEXT) | instid1(SALU_CYCLE_2)
	s_sub_f32 s33, s37, s33
	s_mul_f32 s43, s37, s38
	s_sub_f32 s44, s46, s38
	s_delay_alu instid0(SALU_CYCLE_1) | instskip(NEXT) | instid1(SALU_CYCLE_1)
	s_sub_f32 s33, s45, s33
	s_xor_b32 s46, s43, 0x80000000
	s_delay_alu instid0(SALU_CYCLE_1)
	s_add_f32 s29, s29, s44
	s_fmac_f32 s46, s37, s38
	v_readfirstlane_b32 s44, v1
	v_ldexp_f32 v1, s27, 1
	s_cmp_lg_u32 s26, 0
	s_wait_alu 0xfffe
	s_fmac_f32 s46, s37, s29
	s_sub_co_ci_u32 s26, s44, 0
	v_readfirstlane_b32 s27, v1
	s_delay_alu instid0(SALU_CYCLE_1)
	s_fmac_f32 s46, s33, s38
	s_wait_alu 0xfffe
	s_cvt_f32_i32 s26, s26
	v_ldexp_f32 v1, s25, 1
	s_add_f32 s29, s43, s46
	s_wait_alu 0xfffe
	s_mul_f32 s25, s26, 0x3f317218
	s_delay_alu instid0(VALU_DEP_1)
	v_readfirstlane_b32 s38, v1
	s_add_f32 s33, s27, s29
	s_sub_f32 s37, s29, s43
	s_wait_alu 0xfffe
	s_xor_b32 s43, s25, 0x80000000
	s_sub_f32 s27, s33, s27
	s_sub_f32 s37, s46, s37
	s_fmamk_f32 s43, s26, 0x3f317218, s43
	s_wait_alu 0xfffe
	s_sub_f32 s27, s29, s27
	s_add_f32 s29, s38, s37
	s_fmamk_f32 s26, s26, 0xb102e308, s43
	s_wait_alu 0xfffe
	s_delay_alu instid0(SALU_CYCLE_1) | instskip(NEXT) | instid1(SALU_CYCLE_1)
	s_add_f32 s27, s29, s27
	s_add_f32 s29, s25, s26
	s_wait_alu 0xfffe
	s_delay_alu instid0(SALU_CYCLE_1) | instskip(NEXT) | instid1(SALU_CYCLE_1)
	s_add_f32 s37, s33, s27
	s_sub_f32 s25, s29, s25
	s_delay_alu instid0(SALU_CYCLE_2)
	s_add_f32 s38, s29, s37
	s_sub_f32 s33, s37, s33
	s_wait_alu 0xfffe
	s_sub_f32 s25, s26, s25
	s_sub_f32 s43, s38, s29
	;; [unrolled: 1-line block ×3, first 2 shown]
	s_delay_alu instid0(SALU_CYCLE_2)
	s_sub_f32 s44, s38, s43
	s_sub_f32 s27, s37, s43
	s_wait_alu 0xfffe
	s_add_f32 s33, s25, s26
	s_sub_f32 s29, s29, s44
	s_wait_alu 0xfffe
	s_delay_alu instid0(SALU_CYCLE_2) | instskip(SKIP_2) | instid1(SALU_CYCLE_1)
	s_add_f32 s27, s27, s29
	s_sub_f32 s29, s33, s25
	s_wait_alu 0xfffe
	s_add_f32 s27, s33, s27
	s_delay_alu instid0(SALU_CYCLE_1) | instskip(SKIP_4) | instid1(SALU_CYCLE_2)
	s_sub_f32 s33, s33, s29
	s_sub_f32 s26, s26, s29
	s_wait_alu 0xfffe
	s_add_f32 s37, s38, s27
	s_sub_f32 s25, s25, s33
	s_sub_f32 s29, s37, s38
	s_wait_alu 0xfffe
	s_delay_alu instid0(SALU_CYCLE_1) | instskip(NEXT) | instid1(SALU_CYCLE_1)
	s_add_f32 s25, s26, s25
	s_sub_f32 s26, s27, s29
	s_wait_alu 0xfffe
	s_delay_alu instid0(SALU_CYCLE_2) | instskip(SKIP_1) | instid1(SALU_CYCLE_2)
	s_add_f32 s25, s25, s26
	s_wait_alu 0xfffe
	s_add_f32 s26, s37, s25
	s_wait_alu 0xfffe
	s_delay_alu instid0(SALU_CYCLE_2) | instskip(SKIP_2) | instid1(SALU_CYCLE_1)
	s_mul_f32 s27, s11, s26
	s_sub_f32 s29, s26, s37
	s_wait_alu 0xfffe
	s_xor_b32 s33, s27, 0x80000000
	s_delay_alu instid0(SALU_CYCLE_1) | instskip(SKIP_2) | instid1(SALU_CYCLE_2)
	s_sub_f32 s25, s25, s29
	s_fmac_f32 s33, s11, s26
	s_wait_alu 0xfffe
	s_fmac_f32 s33, s11, s25
	v_cmp_class_f32_e64 s25, s27, 0x204
	s_delay_alu instid0(SALU_CYCLE_2) | instskip(SKIP_2) | instid1(SALU_CYCLE_1)
	s_add_f32 s26, s27, s33
	s_and_b32 s25, s25, exec_lo
	s_wait_alu 0xfffe
	s_sub_f32 s25, s26, s27
	s_cselect_b32 s26, s27, s26
	s_wait_alu 0xfffe
	s_and_b32 s27, s26, 0x7fffffff
	s_sub_f32 s25, s33, s25
	s_wait_alu 0xfffe
	s_cmp_neq_f32 s27, 0x7f800000
	s_delay_alu instid0(SALU_CYCLE_1)
	s_cselect_b32 s25, s25, 0
	s_cmp_eq_f32 s26, 0x42b17218
	s_cselect_b32 s27, 0x37000000, 0
	s_wait_alu 0xfffe
	s_sub_f32 s26, s26, s27
	s_add_f32 s25, s27, s25
	s_wait_alu 0xfffe
	s_delay_alu instid0(SALU_CYCLE_1) | instskip(SKIP_1) | instid1(SALU_CYCLE_2)
	s_mul_f32 s29, s26, 0x3fb8aa3b
	s_wait_alu 0xfffe
	s_xor_b32 s33, s29, 0x80000000
	s_rndne_f32 s37, s29
	s_fmamk_f32 s33, s26, 0x3fb8aa3b, s33
	s_cmp_nlt_f32 s26, 0xc2ce8ed0
	s_delay_alu instid0(SALU_CYCLE_1) | instskip(NEXT) | instid1(SALU_CYCLE_1)
	s_sub_f32 s29, s29, s37
	s_fmamk_f32 s33, s26, 0x32a5705f, s33
	s_cselect_b32 vcc_lo, -1, 0
	s_cmp_ngt_f32 s26, 0x42b17218
	s_trunc_f32 s26, s11
	s_wait_alu 0xfffe
	s_add_f32 s29, s29, s33
	s_cvt_i32_f32 s33, s37
	s_wait_alu 0xfffe
	s_delay_alu instid0(SALU_CYCLE_1) | instskip(SKIP_1) | instid1(TRANS32_DEP_1)
	v_s_exp_f32 s29, s29
	s_wait_alu 0xf1ff
	v_ldexp_f32 v1, s29, s33
	s_mul_f32 s29, s11, 0.5
	s_delay_alu instid0(VALU_DEP_1)
	v_cndmask_b32_e32 v1, 0, v1, vcc_lo
	s_cselect_b32 vcc_lo, -1, 0
	s_cmp_eq_f32 s26, s11
	s_wait_alu 0xfffe
	s_trunc_f32 s33, s29
	v_cndmask_b32_e32 v1, 0x7f800000, v1, vcc_lo
	s_cselect_b32 s37, -1, 0
	s_wait_alu 0xfffe
	s_cmp_neq_f32 s33, s29
	s_delay_alu instid0(VALU_DEP_1)
	v_fma_f32 v2, s25, v1, v1
	v_cmp_class_f32_e64 vcc_lo, v1, 0x204
	s_cselect_b32 s27, -1, 0
	s_wait_alu 0xfffe
	s_and_b32 s25, s37, s27
	s_wait_alu 0xfffd
	v_cndmask_b32_e32 v1, v2, v1, vcc_lo
	s_wait_alu 0xfffe
	s_and_b32 s27, s25, exec_lo
	s_cselect_b32 s27, s10, 1.0
	s_cmp_eq_f32 s26, s11
	v_cmp_class_f32_e64 s26, s10, 0x204
	s_wait_alu 0xfffe
	v_bfi_b32 v1, 0x7fffffff, v1, s27
	s_cselect_b32 vcc_lo, -1, 0
	s_cmp_lt_f32 s10, 0
	s_wait_alu 0xfffe
	s_delay_alu instid0(VALU_DEP_1) | instskip(SKIP_3) | instid1(VALU_DEP_1)
	v_cndmask_b32_e32 v2, 0x7fc00000, v1, vcc_lo
	s_cselect_b32 vcc_lo, -1, 0
	s_cmp_eq_f32 s10, 0
	s_wait_alu 0xfffe
	v_cndmask_b32_e32 v1, v1, v2, vcc_lo
	s_cselect_b32 s27, -1, 0
	s_wait_alu 0xfffe
	s_or_b32 vcc_lo, s27, s26
	s_cmp_lt_f32 s11, 0
	s_cselect_b32 s11, -1, 0
	s_wait_alu 0xfffe
	s_xor_b32 s11, s11, s27
	s_wait_alu 0xfffe
	s_and_b32 s11, s11, exec_lo
	s_cselect_b32 s11, 0, 0x7f800000
	s_and_b32 s25, s25, exec_lo
	s_cselect_b32 s25, s10, 0
	s_cmp_o_f32 s10, s10
	s_wait_alu 0xfffe
	v_mov_b32_e32 v2, s25
	s_delay_alu instid0(VALU_DEP_1) | instskip(NEXT) | instid1(VALU_DEP_1)
	v_bfi_b32 v2, 0x7fffffff, s11, v2
	v_cndmask_b32_e32 v1, v1, v2, vcc_lo
	s_cselect_b32 vcc_lo, -1, 0
	s_wait_alu 0xfffe
	s_delay_alu instid0(VALU_DEP_1)
	v_cndmask_b32_e32 v25, 0x7fc00000, v1, vcc_lo
.LBB62_4:
	v_bfe_u32 v24, v0, 10, 10
	s_lshl_b32 s33, ttmp9, 3
	s_load_b96 s[44:46], s[0:1], 0x70
	v_and_b32_e32 v115, 0x3ff, v0
	s_ashr_i32 s29, s28, 31
	v_lshlrev_b32_e32 v112, 1, v24
	v_lshlrev_b32_e32 v30, 9, v24
	v_mov_b32_e32 v122, 0
	s_delay_alu instid0(VALU_DEP_3) | instskip(SKIP_1) | instid1(VALU_DEP_2)
	v_add_nc_u32_e32 v114, s33, v112
	v_or_b32_e32 v110, 1, v112
	v_mul_hi_u32 v1, v114, s20
	s_delay_alu instid0(VALU_DEP_2) | instskip(NEXT) | instid1(VALU_DEP_1)
	v_add_nc_u32_e32 v111, s33, v110
	v_mul_hi_u32 v2, v111, s20
	s_wait_kmcnt 0x0
	s_mul_i32 s10, s28, s45
	s_delay_alu instid0(VALU_DEP_3)
	v_add_nc_u32_e32 v1, v114, v1
	s_ashr_i32 s45, s44, 31
	s_wait_alu 0xfffe
	s_ashr_i32 s11, s10, 31
	s_lshr_b64 s[26:27], s[44:45], 2
	s_lshr_b32 s25, s45, 2
	v_lshrrev_b32_e32 v1, s21, v1
	v_add_nc_u32_e32 v2, v111, v2
	s_delay_alu instid0(VALU_DEP_2) | instskip(NEXT) | instid1(VALU_DEP_2)
	v_mul_lo_u32 v1, v1, s22
	v_lshrrev_b32_e32 v2, s21, v2
	s_delay_alu instid0(VALU_DEP_1) | instskip(NEXT) | instid1(VALU_DEP_3)
	v_mul_lo_u32 v3, v2, s22
	v_sub_nc_u32_e32 v29, v114, v1
	s_wait_alu 0xfffe
	s_delay_alu instid0(VALU_DEP_1) | instskip(NEXT) | instid1(VALU_DEP_1)
	v_mad_co_u64_u32 v[1:2], null, s26, v29, 0
	v_mov_b32_e32 v0, v2
	s_delay_alu instid0(VALU_DEP_4) | instskip(NEXT) | instid1(VALU_DEP_2)
	v_sub_nc_u32_e32 v7, v111, v3
	v_mad_co_u64_u32 v[5:6], null, s25, v29, v[0:1]
	s_delay_alu instid0(VALU_DEP_2)
	v_mad_co_u64_u32 v[3:4], null, s26, v7, 0
	s_mul_i32 s26, s30, s46
	s_wait_alu 0xfffe
	s_ashr_i32 s27, s26, 31
	v_mov_b32_e32 v2, v5
	v_lshlrev_b32_e32 v6, 4, v115
	v_mov_b32_e32 v0, v4
	s_wait_alu 0xfffe
	s_add_nc_u64 s[4:5], s[4:5], s[26:27]
	v_lshlrev_b32_e32 v117, 3, v115
	s_add_nc_u64 s[4:5], s[4:5], s[10:11]
	s_ashr_i32 s10, s31, 31
	v_mad_co_u64_u32 v[4:5], null, s25, v7, v[0:1]
	v_lshlrev_b64_e32 v[0:1], 2, v[1:2]
	v_add_co_u32 v6, s4, s4, v6
	s_wait_alu 0xf1ff
	v_add_co_ci_u32_e64 v7, null, s5, 0, s4
	v_add_nc_u32_e32 v8, 0x2400, v117
	v_lshlrev_b64_e32 v[4:5], 2, v[3:4]
	v_add_co_u32 v0, vcc_lo, v6, v0
	s_wait_alu 0xfffd
	v_add_co_ci_u32_e64 v1, null, v7, v1, vcc_lo
	v_add_nc_u32_e32 v9, v8, v30
	s_delay_alu instid0(VALU_DEP_4)
	v_add_co_u32 v4, vcc_lo, v6, v4
	s_wait_alu 0xfffd
	v_add_co_ci_u32_e64 v5, null, v7, v5, vcc_lo
	global_load_b128 v[0:3], v[0:1], off
	s_mul_u64 s[4:5], s[2:3], s[40:41]
	s_mov_b32 s31, 0
	global_load_b128 v[4:7], v[4:5], off
	s_cmp_eq_u64 s[14:15], 0
	s_wait_loadcnt 0x1
	v_fma_mixlo_f16 v1, s24, v1, 0
	v_fma_mixlo_f16 v0, s24, v0, 0
	;; [unrolled: 1-line block ×3, first 2 shown]
	s_wait_loadcnt 0x0
	v_fma_mixlo_f16 v5, s24, v5, 0
	v_fma_mixlo_f16 v4, s24, v4, 0
	v_fma_mixlo_f16 v3, s24, v3, 0
	v_lshlrev_b32_e32 v1, 16, v1
	v_and_b32_e32 v0, 0xffff, v0
	v_fma_mixlo_f16 v6, s24, v6, 0
	v_fma_mixlo_f16 v7, s24, v7, 0
	v_lshlrev_b32_e32 v5, 16, v5
	v_and_b32_e32 v4, 0xffff, v4
	v_lshlrev_b32_e32 v3, 16, v3
	v_and_b32_e32 v2, 0xffff, v2
	v_or_b32_e32 v0, v1, v0
	v_lshlrev_b32_e32 v7, 16, v7
	v_and_b32_e32 v6, 0xffff, v6
	v_or_b32_e32 v4, v5, v4
	v_or3_b32 v1, v3, v2, 0
	v_or3_b32 v0, 0, 0, v0
	v_lshl_add_u32 v5, v110, 8, v8
	v_or3_b32 v3, v7, v6, 0
	v_or3_b32 v2, 0, 0, v4
	ds_store_b64 v9, v[0:1]
	ds_store_b64 v5, v[2:3]
	s_wait_dscnt 0x0
	s_barrier_signal -1
	s_barrier_wait -1
	global_inv scope:SCOPE_SE
	s_cbranch_scc1 .LBB62_6
; %bb.5:
	s_load_b32 s3, s[0:1], 0xd0
	s_mov_b32 s25, s31
	s_wait_kmcnt 0x0
	s_mul_i32 s3, s3, s30
	s_wait_alu 0xfffe
	s_add_co_i32 s24, s3, ttmp9
	s_wait_alu 0xfffe
	s_lshl_b64 s[24:25], s[24:25], 2
	s_wait_alu 0xfffe
	s_add_nc_u64 s[14:15], s[14:15], s[24:25]
	s_load_b32 s36, s[14:15], 0x0
.LBB62_6:
	s_clause 0x2
	s_load_b64 s[14:15], s[0:1], 0x8c
	s_load_b128 s[24:27], s[0:1], 0x98
	s_load_b64 s[40:41], s[0:1], 0xa8
	s_mul_i32 s3, s5, s42
	s_ashr_i32 s37, s39, 1
	s_wait_alu 0xfffe
	s_sub_co_i32 s39, s2, s3
	s_xor_b32 s11, s29, s10
	s_add_co_i32 s38, s5, 1
	s_sub_co_i32 s43, s39, s42
	v_lshlrev_b32_e32 v113, 2, v115
	v_lshrrev_b32_e32 v33, 3, v115
	v_mul_u32_u24_e32 v31, 0x90, v115
	v_or_b32_e32 v28, 1, v114
	v_lshrrev_b32_e32 v26, 4, v115
	v_mbcnt_lo_u32_b32 v116, -1, 0
	v_and_b32_e32 v32, 28, v113
	v_and_b32_e32 v27, 60, v113
	s_wait_kmcnt 0x0
	s_ashr_i32 s4, s14, 2
	s_ashr_i32 s10, s26, 2
	s_cmp_ge_u32 s39, s42
	s_mul_u64 s[2:3], s[24:25], s[30:31]
	s_cselect_b32 s5, s38, s5
	s_wait_alu 0xfffe
	s_add_nc_u64 s[2:3], s[6:7], s[2:3]
	s_cselect_b32 s6, s43, s39
	s_add_co_i32 s7, s5, 1
	s_cmp_ge_u32 s6, s42
	s_mul_u64 s[24:25], s[40:41], s[30:31]
	s_cselect_b32 s5, s7, s5
	s_wait_alu 0xfffe
	s_add_nc_u64 s[8:9], s[8:9], s[24:25]
	s_xor_b32 s5, s5, s11
	s_and_b32 s6, ttmp7, 0xffff
	s_wait_alu 0xfffe
	s_sub_co_i32 s5, s5, s11
	s_sub_co_i32 s7, s36, 64
	s_wait_alu 0xfffe
	s_mul_i32 s24, s5, s15
	s_mul_i32 s26, s5, s27
	s_lshl_b32 s14, s6, 6
	s_wait_alu 0xfffe
	s_ashr_i32 s25, s24, 31
	s_ashr_i32 s27, s26, 31
	s_wait_alu 0xfffe
	s_add_nc_u64 s[24:25], s[2:3], s[24:25]
	s_cmp_ge_i32 s14, s7
	s_add_nc_u64 s[8:9], s[8:9], s[26:27]
	s_cbranch_scc1 .LBB62_19
; %bb.7:
	v_mul_hi_u32 v2, s20, v28
	v_lshl_add_u32 v1, v24, 2, v33
	v_mov_b32_e32 v119, 0
	v_dual_mov_b32 v118, 0 :: v_dual_lshlrev_b32 v3, 2, v32
	v_dual_mov_b32 v120, 0 :: v_dual_add_nc_u32 v5, v26, v112
	s_delay_alu instid0(VALU_DEP_4) | instskip(SKIP_1) | instid1(VALU_DEP_4)
	v_mul_lo_u32 v0, s4, v1
	v_add_nc_u32_e32 v4, v28, v2
	v_mad_u32_u24 v34, 0x90, v1, v3
	s_ashr_i32 s5, s4, 31
	s_lshl_b32 s2, s4, 4
	s_cmp_lg_u64 s[34:35], 0
	v_lshrrev_b32_e32 v1, s21, v4
	v_mul_lo_u32 v4, s10, v5
	s_cselect_b32 s31, -1, 0
	s_lshl_b32 s3, s10, 3
	s_wait_alu 0xfffe
	v_dual_mov_b32 v121, 0 :: v_dual_add_nc_u32 v2, s2, v0
	v_mul_lo_u32 v9, v1, s22
	v_dual_mov_b32 v51, 0xfeffffff :: v_dual_lshlrev_b32 v8, 2, v27
	s_delay_alu instid0(VALU_DEP_4) | instskip(NEXT) | instid1(VALU_DEP_4)
	v_add_nc_u32_e32 v18, s3, v4
	v_dual_mov_b32 v49, 0 :: v_dual_add_nc_u32 v6, s2, v2
	v_ashrrev_i32_e32 v1, 31, v0
	v_ashrrev_i32_e32 v3, 31, v2
	s_delay_alu instid0(VALU_DEP_4) | instskip(NEXT) | instid1(VALU_DEP_4)
	v_add_nc_u32_e32 v20, s3, v18
	v_add_nc_u32_e32 v14, s2, v6
	v_sub_nc_u32_e32 v9, v28, v9
	v_ashrrev_i32_e32 v7, 31, v6
	v_lshl_or_b32 v40, v5, 8, v8
	v_add_nc_u32_e32 v22, s3, v20
	v_ashrrev_i32_e32 v15, 31, v14
	v_ashrrev_i32_e32 v5, 31, v4
	;; [unrolled: 1-line block ×5, first 2 shown]
	v_mul_lo_u32 v39, v29, s37
	v_mul_lo_u32 v41, v9, s37
	v_lshlrev_b64_e32 v[8:9], 2, v[0:1]
	v_lshlrev_b64_e32 v[10:11], 2, v[2:3]
	;; [unrolled: 1-line block ×8, first 2 shown]
	v_dual_mov_b32 v50, 0 :: v_dual_add_nc_u32 v35, 0x900, v34
	v_add_nc_u32_e32 v36, 0x1200, v34
	v_add_nc_u32_e32 v37, 0x1b00, v34
	;; [unrolled: 1-line block ×3, first 2 shown]
	v_lshl_add_u32 v42, v24, 8, 0x2c00
	v_add_nc_u32_e32 v43, 0x800, v40
	v_add_nc_u32_e32 v44, 0x1000, v40
	v_add_nc_u32_e32 v45, 0x1800, v40
	v_lshlrev_b32_e32 v46, 2, v32
	v_dual_mov_b32 v52, 0xfeffffff :: v_dual_lshlrev_b32 v47, 2, v27
	v_mbcnt_lo_u32_b32 v48, -1, 0
	s_ashr_i32 s11, s10, 31
	s_add_nc_u64 s[26:27], s[0:1], 0xd0
.LBB62_8:                               ; =>This Inner Loop Header: Depth=1
	s_ashr_i32 s15, s14, 31
	s_wait_alu 0xfffe
	s_mul_u64 s[2:3], s[14:15], s[4:5]
	s_wait_alu 0xfffe
	s_lshl_b64 s[2:3], s[2:3], 2
	s_wait_alu 0xfffe
	s_add_nc_u64 s[2:3], s[24:25], s[2:3]
	s_wait_alu 0xfffe
	v_add_co_u32 v0, vcc_lo, s2, v8
	s_wait_alu 0xfffd
	v_add_co_ci_u32_e64 v1, null, s3, v9, vcc_lo
	v_add_co_u32 v2, vcc_lo, s2, v10
	s_wait_alu 0xfffd
	v_add_co_ci_u32_e64 v3, null, s3, v11, vcc_lo
	;; [unrolled: 3-line block ×8, first 2 shown]
	s_clause 0x3
	global_load_b128 v[53:56], v[0:1], off
	global_load_b128 v[57:60], v[2:3], off
	;; [unrolled: 1-line block ×4, first 2 shown]
	s_and_not1_b32 vcc_lo, exec_lo, s31
	s_wait_loadcnt 0x3
	ds_store_b128 v34, v[53:56]
	s_wait_loadcnt 0x2
	ds_store_b128 v35, v[57:60]
	s_wait_loadcnt 0x1
	ds_store_b128 v36, v[61:64]
	s_wait_loadcnt 0x0
	ds_store_b128 v37, v[65:68]
	s_wait_dscnt 0x0
	s_barrier_signal -1
	s_barrier_wait -1
	global_inv scope:SCOPE_SE
	ds_load_b128 v[57:60], v31
	ds_load_b128 v[61:64], v38
	ds_load_b128 v[65:68], v38 offset:256
	ds_load_b128 v[69:72], v31 offset:4608
	v_dual_mov_b32 v55, 0 :: v_dual_mov_b32 v56, 0
	s_wait_dscnt 0x2
	;;#ASMSTART
	v_dot2_f32_f16 v55, v57, v61, v55
	;;#ASMEND
	;;#ASMSTART
	v_dot2_f32_f16 v55, v58, v62, v55
	;;#ASMEND
	v_dual_mov_b32 v53, 0 :: v_dual_mov_b32 v54, 0
	;;#ASMSTART
	v_dot2_f32_f16 v55, v59, v63, v55
	;;#ASMEND
	;;#ASMSTART
	v_dot2_f32_f16 v55, v60, v64, v55
	;;#ASMEND
	s_wait_dscnt 0x1
	;;#ASMSTART
	v_dot2_f32_f16 v53, v57, v65, v53
	;;#ASMEND
	;;#ASMSTART
	v_dot2_f32_f16 v53, v58, v66, v53
	;;#ASMEND
	;;#ASMSTART
	v_dot2_f32_f16 v53, v59, v67, v53
	;;#ASMEND
	;;#ASMSTART
	v_dot2_f32_f16 v53, v60, v68, v53
	;;#ASMEND
	s_wait_dscnt 0x0
	;;#ASMSTART
	v_dot2_f32_f16 v56, v69, v61, v56
	;;#ASMEND
	;;#ASMSTART
	v_dot2_f32_f16 v56, v70, v62, v56
	;;#ASMEND
	;;#ASMSTART
	v_dot2_f32_f16 v56, v71, v63, v56
	;;#ASMEND
	;;#ASMSTART
	v_dot2_f32_f16 v56, v72, v64, v56
	;;#ASMEND
	;;#ASMSTART
	v_dot2_f32_f16 v54, v69, v65, v54
	;;#ASMEND
	;;#ASMSTART
	v_dot2_f32_f16 v54, v70, v66, v54
	;;#ASMEND
	;;#ASMSTART
	v_dot2_f32_f16 v54, v71, v67, v54
	;;#ASMEND
	;;#ASMSTART
	v_dot2_f32_f16 v54, v72, v68, v54
	;;#ASMEND
	ds_load_b128 v[57:60], v31 offset:16
	ds_load_b128 v[61:64], v38 offset:16
	ds_load_b128 v[65:68], v38 offset:272
	ds_load_b128 v[69:72], v31 offset:4624
	s_wait_dscnt 0x2
	;;#ASMSTART
	v_dot2_f32_f16 v55, v57, v61, v55
	;;#ASMEND
	;;#ASMSTART
	v_dot2_f32_f16 v55, v58, v62, v55
	;;#ASMEND
	;;#ASMSTART
	v_dot2_f32_f16 v55, v59, v63, v55
	;;#ASMEND
	;;#ASMSTART
	v_dot2_f32_f16 v55, v60, v64, v55
	;;#ASMEND
	s_wait_dscnt 0x1
	;;#ASMSTART
	v_dot2_f32_f16 v53, v57, v65, v53
	;;#ASMEND
	;;#ASMSTART
	v_dot2_f32_f16 v53, v58, v66, v53
	;;#ASMEND
	;;#ASMSTART
	v_dot2_f32_f16 v53, v59, v67, v53
	;;#ASMEND
	;;#ASMSTART
	v_dot2_f32_f16 v53, v60, v68, v53
	;;#ASMEND
	s_wait_dscnt 0x0
	;;#ASMSTART
	v_dot2_f32_f16 v56, v69, v61, v56
	;;#ASMEND
	;;#ASMSTART
	v_dot2_f32_f16 v56, v70, v62, v56
	;;#ASMEND
	;;#ASMSTART
	v_dot2_f32_f16 v56, v71, v63, v56
	;;#ASMEND
	;;#ASMSTART
	v_dot2_f32_f16 v56, v72, v64, v56
	;;#ASMEND
	;;#ASMSTART
	v_dot2_f32_f16 v54, v69, v65, v54
	;;#ASMEND
	;;#ASMSTART
	v_dot2_f32_f16 v54, v70, v66, v54
	;;#ASMEND
	;;#ASMSTART
	v_dot2_f32_f16 v54, v71, v67, v54
	;;#ASMEND
	;;#ASMSTART
	v_dot2_f32_f16 v54, v72, v68, v54
	;;#ASMEND
	ds_load_b128 v[57:60], v31 offset:32
	ds_load_b128 v[61:64], v38 offset:32
	ds_load_b128 v[65:68], v38 offset:288
	ds_load_b128 v[69:72], v31 offset:4640
	s_wait_dscnt 0x2
	;;#ASMSTART
	v_dot2_f32_f16 v55, v57, v61, v55
	;;#ASMEND
	;;#ASMSTART
	v_dot2_f32_f16 v55, v58, v62, v55
	;;#ASMEND
	;; [unrolled: 55-line block ×7, first 2 shown]
	;;#ASMSTART
	v_dot2_f32_f16 v55, v59, v63, v55
	;;#ASMEND
	;;#ASMSTART
	v_dot2_f32_f16 v55, v60, v64, v55
	;;#ASMEND
	s_wait_dscnt 0x1
	;;#ASMSTART
	v_dot2_f32_f16 v53, v57, v65, v53
	;;#ASMEND
	;;#ASMSTART
	v_dot2_f32_f16 v53, v58, v66, v53
	;;#ASMEND
	;; [unrolled: 3-line block ×4, first 2 shown]
	s_wait_dscnt 0x0
	;;#ASMSTART
	v_dot2_f32_f16 v56, v69, v61, v56
	;;#ASMEND
	;;#ASMSTART
	v_dot2_f32_f16 v56, v70, v62, v56
	;;#ASMEND
	;; [unrolled: 3-line block ×8, first 2 shown]
	s_wait_loadcnt 0x0
	s_barrier_signal -1
	s_barrier_wait -1
	global_inv scope:SCOPE_SE
	s_clause 0x3
	global_load_b128 v[57:60], v[0:1], off offset:128
	global_load_b128 v[0:3], v[2:3], off offset:128
	;; [unrolled: 1-line block ×4, first 2 shown]
	s_wait_loadcnt 0x3
	ds_store_b128 v34, v[57:60]
	s_wait_loadcnt 0x2
	ds_store_b128 v35, v[0:3]
	;; [unrolled: 2-line block ×4, first 2 shown]
	s_wait_dscnt 0x0
	s_barrier_signal -1
	s_barrier_wait -1
	global_inv scope:SCOPE_SE
	ds_load_b128 v[0:3], v31
	ds_load_b128 v[4:7], v38 offset:128
	ds_load_b128 v[57:60], v38 offset:384
	ds_load_b128 v[61:64], v31 offset:4608
	s_wait_dscnt 0x2
	;;#ASMSTART
	v_dot2_f32_f16 v55, v0, v4, v55
	;;#ASMEND
	;;#ASMSTART
	v_dot2_f32_f16 v55, v1, v5, v55
	;;#ASMEND
	;;#ASMSTART
	v_dot2_f32_f16 v55, v2, v6, v55
	;;#ASMEND
	;;#ASMSTART
	v_dot2_f32_f16 v55, v3, v7, v55
	;;#ASMEND
	s_wait_dscnt 0x1
	;;#ASMSTART
	v_dot2_f32_f16 v53, v0, v57, v53
	;;#ASMEND
	;;#ASMSTART
	v_dot2_f32_f16 v53, v1, v58, v53
	;;#ASMEND
	;;#ASMSTART
	v_dot2_f32_f16 v53, v2, v59, v53
	;;#ASMEND
	;;#ASMSTART
	v_dot2_f32_f16 v53, v3, v60, v53
	;;#ASMEND
	s_wait_dscnt 0x0
	;;#ASMSTART
	v_dot2_f32_f16 v56, v61, v4, v56
	;;#ASMEND
	;;#ASMSTART
	v_dot2_f32_f16 v56, v62, v5, v56
	;;#ASMEND
	;;#ASMSTART
	v_dot2_f32_f16 v56, v63, v6, v56
	;;#ASMEND
	;;#ASMSTART
	v_dot2_f32_f16 v56, v64, v7, v56
	;;#ASMEND
	;;#ASMSTART
	v_dot2_f32_f16 v54, v61, v57, v54
	;;#ASMEND
	;;#ASMSTART
	v_dot2_f32_f16 v54, v62, v58, v54
	;;#ASMEND
	;;#ASMSTART
	v_dot2_f32_f16 v54, v63, v59, v54
	;;#ASMEND
	;;#ASMSTART
	v_dot2_f32_f16 v54, v64, v60, v54
	;;#ASMEND
	ds_load_b128 v[0:3], v31 offset:16
	ds_load_b128 v[4:7], v38 offset:144
	ds_load_b128 v[57:60], v38 offset:400
	ds_load_b128 v[61:64], v31 offset:4624
	s_wait_dscnt 0x2
	;;#ASMSTART
	v_dot2_f32_f16 v55, v0, v4, v55
	;;#ASMEND
	;;#ASMSTART
	v_dot2_f32_f16 v55, v1, v5, v55
	;;#ASMEND
	;;#ASMSTART
	v_dot2_f32_f16 v55, v2, v6, v55
	;;#ASMEND
	;;#ASMSTART
	v_dot2_f32_f16 v55, v3, v7, v55
	;;#ASMEND
	s_wait_dscnt 0x1
	;;#ASMSTART
	v_dot2_f32_f16 v53, v0, v57, v53
	;;#ASMEND
	;;#ASMSTART
	v_dot2_f32_f16 v53, v1, v58, v53
	;;#ASMEND
	;;#ASMSTART
	v_dot2_f32_f16 v53, v2, v59, v53
	;;#ASMEND
	;;#ASMSTART
	v_dot2_f32_f16 v53, v3, v60, v53
	;;#ASMEND
	s_wait_dscnt 0x0
	;;#ASMSTART
	v_dot2_f32_f16 v56, v61, v4, v56
	;;#ASMEND
	;;#ASMSTART
	v_dot2_f32_f16 v56, v62, v5, v56
	;;#ASMEND
	;;#ASMSTART
	v_dot2_f32_f16 v56, v63, v6, v56
	;;#ASMEND
	;;#ASMSTART
	v_dot2_f32_f16 v56, v64, v7, v56
	;;#ASMEND
	;;#ASMSTART
	v_dot2_f32_f16 v54, v61, v57, v54
	;;#ASMEND
	;;#ASMSTART
	v_dot2_f32_f16 v54, v62, v58, v54
	;;#ASMEND
	;;#ASMSTART
	v_dot2_f32_f16 v54, v63, v59, v54
	;;#ASMEND
	;;#ASMSTART
	v_dot2_f32_f16 v54, v64, v60, v54
	;;#ASMEND
	ds_load_b128 v[0:3], v31 offset:32
	;; [unrolled: 55-line block ×7, first 2 shown]
	ds_load_b128 v[60:63], v38 offset:240
	ds_load_b128 v[64:67], v38 offset:496
	;; [unrolled: 1-line block ×3, first 2 shown]
	v_dual_mov_b32 v2, 0 :: v_dual_add_nc_u32 v59, s14, v115
	s_wait_dscnt 0x2
	;;#ASMSTART
	v_dot2_f32_f16 v55, v3, v60, v55
	;;#ASMEND
	;;#ASMSTART
	v_dot2_f32_f16 v55, v4, v61, v55
	;;#ASMEND
	s_delay_alu instid0(VALU_DEP_1)
	v_add_nc_u32_e32 v0, v59, v39
	;;#ASMSTART
	v_dot2_f32_f16 v55, v5, v62, v55
	;;#ASMEND
	;;#ASMSTART
	v_dot2_f32_f16 v55, v6, v63, v55
	;;#ASMEND
	s_wait_dscnt 0x1
	;;#ASMSTART
	v_dot2_f32_f16 v53, v3, v64, v53
	;;#ASMEND
	;;#ASMSTART
	v_dot2_f32_f16 v53, v4, v65, v53
	;;#ASMEND
	;; [unrolled: 3-line block ×4, first 2 shown]
	s_wait_dscnt 0x0
	;;#ASMSTART
	v_dot2_f32_f16 v56, v68, v60, v56
	;;#ASMEND
	v_ashrrev_i32_e32 v1, 31, v0
	;;#ASMSTART
	v_dot2_f32_f16 v56, v69, v61, v56
	;;#ASMEND
	;;#ASMSTART
	v_dot2_f32_f16 v56, v70, v62, v56
	;;#ASMEND
	;; [unrolled: 3-line block ×7, first 2 shown]
	s_wait_alu 0xfffe
	s_cbranch_vccnz .LBB62_10
; %bb.9:                                ;   in Loop: Header=BB62_8 Depth=1
	v_lshlrev_b64_e32 v[2:3], 1, v[0:1]
	s_delay_alu instid0(VALU_DEP_1) | instskip(SKIP_1) | instid1(VALU_DEP_2)
	v_add_co_u32 v2, vcc_lo, s34, v2
	s_wait_alu 0xfffd
	v_add_co_ci_u32_e64 v3, null, s35, v3, vcc_lo
	global_load_u16 v2, v[2:3], off
	s_wait_loadcnt 0x0
	v_cvt_f32_f16_e32 v2, v2
	s_delay_alu instid0(VALU_DEP_1)
	v_mul_f32_e32 v2, v25, v2
.LBB62_10:                              ;   in Loop: Header=BB62_8 Depth=1
	v_mov_b32_e32 v57, 0
	v_mov_b32_e32 v3, 0
	s_and_not1_b32 vcc_lo, exec_lo, s31
	s_wait_alu 0xfffe
	s_cbranch_vccnz .LBB62_12
; %bb.11:                               ;   in Loop: Header=BB62_8 Depth=1
	v_lshlrev_b64_e32 v[0:1], 1, v[0:1]
	s_delay_alu instid0(VALU_DEP_1) | instskip(SKIP_1) | instid1(VALU_DEP_2)
	v_add_co_u32 v0, vcc_lo, s34, v0
	s_wait_alu 0xfffd
	v_add_co_ci_u32_e64 v1, null, s35, v1, vcc_lo
	global_load_u16 v0, v[0:1], off offset:64
	s_wait_loadcnt 0x0
	v_cvt_f32_f16_e32 v0, v0
	s_delay_alu instid0(VALU_DEP_1)
	v_mul_f32_e32 v3, v25, v0
.LBB62_12:                              ;   in Loop: Header=BB62_8 Depth=1
	v_xor_b32_e32 v0, 16, v48
	s_delay_alu instid0(VALU_DEP_2) | instskip(NEXT) | instid1(VALU_DEP_2)
	v_dual_add_f32 v2, v55, v2 :: v_dual_add_f32 v3, v56, v3
	v_cmp_gt_i32_e32 vcc_lo, 32, v0
	s_wait_alu 0xfffd
	s_delay_alu instid0(VALU_DEP_2) | instskip(NEXT) | instid1(VALU_DEP_1)
	v_dual_add_f32 v1, 0x40051340, v2 :: v_dual_cndmask_b32 v0, v48, v0
	v_dual_add_f32 v4, 0x40051340, v3 :: v_dual_lshlrev_b32 v55, 2, v0
	s_delay_alu instid0(VALU_DEP_1)
	v_max3_num_f32 v0, v51, v1, v4
	v_xor_b32_e32 v4, 8, v48
	ds_bpermute_b32 v1, v55, v0
	v_cmp_gt_i32_e32 vcc_lo, 32, v4
	s_wait_dscnt 0x0
	s_wait_alu 0xfffd
	v_dual_cndmask_b32 v4, v48, v4 :: v_dual_max_num_f32 v1, v1, v1
	s_delay_alu instid0(VALU_DEP_1) | instskip(SKIP_1) | instid1(VALU_DEP_1)
	v_lshlrev_b32_e32 v56, 2, v4
	v_xor_b32_e32 v4, 4, v48
	v_cmp_gt_i32_e32 vcc_lo, 32, v4
	s_wait_alu 0xfffd
	v_cndmask_b32_e32 v4, v48, v4, vcc_lo
	s_delay_alu instid0(VALU_DEP_1) | instskip(SKIP_1) | instid1(VALU_DEP_1)
	v_lshlrev_b32_e32 v58, 2, v4
	v_xor_b32_e32 v4, 2, v48
	v_cmp_gt_i32_e32 vcc_lo, 32, v4
	s_wait_alu 0xfffd
	v_cndmask_b32_e32 v4, v48, v4, vcc_lo
	s_delay_alu instid0(VALU_DEP_1) | instskip(SKIP_2) | instid1(VALU_DEP_1)
	v_dual_max_num_f32 v0, v0, v1 :: v_dual_lshlrev_b32 v7, 2, v4
	ds_bpermute_b32 v1, v56, v0
	v_xor_b32_e32 v4, 1, v48
	v_cmp_gt_i32_e32 vcc_lo, 32, v4
	s_wait_alu 0xfffd
	v_cndmask_b32_e32 v4, v48, v4, vcc_lo
	s_and_not1_b32 vcc_lo, exec_lo, s31
	s_delay_alu instid0(VALU_DEP_1) | instskip(SKIP_2) | instid1(VALU_DEP_1)
	v_lshlrev_b32_e32 v5, 2, v4
	s_wait_dscnt 0x0
	v_max_num_f32_e32 v1, v1, v1
	v_max_num_f32_e32 v0, v0, v1
	ds_bpermute_b32 v1, v58, v0
	s_wait_dscnt 0x0
	v_max_num_f32_e32 v1, v1, v1
	s_delay_alu instid0(VALU_DEP_1) | instskip(SKIP_3) | instid1(VALU_DEP_1)
	v_max_num_f32_e32 v0, v0, v1
	ds_bpermute_b32 v1, v7, v0
	s_wait_dscnt 0x0
	v_max_num_f32_e32 v1, v1, v1
	v_max_num_f32_e32 v4, v0, v1
	v_add_nc_u32_e32 v0, v59, v41
	ds_bpermute_b32 v6, v5, v4
	v_ashrrev_i32_e32 v1, 31, v0
	s_wait_alu 0xfffe
	s_cbranch_vccnz .LBB62_14
; %bb.13:                               ;   in Loop: Header=BB62_8 Depth=1
	s_delay_alu instid0(VALU_DEP_1) | instskip(NEXT) | instid1(VALU_DEP_1)
	v_lshlrev_b64_e32 v[59:60], 1, v[0:1]
	v_add_co_u32 v59, vcc_lo, s34, v59
	s_wait_alu 0xfffd
	s_delay_alu instid0(VALU_DEP_2) | instskip(SKIP_3) | instid1(VALU_DEP_1)
	v_add_co_ci_u32_e64 v60, null, s35, v60, vcc_lo
	global_load_u16 v57, v[59:60], off
	s_wait_loadcnt 0x0
	v_cvt_f32_f16_e32 v57, v57
	v_mul_f32_e32 v57, v25, v57
.LBB62_14:                              ;   in Loop: Header=BB62_8 Depth=1
	s_and_not1_b32 vcc_lo, exec_lo, s31
	s_wait_alu 0xfffe
	s_cbranch_vccnz .LBB62_16
; %bb.15:                               ;   in Loop: Header=BB62_8 Depth=1
	v_lshlrev_b64_e32 v[0:1], 1, v[0:1]
	s_delay_alu instid0(VALU_DEP_1) | instskip(SKIP_1) | instid1(VALU_DEP_2)
	v_add_co_u32 v0, vcc_lo, s34, v0
	s_wait_alu 0xfffd
	v_add_co_ci_u32_e64 v1, null, s35, v1, vcc_lo
	global_load_u16 v0, v[0:1], off offset:64
	s_wait_loadcnt 0x0
	v_cvt_f32_f16_e32 v0, v0
	s_delay_alu instid0(VALU_DEP_1)
	v_mul_f32_e32 v0, v25, v0
	s_branch .LBB62_17
.LBB62_16:                              ;   in Loop: Header=BB62_8 Depth=1
	v_mov_b32_e32 v0, 0
.LBB62_17:                              ;   in Loop: Header=BB62_8 Depth=1
	s_delay_alu instid0(VALU_DEP_1)
	v_dual_add_f32 v1, v53, v57 :: v_dual_add_f32 v0, v54, v0
	s_wait_dscnt 0x0
	v_max_num_f32_e32 v6, v6, v6
	s_wait_loadcnt 0x0
	s_barrier_signal -1
	v_dual_add_f32 v53, 0x40051340, v1 :: v_dual_add_f32 v54, 0x40051340, v0
	s_barrier_wait -1
	global_inv scope:SCOPE_SE
	v_max_num_f32_e32 v4, v4, v4
	v_max3_num_f32 v53, v52, v53, v54
	s_delay_alu instid0(VALU_DEP_2) | instskip(SKIP_2) | instid1(VALU_DEP_1)
	v_max_num_f32_e32 v100, v4, v6
	ds_bpermute_b32 v54, v55, v53
	v_sub_f32_e32 v2, v2, v100
	v_dual_sub_f32 v3, v3, v100 :: v_dual_mul_f32 v4, 0x3fb8aa3b, v2
	v_cmp_ngt_f32_e64 s3, 0xc2ce8ed0, v2
	s_delay_alu instid0(VALU_DEP_2) | instskip(SKIP_2) | instid1(VALU_DEP_1)
	v_rndne_f32_e32 v6, v4
	s_wait_dscnt 0x0
	v_max_num_f32_e32 v54, v54, v54
	v_max_num_f32_e32 v53, v53, v54
	ds_bpermute_b32 v54, v56, v53
	s_wait_dscnt 0x0
	v_max_num_f32_e32 v54, v54, v54
	s_delay_alu instid0(VALU_DEP_1) | instskip(SKIP_3) | instid1(VALU_DEP_1)
	v_max_num_f32_e32 v53, v53, v54
	ds_bpermute_b32 v54, v58, v53
	s_wait_dscnt 0x0
	v_max_num_f32_e32 v54, v54, v54
	v_max_num_f32_e32 v53, v53, v54
	ds_bpermute_b32 v7, v7, v53
	s_wait_dscnt 0x0
	v_max_num_f32_e32 v7, v7, v7
	s_delay_alu instid0(VALU_DEP_1) | instskip(SKIP_3) | instid1(VALU_DEP_1)
	v_max_num_f32_e32 v7, v53, v7
	ds_bpermute_b32 v5, v5, v7
	s_wait_dscnt 0x0
	v_max_num_f32_e32 v5, v5, v5
	v_max_num_f32_e32 v101, v7, v5
	v_fma_f32 v5, 0x3fb8aa3b, v2, -v4
	v_sub_f32_e32 v4, v4, v6
	v_cvt_i32_f32_e32 v6, v6
	s_delay_alu instid0(VALU_DEP_3) | instskip(SKIP_2) | instid1(VALU_DEP_3)
	v_dual_sub_f32 v0, v0, v101 :: v_dual_fmac_f32 v5, 0x32a5705f, v2
	v_sub_f32_e32 v1, v1, v101
	v_sub_f32_e32 v52, v52, v101
	v_dual_add_f32 v4, v4, v5 :: v_dual_mul_f32 v5, 0x3fb8aa3b, v3
	s_delay_alu instid0(VALU_DEP_1) | instskip(NEXT) | instid1(VALU_DEP_1)
	v_exp_f32_e32 v4, v4
	v_fma_f32 v7, 0x3fb8aa3b, v3, -v5
	v_rndne_f32_e32 v53, v5
	s_delay_alu instid0(VALU_DEP_2) | instskip(NEXT) | instid1(VALU_DEP_2)
	v_fmac_f32_e32 v7, 0x32a5705f, v3
	v_sub_f32_e32 v5, v5, v53
	s_delay_alu instid0(TRANS32_DEP_1) | instskip(SKIP_1) | instid1(VALU_DEP_3)
	v_ldexp_f32 v4, v4, v6
	v_cvt_i32_f32_e32 v6, v53
	v_add_f32_e32 v5, v5, v7
	s_delay_alu instid0(VALU_DEP_1) | instskip(NEXT) | instid1(TRANS32_DEP_1)
	v_exp_f32_e32 v5, v5
	v_ldexp_f32 v5, v5, v6
	v_mul_f32_e32 v6, 0x3fb8aa3b, v1
	s_delay_alu instid0(VALU_DEP_1) | instskip(SKIP_1) | instid1(VALU_DEP_2)
	v_fma_f32 v7, 0x3fb8aa3b, v1, -v6
	v_rndne_f32_e32 v53, v6
	v_fmac_f32_e32 v7, 0x32a5705f, v1
	s_delay_alu instid0(VALU_DEP_2) | instskip(SKIP_1) | instid1(VALU_DEP_2)
	v_sub_f32_e32 v6, v6, v53
	v_cvt_i32_f32_e32 v53, v53
	v_dual_add_f32 v6, v6, v7 :: v_dual_mul_f32 v7, 0x3fb8aa3b, v0
	s_delay_alu instid0(VALU_DEP_1) | instskip(NEXT) | instid1(VALU_DEP_1)
	v_exp_f32_e32 v6, v6
	v_fma_f32 v54, 0x3fb8aa3b, v0, -v7
	v_rndne_f32_e32 v55, v7
	s_delay_alu instid0(VALU_DEP_1) | instskip(SKIP_1) | instid1(TRANS32_DEP_1)
	v_dual_sub_f32 v7, v7, v55 :: v_dual_fmac_f32 v54, 0x32a5705f, v0
	v_cmp_ngt_f32_e32 vcc_lo, 0xc2ce8ed0, v1
	v_ldexp_f32 v6, v6, v53
	v_cvt_i32_f32_e32 v53, v55
	v_cmp_ngt_f32_e64 s2, 0xc2ce8ed0, v0
	v_add_f32_e32 v7, v7, v54
	s_wait_alu 0xfffd
	v_cndmask_b32_e32 v6, 0, v6, vcc_lo
	v_cmp_nlt_f32_e32 vcc_lo, 0x42b17218, v1
	s_delay_alu instid0(VALU_DEP_3) | instskip(NEXT) | instid1(TRANS32_DEP_1)
	v_exp_f32_e32 v7, v7
	v_ldexp_f32 v7, v7, v53
	s_wait_alu 0xfffd
	v_cndmask_b32_e32 v53, 0x7f800000, v6, vcc_lo
	v_cmp_ngt_f32_e32 vcc_lo, 0xc2ce8ed0, v3
	s_wait_alu 0xf1ff
	v_cndmask_b32_e64 v1, 0, v7, s2
	v_cmp_nlt_f32_e64 s2, 0x42b17218, v0
	v_cndmask_b32_e64 v0, 0, v4, s3
	v_cmp_nlt_f32_e64 s3, 0x42b17218, v2
	v_cvt_f16_f32_e32 v2, v53
	s_wait_alu 0xf1ff
	v_cndmask_b32_e64 v55, 0x7f800000, v1, s2
	s_delay_alu instid0(VALU_DEP_3) | instskip(SKIP_3) | instid1(VALU_DEP_1)
	v_cndmask_b32_e64 v54, 0x7f800000, v0, s3
	s_mul_u64 s[2:3], s[14:15], s[10:11]
	s_wait_alu 0xfffe
	s_lshl_b64 s[2:3], s[2:3], 2
	v_cvt_f16_f32_e32 v0, v54
	s_wait_alu 0xfffe
	s_add_nc_u64 s[2:3], s[8:9], s[2:3]
	s_delay_alu instid0(VALU_DEP_1) | instskip(SKIP_4) | instid1(VALU_DEP_2)
	v_pack_b32_f16 v0, v0, v2
	s_wait_alu 0xfffd
	v_cndmask_b32_e32 v2, 0, v5, vcc_lo
	v_cmp_nlt_f32_e32 vcc_lo, 0x42b17218, v3
	s_wait_alu 0xfffd
	v_cndmask_b32_e32 v56, 0x7f800000, v2, vcc_lo
	v_cvt_f16_f32_e32 v2, v55
	s_delay_alu instid0(VALU_DEP_2) | instskip(NEXT) | instid1(VALU_DEP_1)
	v_cvt_f16_f32_e32 v1, v56
	v_pack_b32_f16 v1, v1, v2
	v_add_nc_u32_e32 v2, v42, v113
	ds_store_2addr_b32 v2, v0, v1 offset1:32
	s_wait_alu 0xfffe
	v_add_co_u32 v0, vcc_lo, s2, v16
	s_wait_alu 0xfffd
	v_add_co_ci_u32_e64 v1, null, s3, v17, vcc_lo
	s_delay_alu instid0(VALU_DEP_2) | instskip(SKIP_1) | instid1(VALU_DEP_2)
	v_add_co_u32 v0, vcc_lo, v0, v47
	s_wait_alu 0xfffd
	v_add_co_ci_u32_e64 v1, null, 0, v1, vcc_lo
	v_add_co_u32 v2, vcc_lo, s2, v18
	s_wait_alu 0xfffd
	v_add_co_ci_u32_e64 v3, null, s3, v19, vcc_lo
	s_delay_alu instid0(VALU_DEP_2) | instskip(SKIP_1) | instid1(VALU_DEP_2)
	v_add_co_u32 v4, vcc_lo, v2, v47
	s_wait_alu 0xfffd
	v_add_co_ci_u32_e64 v5, null, 0, v3, vcc_lo
	s_clause 0x1
	global_load_b128 v[0:3], v[0:1], off
	global_load_b128 v[4:7], v[4:5], off
	s_wait_loadcnt 0x1
	ds_store_b128 v40, v[0:3]
	s_wait_loadcnt 0x0
	ds_store_b128 v43, v[4:7]
	v_add_co_u32 v0, vcc_lo, s2, v20
	s_wait_alu 0xfffd
	v_add_co_ci_u32_e64 v1, null, s3, v21, vcc_lo
	s_delay_alu instid0(VALU_DEP_2) | instskip(SKIP_1) | instid1(VALU_DEP_2)
	v_add_co_u32 v0, vcc_lo, v0, v47
	s_wait_alu 0xfffd
	v_add_co_ci_u32_e64 v1, null, 0, v1, vcc_lo
	v_add_co_u32 v2, vcc_lo, s2, v22
	s_wait_alu 0xfffd
	v_add_co_ci_u32_e64 v3, null, s3, v23, vcc_lo
	s_or_b32 s2, s14, 32
	v_add_co_u32 v4, vcc_lo, v2, v47
	s_wait_alu 0xfffd
	v_add_co_ci_u32_e64 v5, null, 0, v3, vcc_lo
	s_clause 0x1
	global_load_b128 v[0:3], v[0:1], off
	global_load_b128 v[4:7], v[4:5], off
	s_wait_loadcnt 0x1
	ds_store_b128 v44, v[0:3]
	s_wait_loadcnt 0x0
	ds_store_b128 v45, v[4:7]
	v_sub_f32_e32 v0, v51, v100
	s_wait_dscnt 0x0
	s_barrier_signal -1
	s_barrier_wait -1
	global_inv scope:SCOPE_SE
	v_mul_f32_e32 v1, 0x3fb8aa3b, v0
	v_cmp_ngt_f32_e32 vcc_lo, 0xc2ce8ed0, v0
	s_wait_alu 0xfffe
	s_ashr_i32 s3, s2, 31
	v_add_f32_e32 v122, v53, v55
	s_wait_alu 0xfffe
	s_mul_u64 s[2:3], s[2:3], s[10:11]
	v_fma_f32 v2, 0x3fb8aa3b, v0, -v1
	v_rndne_f32_e32 v3, v1
	s_wait_alu 0xfffe
	s_lshl_b64 s[2:3], s[2:3], 2
	s_wait_alu 0xfffe
	s_add_nc_u64 s[2:3], s[8:9], s[2:3]
	v_dual_fmac_f32 v2, 0x32a5705f, v0 :: v_dual_sub_f32 v1, v1, v3
	v_cvt_i32_f32_e32 v3, v3
	v_add_f32_e32 v123, v54, v56
	s_delay_alu instid0(VALU_DEP_3) | instskip(NEXT) | instid1(VALU_DEP_1)
	v_dual_add_f32 v1, v1, v2 :: v_dual_mul_f32 v2, 0x3fb8aa3b, v52
	v_exp_f32_e32 v1, v1
	s_delay_alu instid0(VALU_DEP_1) | instskip(SKIP_1) | instid1(VALU_DEP_1)
	v_fma_f32 v4, 0x3fb8aa3b, v52, -v2
	v_rndne_f32_e32 v5, v2
	v_sub_f32_e32 v2, v2, v5
	s_delay_alu instid0(TRANS32_DEP_1) | instskip(SKIP_2) | instid1(VALU_DEP_2)
	v_ldexp_f32 v1, v1, v3
	v_cvt_i32_f32_e32 v3, v5
	s_wait_alu 0xfffd
	v_cndmask_b32_e32 v1, 0, v1, vcc_lo
	v_cmp_nlt_f32_e32 vcc_lo, 0x42b17218, v0
	s_wait_alu 0xfffd
	s_delay_alu instid0(VALU_DEP_2) | instskip(SKIP_2) | instid1(VALU_DEP_3)
	v_cndmask_b32_e32 v51, 0x7f800000, v1, vcc_lo
	v_cmp_ngt_f32_e32 vcc_lo, 0xc2ce8ed0, v52
	v_fmac_f32_e32 v4, 0x32a5705f, v52
	v_cvt_f16_f32_e32 v0, v51
	s_delay_alu instid0(VALU_DEP_2) | instskip(NEXT) | instid1(VALU_DEP_2)
	v_dual_fmac_f32 v123, v49, v51 :: v_dual_add_f32 v2, v2, v4
	v_and_b32_e32 v0, 0xffff, v0
	s_delay_alu instid0(VALU_DEP_2) | instskip(NEXT) | instid1(VALU_DEP_1)
	v_exp_f32_e32 v2, v2
	v_mul_u32_u24_e32 v62, 0x10001, v0
	s_delay_alu instid0(TRANS32_DEP_1)
	v_ldexp_f32 v61, v2, v3
	ds_load_b128 v[0:3], v42
	ds_load_b128 v[4:7], v42 offset:16
	s_wait_alu 0xfffd
	v_cndmask_b32_e32 v61, 0, v61, vcc_lo
	v_cmp_nlt_f32_e32 vcc_lo, 0x42b17218, v52
	s_wait_alu 0xfffd
	s_delay_alu instid0(VALU_DEP_2) | instskip(NEXT) | instid1(VALU_DEP_1)
	v_cndmask_b32_e32 v52, 0x7f800000, v61, vcc_lo
	v_cvt_f16_f32_e32 v61, v52
	v_fmac_f32_e32 v122, v50, v52
	s_wait_dscnt 0x1
	v_and_b32_e32 v57, 0xffff, v0
	v_lshrrev_b32_e32 v0, 16, v0
	v_and_b32_e32 v61, 0xffff, v61
	s_delay_alu instid0(VALU_DEP_3)
	v_mul_u32_u24_e32 v63, 0x10001, v57
	ds_load_2addr_b64 v[57:60], v117 offset1:32
	v_mul_u32_u24_e32 v0, 0x10001, v0
	v_mul_u32_u24_e32 v61, 0x10001, v61
	s_wait_dscnt 0x0
	v_pk_mul_f16 v64, v57, v63
	s_delay_alu instid0(VALU_DEP_3) | instskip(NEXT) | instid1(VALU_DEP_2)
	v_pk_mul_f16 v57, v57, v0
	v_pk_fma_f16 v64, v120, v62, v64
	v_pk_mul_f16 v62, v121, v62
	s_delay_alu instid0(VALU_DEP_3) | instskip(SKIP_1) | instid1(VALU_DEP_3)
	v_pk_fma_f16 v57, v118, v61, v57
	v_pk_mul_f16 v61, v119, v61
	v_pk_fma_f16 v62, v58, v63, v62
	v_and_b32_e32 v63, 0xffff, v3
	s_delay_alu instid0(VALU_DEP_3) | instskip(SKIP_2) | instid1(VALU_DEP_2)
	v_pk_fma_f16 v0, v58, v0, v61
	v_and_b32_e32 v58, 0xffff, v1
	v_lshrrev_b32_e32 v1, 16, v1
	v_mul_u32_u24_e32 v58, 0x10001, v58
	s_delay_alu instid0(VALU_DEP_2) | instskip(NEXT) | instid1(VALU_DEP_2)
	v_mul_u32_u24_e32 v1, 0x10001, v1
	v_pk_fma_f16 v61, v60, v58, v62
	s_delay_alu instid0(VALU_DEP_2)
	v_pk_fma_f16 v60, v60, v1, v0
	v_and_b32_e32 v0, 0xffff, v2
	v_pk_fma_f16 v58, v59, v58, v64
	v_pk_fma_f16 v57, v59, v1, v57
	v_lshrrev_b32_e32 v59, 16, v2
	v_lshrrev_b32_e32 v62, 16, v3
	v_mul_u32_u24_e32 v64, 0x10001, v0
	ds_load_2addr_b64 v[0:3], v117 offset0:64 offset1:96
	v_mul_u32_u24_e32 v59, 0x10001, v59
	s_wait_dscnt 0x0
	v_pk_fma_f16 v61, v1, v64, v61
	v_pk_fma_f16 v58, v0, v64, v58
	s_delay_alu instid0(VALU_DEP_3) | instskip(SKIP_2) | instid1(VALU_DEP_2)
	v_pk_fma_f16 v0, v0, v59, v57
	v_mul_u32_u24_e32 v57, 0x10001, v63
	v_pk_fma_f16 v1, v1, v59, v60
	v_pk_fma_f16 v59, v3, v57, v61
	;; [unrolled: 1-line block ×3, first 2 shown]
	v_mul_u32_u24_e32 v58, 0x10001, v62
	s_delay_alu instid0(VALU_DEP_1) | instskip(SKIP_3) | instid1(VALU_DEP_2)
	v_pk_fma_f16 v60, v3, v58, v1
	v_pk_fma_f16 v58, v2, v58, v0
	v_and_b32_e32 v0, 0xffff, v4
	v_lshrrev_b32_e32 v4, 16, v4
	v_mul_u32_u24_e32 v61, 0x10001, v0
	ds_load_2addr_b64 v[0:3], v117 offset0:128 offset1:160
	v_mul_u32_u24_e32 v4, 0x10001, v4
	s_wait_dscnt 0x0
	v_pk_fma_f16 v59, v1, v61, v59
	v_pk_fma_f16 v57, v0, v61, v57
	s_delay_alu instid0(VALU_DEP_3) | instskip(SKIP_3) | instid1(VALU_DEP_2)
	v_pk_fma_f16 v1, v1, v4, v60
	v_pk_fma_f16 v0, v0, v4, v58
	v_and_b32_e32 v4, 0xffff, v5
	v_lshrrev_b32_e32 v5, 16, v5
	v_mul_u32_u24_e32 v4, 0x10001, v4
	s_delay_alu instid0(VALU_DEP_2) | instskip(NEXT) | instid1(VALU_DEP_2)
	v_mul_u32_u24_e32 v5, 0x10001, v5
	v_pk_fma_f16 v58, v3, v4, v59
	v_pk_fma_f16 v4, v2, v4, v57
	s_delay_alu instid0(VALU_DEP_3)
	v_pk_fma_f16 v57, v3, v5, v1
	v_pk_fma_f16 v5, v2, v5, v0
	v_and_b32_e32 v0, 0xffff, v6
	v_lshrrev_b32_e32 v6, 16, v6
	v_lshrrev_b32_e32 v59, 16, v7
	v_and_b32_e32 v7, 0xffff, v7
	s_delay_alu instid0(VALU_DEP_4) | instskip(SKIP_4) | instid1(VALU_DEP_2)
	v_mul_u32_u24_e32 v60, 0x10001, v0
	ds_load_2addr_b64 v[0:3], v117 offset0:192 offset1:224
	v_mul_u32_u24_e32 v6, 0x10001, v6
	s_wait_dscnt 0x0
	v_pk_fma_f16 v4, v0, v60, v4
	v_pk_fma_f16 v0, v0, v6, v5
	v_mul_u32_u24_e32 v5, 0x10001, v7
	v_pk_fma_f16 v58, v1, v60, v58
	v_pk_fma_f16 v1, v1, v6, v57
	s_delay_alu instid0(VALU_DEP_3) | instskip(SKIP_1) | instid1(VALU_DEP_4)
	v_pk_fma_f16 v63, v2, v5, v4
	v_mul_u32_u24_e32 v4, 0x10001, v59
	v_pk_fma_f16 v62, v3, v5, v58
	s_delay_alu instid0(VALU_DEP_2)
	v_pk_fma_f16 v64, v3, v4, v1
	v_pk_fma_f16 v65, v2, v4, v0
	ds_load_b128 v[0:3], v42 offset:32
	ds_load_b128 v[4:7], v42 offset:48
	s_wait_dscnt 0x1
	v_and_b32_e32 v57, 0xffff, v0
	v_lshrrev_b32_e32 v0, 16, v0
	s_delay_alu instid0(VALU_DEP_2) | instskip(SKIP_1) | instid1(VALU_DEP_3)
	v_mul_u32_u24_e32 v66, 0x10001, v57
	v_add_nc_u32_e32 v57, 0x800, v117
	v_mul_u32_u24_e32 v0, 0x10001, v0
	ds_load_2addr_b64 v[58:61], v57 offset1:32
	s_wait_dscnt 0x0
	v_pk_fma_f16 v62, v59, v66, v62
	v_pk_fma_f16 v63, v58, v66, v63
	;; [unrolled: 1-line block ×4, first 2 shown]
	v_and_b32_e32 v58, 0xffff, v1
	v_lshrrev_b32_e32 v1, 16, v1
	v_and_b32_e32 v64, 0xffff, v3
	s_delay_alu instid0(VALU_DEP_3) | instskip(NEXT) | instid1(VALU_DEP_3)
	v_mul_u32_u24_e32 v58, 0x10001, v58
	v_mul_u32_u24_e32 v1, 0x10001, v1
	s_delay_alu instid0(VALU_DEP_2) | instskip(SKIP_1) | instid1(VALU_DEP_3)
	v_pk_fma_f16 v62, v61, v58, v62
	v_pk_fma_f16 v58, v60, v58, v63
	v_pk_fma_f16 v60, v60, v1, v0
	v_and_b32_e32 v0, 0xffff, v2
	v_pk_fma_f16 v59, v61, v1, v59
	v_lshrrev_b32_e32 v61, 16, v2
	v_lshrrev_b32_e32 v63, 16, v3
	s_delay_alu instid0(VALU_DEP_4)
	v_mul_u32_u24_e32 v65, 0x10001, v0
	ds_load_2addr_b64 v[0:3], v57 offset0:64 offset1:96
	v_mul_u32_u24_e32 v61, 0x10001, v61
	s_wait_dscnt 0x0
	v_pk_fma_f16 v62, v1, v65, v62
	v_pk_fma_f16 v58, v0, v65, v58
	s_delay_alu instid0(VALU_DEP_3) | instskip(SKIP_2) | instid1(VALU_DEP_2)
	v_pk_fma_f16 v1, v1, v61, v59
	v_mul_u32_u24_e32 v59, 0x10001, v64
	v_pk_fma_f16 v0, v0, v61, v60
	v_pk_fma_f16 v60, v3, v59, v62
	v_pk_fma_f16 v58, v2, v59, v58
	v_mul_u32_u24_e32 v59, 0x10001, v63
	s_delay_alu instid0(VALU_DEP_1) | instskip(SKIP_3) | instid1(VALU_DEP_2)
	v_pk_fma_f16 v61, v3, v59, v1
	v_pk_fma_f16 v59, v2, v59, v0
	v_and_b32_e32 v0, 0xffff, v4
	v_lshrrev_b32_e32 v4, 16, v4
	v_mul_u32_u24_e32 v62, 0x10001, v0
	ds_load_2addr_b64 v[0:3], v57 offset0:128 offset1:160
	v_mul_u32_u24_e32 v4, 0x10001, v4
	s_wait_dscnt 0x0
	v_pk_fma_f16 v60, v1, v62, v60
	v_pk_fma_f16 v58, v0, v62, v58
	s_delay_alu instid0(VALU_DEP_3) | instskip(SKIP_3) | instid1(VALU_DEP_2)
	v_pk_fma_f16 v1, v1, v4, v61
	v_pk_fma_f16 v0, v0, v4, v59
	v_and_b32_e32 v4, 0xffff, v5
	v_lshrrev_b32_e32 v5, 16, v5
	v_mul_u32_u24_e32 v4, 0x10001, v4
	s_delay_alu instid0(VALU_DEP_2) | instskip(NEXT) | instid1(VALU_DEP_2)
	v_mul_u32_u24_e32 v5, 0x10001, v5
	v_pk_fma_f16 v59, v3, v4, v60
	v_pk_fma_f16 v4, v2, v4, v58
	s_delay_alu instid0(VALU_DEP_3)
	v_pk_fma_f16 v58, v3, v5, v1
	v_pk_fma_f16 v5, v2, v5, v0
	v_and_b32_e32 v0, 0xffff, v6
	v_lshrrev_b32_e32 v6, 16, v6
	v_lshrrev_b32_e32 v60, 16, v7
	v_and_b32_e32 v7, 0xffff, v7
	s_delay_alu instid0(VALU_DEP_4) | instskip(SKIP_4) | instid1(VALU_DEP_2)
	v_mul_u32_u24_e32 v61, 0x10001, v0
	ds_load_2addr_b64 v[0:3], v57 offset0:192 offset1:224
	v_mul_u32_u24_e32 v6, 0x10001, v6
	s_wait_dscnt 0x0
	v_pk_fma_f16 v4, v0, v61, v4
	v_pk_fma_f16 v0, v0, v6, v5
	v_mul_u32_u24_e32 v5, 0x10001, v7
	v_pk_fma_f16 v59, v1, v61, v59
	v_pk_fma_f16 v1, v1, v6, v58
	s_delay_alu instid0(VALU_DEP_3) | instskip(SKIP_1) | instid1(VALU_DEP_4)
	v_pk_fma_f16 v64, v2, v5, v4
	v_mul_u32_u24_e32 v4, 0x10001, v60
	v_pk_fma_f16 v63, v3, v5, v59
	s_delay_alu instid0(VALU_DEP_2)
	v_pk_fma_f16 v65, v3, v4, v1
	v_pk_fma_f16 v66, v2, v4, v0
	ds_load_b128 v[0:3], v42 offset:64
	ds_load_b128 v[4:7], v42 offset:80
	s_wait_dscnt 0x1
	v_and_b32_e32 v58, 0xffff, v0
	v_lshrrev_b32_e32 v0, 16, v0
	s_delay_alu instid0(VALU_DEP_2) | instskip(SKIP_1) | instid1(VALU_DEP_3)
	v_mul_u32_u24_e32 v67, 0x10001, v58
	v_add_nc_u32_e32 v58, 0x1000, v117
	v_mul_u32_u24_e32 v0, 0x10001, v0
	ds_load_2addr_b64 v[59:62], v58 offset1:32
	s_wait_dscnt 0x0
	v_pk_fma_f16 v63, v60, v67, v63
	v_pk_fma_f16 v64, v59, v67, v64
	;; [unrolled: 1-line block ×4, first 2 shown]
	v_and_b32_e32 v59, 0xffff, v1
	v_lshrrev_b32_e32 v1, 16, v1
	v_and_b32_e32 v65, 0xffff, v3
	s_delay_alu instid0(VALU_DEP_3) | instskip(NEXT) | instid1(VALU_DEP_3)
	v_mul_u32_u24_e32 v59, 0x10001, v59
	v_mul_u32_u24_e32 v1, 0x10001, v1
	s_delay_alu instid0(VALU_DEP_2) | instskip(SKIP_1) | instid1(VALU_DEP_3)
	v_pk_fma_f16 v63, v62, v59, v63
	v_pk_fma_f16 v59, v61, v59, v64
	;; [unrolled: 1-line block ×3, first 2 shown]
	v_and_b32_e32 v0, 0xffff, v2
	v_pk_fma_f16 v60, v62, v1, v60
	v_lshrrev_b32_e32 v62, 16, v2
	v_lshrrev_b32_e32 v64, 16, v3
	s_delay_alu instid0(VALU_DEP_4)
	v_mul_u32_u24_e32 v66, 0x10001, v0
	ds_load_2addr_b64 v[0:3], v58 offset0:64 offset1:96
	v_mul_u32_u24_e32 v62, 0x10001, v62
	s_wait_dscnt 0x0
	v_pk_fma_f16 v63, v1, v66, v63
	v_pk_fma_f16 v59, v0, v66, v59
	s_delay_alu instid0(VALU_DEP_3) | instskip(SKIP_2) | instid1(VALU_DEP_2)
	v_pk_fma_f16 v1, v1, v62, v60
	v_mul_u32_u24_e32 v60, 0x10001, v65
	v_pk_fma_f16 v0, v0, v62, v61
	v_pk_fma_f16 v61, v3, v60, v63
	;; [unrolled: 1-line block ×3, first 2 shown]
	v_mul_u32_u24_e32 v60, 0x10001, v64
	s_delay_alu instid0(VALU_DEP_1) | instskip(SKIP_3) | instid1(VALU_DEP_2)
	v_pk_fma_f16 v62, v3, v60, v1
	v_pk_fma_f16 v60, v2, v60, v0
	v_and_b32_e32 v0, 0xffff, v4
	v_lshrrev_b32_e32 v4, 16, v4
	v_mul_u32_u24_e32 v63, 0x10001, v0
	ds_load_2addr_b64 v[0:3], v58 offset0:128 offset1:160
	v_mul_u32_u24_e32 v4, 0x10001, v4
	s_wait_dscnt 0x0
	v_pk_fma_f16 v61, v1, v63, v61
	v_pk_fma_f16 v59, v0, v63, v59
	s_delay_alu instid0(VALU_DEP_3) | instskip(SKIP_3) | instid1(VALU_DEP_2)
	v_pk_fma_f16 v1, v1, v4, v62
	v_pk_fma_f16 v0, v0, v4, v60
	v_and_b32_e32 v4, 0xffff, v5
	v_lshrrev_b32_e32 v5, 16, v5
	v_mul_u32_u24_e32 v4, 0x10001, v4
	s_delay_alu instid0(VALU_DEP_2) | instskip(NEXT) | instid1(VALU_DEP_2)
	v_mul_u32_u24_e32 v5, 0x10001, v5
	v_pk_fma_f16 v60, v3, v4, v61
	v_pk_fma_f16 v4, v2, v4, v59
	s_delay_alu instid0(VALU_DEP_3)
	v_pk_fma_f16 v59, v3, v5, v1
	v_pk_fma_f16 v5, v2, v5, v0
	v_and_b32_e32 v0, 0xffff, v6
	v_lshrrev_b32_e32 v6, 16, v6
	v_lshrrev_b32_e32 v61, 16, v7
	v_and_b32_e32 v7, 0xffff, v7
	s_delay_alu instid0(VALU_DEP_4) | instskip(SKIP_4) | instid1(VALU_DEP_2)
	v_mul_u32_u24_e32 v62, 0x10001, v0
	ds_load_2addr_b64 v[0:3], v58 offset0:192 offset1:224
	v_mul_u32_u24_e32 v6, 0x10001, v6
	s_wait_dscnt 0x0
	v_pk_fma_f16 v4, v0, v62, v4
	v_pk_fma_f16 v0, v0, v6, v5
	v_mul_u32_u24_e32 v5, 0x10001, v7
	v_pk_fma_f16 v60, v1, v62, v60
	v_pk_fma_f16 v1, v1, v6, v59
	s_delay_alu instid0(VALU_DEP_3) | instskip(SKIP_1) | instid1(VALU_DEP_4)
	v_pk_fma_f16 v65, v2, v5, v4
	v_mul_u32_u24_e32 v4, 0x10001, v61
	v_pk_fma_f16 v64, v3, v5, v60
	s_delay_alu instid0(VALU_DEP_2)
	v_pk_fma_f16 v66, v3, v4, v1
	v_pk_fma_f16 v67, v2, v4, v0
	ds_load_b128 v[0:3], v42 offset:96
	ds_load_b128 v[4:7], v42 offset:112
	s_wait_dscnt 0x1
	v_and_b32_e32 v59, 0xffff, v0
	v_lshrrev_b32_e32 v0, 16, v0
	s_delay_alu instid0(VALU_DEP_2) | instskip(SKIP_1) | instid1(VALU_DEP_3)
	v_mul_u32_u24_e32 v68, 0x10001, v59
	v_add_nc_u32_e32 v59, 0x1800, v117
	v_mul_u32_u24_e32 v0, 0x10001, v0
	ds_load_2addr_b64 v[60:63], v59 offset1:32
	s_wait_dscnt 0x0
	v_pk_fma_f16 v64, v61, v68, v64
	v_pk_fma_f16 v65, v60, v68, v65
	;; [unrolled: 1-line block ×4, first 2 shown]
	v_and_b32_e32 v60, 0xffff, v1
	v_lshrrev_b32_e32 v1, 16, v1
	v_and_b32_e32 v66, 0xffff, v3
	s_delay_alu instid0(VALU_DEP_3) | instskip(NEXT) | instid1(VALU_DEP_3)
	v_mul_u32_u24_e32 v60, 0x10001, v60
	v_mul_u32_u24_e32 v1, 0x10001, v1
	s_delay_alu instid0(VALU_DEP_2) | instskip(SKIP_1) | instid1(VALU_DEP_3)
	v_pk_fma_f16 v64, v63, v60, v64
	v_pk_fma_f16 v60, v62, v60, v65
	;; [unrolled: 1-line block ×3, first 2 shown]
	v_and_b32_e32 v0, 0xffff, v2
	v_pk_fma_f16 v61, v63, v1, v61
	v_lshrrev_b32_e32 v63, 16, v2
	v_lshrrev_b32_e32 v65, 16, v3
	s_delay_alu instid0(VALU_DEP_4)
	v_mul_u32_u24_e32 v67, 0x10001, v0
	ds_load_2addr_b64 v[0:3], v59 offset0:64 offset1:96
	v_mul_u32_u24_e32 v63, 0x10001, v63
	s_wait_dscnt 0x0
	v_pk_fma_f16 v64, v1, v67, v64
	v_pk_fma_f16 v60, v0, v67, v60
	s_delay_alu instid0(VALU_DEP_3) | instskip(SKIP_2) | instid1(VALU_DEP_2)
	v_pk_fma_f16 v1, v1, v63, v61
	v_mul_u32_u24_e32 v61, 0x10001, v66
	v_pk_fma_f16 v0, v0, v63, v62
	v_pk_fma_f16 v62, v3, v61, v64
	;; [unrolled: 1-line block ×3, first 2 shown]
	v_mul_u32_u24_e32 v61, 0x10001, v65
	s_delay_alu instid0(VALU_DEP_1) | instskip(SKIP_3) | instid1(VALU_DEP_2)
	v_pk_fma_f16 v63, v3, v61, v1
	v_pk_fma_f16 v61, v2, v61, v0
	v_and_b32_e32 v0, 0xffff, v4
	v_lshrrev_b32_e32 v4, 16, v4
	v_mul_u32_u24_e32 v64, 0x10001, v0
	ds_load_2addr_b64 v[0:3], v59 offset0:128 offset1:160
	v_mul_u32_u24_e32 v4, 0x10001, v4
	s_wait_dscnt 0x0
	v_pk_fma_f16 v62, v1, v64, v62
	v_pk_fma_f16 v60, v0, v64, v60
	s_delay_alu instid0(VALU_DEP_3) | instskip(SKIP_3) | instid1(VALU_DEP_2)
	v_pk_fma_f16 v1, v1, v4, v63
	v_pk_fma_f16 v0, v0, v4, v61
	v_and_b32_e32 v4, 0xffff, v5
	v_lshrrev_b32_e32 v5, 16, v5
	v_mul_u32_u24_e32 v4, 0x10001, v4
	s_delay_alu instid0(VALU_DEP_2) | instskip(NEXT) | instid1(VALU_DEP_2)
	v_mul_u32_u24_e32 v5, 0x10001, v5
	v_pk_fma_f16 v61, v3, v4, v62
	v_pk_fma_f16 v4, v2, v4, v60
	s_delay_alu instid0(VALU_DEP_3)
	v_pk_fma_f16 v60, v3, v5, v1
	v_pk_fma_f16 v5, v2, v5, v0
	v_and_b32_e32 v0, 0xffff, v6
	v_lshrrev_b32_e32 v6, 16, v6
	v_lshrrev_b32_e32 v62, 16, v7
	v_and_b32_e32 v7, 0xffff, v7
	s_delay_alu instid0(VALU_DEP_4)
	v_mul_u32_u24_e32 v63, 0x10001, v0
	ds_load_2addr_b64 v[0:3], v59 offset0:192 offset1:224
	v_mul_u32_u24_e32 v6, 0x10001, v6
	s_wait_loadcnt_dscnt 0x0
	s_barrier_signal -1
	s_barrier_wait -1
	global_inv scope:SCOPE_SE
	v_pk_fma_f16 v4, v0, v63, v4
	v_pk_fma_f16 v0, v0, v6, v5
	v_mul_u32_u24_e32 v5, 0x10001, v7
	v_pk_fma_f16 v61, v1, v63, v61
	v_pk_fma_f16 v1, v1, v6, v60
	s_delay_alu instid0(VALU_DEP_3) | instskip(SKIP_1) | instid1(VALU_DEP_4)
	v_pk_fma_f16 v67, v2, v5, v4
	v_mul_u32_u24_e32 v4, 0x10001, v62
	v_pk_fma_f16 v66, v3, v5, v61
	s_delay_alu instid0(VALU_DEP_2)
	v_pk_fma_f16 v61, v2, v4, v0
	s_wait_alu 0xfffe
	v_add_co_u32 v0, vcc_lo, s2, v16
	v_pk_fma_f16 v60, v3, v4, v1
	s_wait_alu 0xfffd
	v_add_co_ci_u32_e64 v1, null, s3, v17, vcc_lo
	s_delay_alu instid0(VALU_DEP_3) | instskip(SKIP_1) | instid1(VALU_DEP_2)
	v_add_co_u32 v0, vcc_lo, v0, v47
	s_wait_alu 0xfffd
	v_add_co_ci_u32_e64 v1, null, 0, v1, vcc_lo
	v_add_co_u32 v2, vcc_lo, s2, v18
	s_wait_alu 0xfffd
	v_add_co_ci_u32_e64 v3, null, s3, v19, vcc_lo
	s_delay_alu instid0(VALU_DEP_2) | instskip(SKIP_1) | instid1(VALU_DEP_2)
	v_add_co_u32 v4, vcc_lo, v2, v47
	s_wait_alu 0xfffd
	v_add_co_ci_u32_e64 v5, null, 0, v3, vcc_lo
	s_clause 0x1
	global_load_b128 v[0:3], v[0:1], off
	global_load_b128 v[4:7], v[4:5], off
	s_wait_loadcnt 0x1
	ds_store_b128 v40, v[0:3]
	s_wait_loadcnt 0x0
	ds_store_b128 v43, v[4:7]
	v_add_co_u32 v0, vcc_lo, s2, v20
	s_wait_alu 0xfffd
	v_add_co_ci_u32_e64 v1, null, s3, v21, vcc_lo
	s_delay_alu instid0(VALU_DEP_2) | instskip(SKIP_1) | instid1(VALU_DEP_2)
	v_add_co_u32 v0, vcc_lo, v0, v47
	s_wait_alu 0xfffd
	v_add_co_ci_u32_e64 v1, null, 0, v1, vcc_lo
	v_add_co_u32 v2, vcc_lo, s2, v22
	s_wait_alu 0xfffd
	v_add_co_ci_u32_e64 v3, null, s3, v23, vcc_lo
	s_delay_alu instid0(VALU_DEP_2) | instskip(SKIP_1) | instid1(VALU_DEP_2)
	v_add_co_u32 v4, vcc_lo, v2, v47
	s_wait_alu 0xfffd
	v_add_co_ci_u32_e64 v5, null, 0, v3, vcc_lo
	s_clause 0x1
	global_load_b128 v[0:3], v[0:1], off
	global_load_b128 v[4:7], v[4:5], off
	s_wait_loadcnt 0x1
	ds_store_b128 v44, v[0:3]
	s_wait_loadcnt 0x0
	ds_store_b128 v45, v[4:7]
	s_wait_dscnt 0x0
	s_barrier_signal -1
	s_barrier_wait -1
	global_inv scope:SCOPE_SE
	ds_load_b128 v[4:7], v42 offset:128
	ds_load_b128 v[0:3], v42 offset:144
	s_wait_dscnt 0x1
	v_and_b32_e32 v62, 0xffff, v4
	v_lshrrev_b32_e32 v4, 16, v4
	s_delay_alu instid0(VALU_DEP_2) | instskip(SKIP_3) | instid1(VALU_DEP_1)
	v_mul_u32_u24_e32 v68, 0x10001, v62
	ds_load_2addr_b64 v[62:65], v117 offset1:32
	v_mul_u32_u24_e32 v4, 0x10001, v4
	s_wait_dscnt 0x0
	v_pk_fma_f16 v61, v62, v4, v61
	v_pk_fma_f16 v4, v63, v4, v60
	v_and_b32_e32 v60, 0xffff, v5
	v_lshrrev_b32_e32 v5, 16, v5
	v_pk_fma_f16 v67, v62, v68, v67
	v_pk_fma_f16 v66, v63, v68, v66
	s_delay_alu instid0(VALU_DEP_4) | instskip(NEXT) | instid1(VALU_DEP_4)
	v_mul_u32_u24_e32 v60, 0x10001, v60
	v_mul_u32_u24_e32 v5, 0x10001, v5
	s_delay_alu instid0(VALU_DEP_2) | instskip(NEXT) | instid1(VALU_DEP_2)
	v_pk_fma_f16 v62, v64, v60, v67
	v_pk_fma_f16 v63, v65, v5, v4
	v_and_b32_e32 v4, 0xffff, v6
	v_pk_fma_f16 v60, v65, v60, v66
	v_pk_fma_f16 v61, v64, v5, v61
	v_lshrrev_b32_e32 v64, 16, v6
	v_lshrrev_b32_e32 v65, 16, v7
	v_and_b32_e32 v66, 0xffff, v7
	v_mul_u32_u24_e32 v67, 0x10001, v4
	ds_load_2addr_b64 v[4:7], v117 offset0:64 offset1:96
	v_mul_u32_u24_e32 v64, 0x10001, v64
	s_wait_dscnt 0x0
	v_pk_fma_f16 v62, v4, v67, v62
	v_pk_fma_f16 v60, v5, v67, v60
	s_delay_alu instid0(VALU_DEP_3) | instskip(SKIP_2) | instid1(VALU_DEP_2)
	v_pk_fma_f16 v4, v4, v64, v61
	v_mul_u32_u24_e32 v61, 0x10001, v66
	v_pk_fma_f16 v5, v5, v64, v63
	v_pk_fma_f16 v62, v6, v61, v62
	;; [unrolled: 1-line block ×3, first 2 shown]
	v_mul_u32_u24_e32 v61, 0x10001, v65
	s_delay_alu instid0(VALU_DEP_1) | instskip(SKIP_3) | instid1(VALU_DEP_3)
	v_pk_fma_f16 v63, v6, v61, v4
	v_and_b32_e32 v4, 0xffff, v0
	v_pk_fma_f16 v61, v7, v61, v5
	v_lshrrev_b32_e32 v0, 16, v0
	v_mul_u32_u24_e32 v64, 0x10001, v4
	ds_load_2addr_b64 v[4:7], v117 offset0:128 offset1:160
	v_mul_u32_u24_e32 v0, 0x10001, v0
	s_wait_dscnt 0x0
	v_pk_fma_f16 v62, v4, v64, v62
	v_pk_fma_f16 v60, v5, v64, v60
	s_delay_alu instid0(VALU_DEP_3) | instskip(SKIP_3) | instid1(VALU_DEP_2)
	v_pk_fma_f16 v4, v4, v0, v63
	v_pk_fma_f16 v0, v5, v0, v61
	v_and_b32_e32 v5, 0xffff, v1
	v_lshrrev_b32_e32 v1, 16, v1
	v_mul_u32_u24_e32 v5, 0x10001, v5
	s_delay_alu instid0(VALU_DEP_2) | instskip(NEXT) | instid1(VALU_DEP_2)
	v_mul_u32_u24_e32 v1, 0x10001, v1
	v_pk_fma_f16 v61, v6, v5, v62
	s_delay_alu instid0(VALU_DEP_2)
	v_pk_fma_f16 v4, v6, v1, v4
	v_pk_fma_f16 v6, v7, v1, v0
	v_and_b32_e32 v0, 0xffff, v2
	v_pk_fma_f16 v5, v7, v5, v60
	v_lshrrev_b32_e32 v7, 16, v2
	v_lshrrev_b32_e32 v60, 16, v3
	v_and_b32_e32 v62, 0xffff, v3
	v_mul_u32_u24_e32 v63, 0x10001, v0
	ds_load_2addr_b64 v[0:3], v117 offset0:192 offset1:224
	v_mul_u32_u24_e32 v7, 0x10001, v7
	s_wait_dscnt 0x0
	v_pk_fma_f16 v61, v0, v63, v61
	v_pk_fma_f16 v5, v1, v63, v5
	s_delay_alu instid0(VALU_DEP_3) | instskip(SKIP_2) | instid1(VALU_DEP_2)
	v_pk_fma_f16 v0, v0, v7, v4
	v_mul_u32_u24_e32 v4, 0x10001, v62
	v_pk_fma_f16 v1, v1, v7, v6
	v_pk_fma_f16 v64, v2, v4, v61
	;; [unrolled: 1-line block ×3, first 2 shown]
	v_mul_u32_u24_e32 v4, 0x10001, v60
	s_delay_alu instid0(VALU_DEP_1)
	v_pk_fma_f16 v66, v2, v4, v0
	v_pk_fma_f16 v67, v3, v4, v1
	ds_load_b128 v[0:3], v42 offset:160
	ds_load_b128 v[4:7], v42 offset:176
	s_wait_dscnt 0x1
	v_and_b32_e32 v60, 0xffff, v0
	v_lshrrev_b32_e32 v0, 16, v0
	s_delay_alu instid0(VALU_DEP_2)
	v_mul_u32_u24_e32 v68, 0x10001, v60
	ds_load_2addr_b64 v[60:63], v57 offset1:32
	v_mul_u32_u24_e32 v0, 0x10001, v0
	s_wait_dscnt 0x0
	v_pk_fma_f16 v64, v60, v68, v64
	v_pk_fma_f16 v65, v61, v68, v65
	s_delay_alu instid0(VALU_DEP_3) | instskip(SKIP_4) | instid1(VALU_DEP_3)
	v_pk_fma_f16 v60, v60, v0, v66
	v_pk_fma_f16 v0, v61, v0, v67
	v_and_b32_e32 v61, 0xffff, v1
	v_lshrrev_b32_e32 v1, 16, v1
	v_and_b32_e32 v66, 0xffff, v3
	v_mul_u32_u24_e32 v61, 0x10001, v61
	s_delay_alu instid0(VALU_DEP_3) | instskip(NEXT) | instid1(VALU_DEP_2)
	v_mul_u32_u24_e32 v1, 0x10001, v1
	v_pk_fma_f16 v64, v62, v61, v64
	s_delay_alu instid0(VALU_DEP_2)
	v_pk_fma_f16 v60, v62, v1, v60
	v_pk_fma_f16 v62, v63, v1, v0
	v_and_b32_e32 v0, 0xffff, v2
	v_pk_fma_f16 v61, v63, v61, v65
	v_lshrrev_b32_e32 v63, 16, v2
	v_lshrrev_b32_e32 v65, 16, v3
	s_delay_alu instid0(VALU_DEP_4)
	v_mul_u32_u24_e32 v67, 0x10001, v0
	ds_load_2addr_b64 v[0:3], v57 offset0:64 offset1:96
	v_mul_u32_u24_e32 v63, 0x10001, v63
	s_wait_dscnt 0x0
	v_pk_fma_f16 v64, v0, v67, v64
	v_pk_fma_f16 v61, v1, v67, v61
	s_delay_alu instid0(VALU_DEP_3) | instskip(SKIP_2) | instid1(VALU_DEP_2)
	v_pk_fma_f16 v0, v0, v63, v60
	v_mul_u32_u24_e32 v60, 0x10001, v66
	v_pk_fma_f16 v1, v1, v63, v62
	v_pk_fma_f16 v62, v2, v60, v64
	;; [unrolled: 1-line block ×3, first 2 shown]
	v_mul_u32_u24_e32 v61, 0x10001, v65
	s_delay_alu instid0(VALU_DEP_1) | instskip(SKIP_3) | instid1(VALU_DEP_3)
	v_pk_fma_f16 v63, v2, v61, v0
	v_and_b32_e32 v0, 0xffff, v4
	v_pk_fma_f16 v61, v3, v61, v1
	v_lshrrev_b32_e32 v4, 16, v4
	v_mul_u32_u24_e32 v64, 0x10001, v0
	ds_load_2addr_b64 v[0:3], v57 offset0:128 offset1:160
	v_mul_u32_u24_e32 v4, 0x10001, v4
	s_wait_dscnt 0x0
	v_pk_fma_f16 v62, v0, v64, v62
	v_pk_fma_f16 v60, v1, v64, v60
	s_delay_alu instid0(VALU_DEP_3) | instskip(SKIP_3) | instid1(VALU_DEP_2)
	v_pk_fma_f16 v0, v0, v4, v63
	v_pk_fma_f16 v1, v1, v4, v61
	v_and_b32_e32 v4, 0xffff, v5
	v_lshrrev_b32_e32 v5, 16, v5
	v_mul_u32_u24_e32 v4, 0x10001, v4
	s_delay_alu instid0(VALU_DEP_2) | instskip(NEXT) | instid1(VALU_DEP_2)
	v_mul_u32_u24_e32 v5, 0x10001, v5
	v_pk_fma_f16 v61, v2, v4, v62
	v_pk_fma_f16 v4, v3, v4, v60
	s_delay_alu instid0(VALU_DEP_3)
	v_pk_fma_f16 v60, v2, v5, v0
	v_and_b32_e32 v0, 0xffff, v6
	v_pk_fma_f16 v5, v3, v5, v1
	v_lshrrev_b32_e32 v6, 16, v6
	v_lshrrev_b32_e32 v62, 16, v7
	v_and_b32_e32 v7, 0xffff, v7
	v_mul_u32_u24_e32 v63, 0x10001, v0
	ds_load_2addr_b64 v[0:3], v57 offset0:192 offset1:224
	v_mul_u32_u24_e32 v6, 0x10001, v6
	s_wait_dscnt 0x0
	v_pk_fma_f16 v4, v1, v63, v4
	s_delay_alu instid0(VALU_DEP_2) | instskip(SKIP_3) | instid1(VALU_DEP_3)
	v_pk_fma_f16 v1, v1, v6, v5
	v_mul_u32_u24_e32 v5, 0x10001, v7
	v_pk_fma_f16 v57, v0, v63, v61
	v_pk_fma_f16 v0, v0, v6, v60
	;; [unrolled: 1-line block ×3, first 2 shown]
	v_mul_u32_u24_e32 v4, 0x10001, v62
	s_delay_alu instid0(VALU_DEP_4) | instskip(NEXT) | instid1(VALU_DEP_2)
	v_pk_fma_f16 v57, v2, v5, v57
	v_pk_fma_f16 v65, v2, v4, v0
	;; [unrolled: 1-line block ×3, first 2 shown]
	ds_load_b128 v[0:3], v42 offset:192
	ds_load_b128 v[4:7], v42 offset:208
	s_wait_dscnt 0x1
	v_and_b32_e32 v60, 0xffff, v0
	v_lshrrev_b32_e32 v0, 16, v0
	s_delay_alu instid0(VALU_DEP_2)
	v_mul_u32_u24_e32 v67, 0x10001, v60
	ds_load_2addr_b64 v[60:63], v58 offset1:32
	v_mul_u32_u24_e32 v0, 0x10001, v0
	s_wait_dscnt 0x0
	v_pk_fma_f16 v57, v60, v67, v57
	v_pk_fma_f16 v64, v61, v67, v64
	s_delay_alu instid0(VALU_DEP_3) | instskip(SKIP_4) | instid1(VALU_DEP_3)
	v_pk_fma_f16 v60, v60, v0, v65
	v_pk_fma_f16 v0, v61, v0, v66
	v_and_b32_e32 v61, 0xffff, v1
	v_lshrrev_b32_e32 v1, 16, v1
	v_and_b32_e32 v65, 0xffff, v3
	v_mul_u32_u24_e32 v61, 0x10001, v61
	s_delay_alu instid0(VALU_DEP_3) | instskip(NEXT) | instid1(VALU_DEP_2)
	v_mul_u32_u24_e32 v1, 0x10001, v1
	v_pk_fma_f16 v57, v62, v61, v57
	s_delay_alu instid0(VALU_DEP_2)
	v_pk_fma_f16 v60, v62, v1, v60
	v_pk_fma_f16 v62, v63, v1, v0
	v_and_b32_e32 v0, 0xffff, v2
	v_pk_fma_f16 v61, v63, v61, v64
	v_lshrrev_b32_e32 v63, 16, v2
	v_lshrrev_b32_e32 v64, 16, v3
	s_delay_alu instid0(VALU_DEP_4)
	v_mul_u32_u24_e32 v66, 0x10001, v0
	ds_load_2addr_b64 v[0:3], v58 offset0:64 offset1:96
	v_mul_u32_u24_e32 v63, 0x10001, v63
	s_wait_dscnt 0x0
	v_pk_fma_f16 v57, v0, v66, v57
	v_pk_fma_f16 v61, v1, v66, v61
	s_delay_alu instid0(VALU_DEP_3) | instskip(SKIP_2) | instid1(VALU_DEP_2)
	v_pk_fma_f16 v0, v0, v63, v60
	v_mul_u32_u24_e32 v60, 0x10001, v65
	v_pk_fma_f16 v1, v1, v63, v62
	v_pk_fma_f16 v57, v2, v60, v57
	;; [unrolled: 1-line block ×3, first 2 shown]
	v_mul_u32_u24_e32 v61, 0x10001, v64
	s_delay_alu instid0(VALU_DEP_1) | instskip(SKIP_3) | instid1(VALU_DEP_3)
	v_pk_fma_f16 v62, v2, v61, v0
	v_and_b32_e32 v0, 0xffff, v4
	v_pk_fma_f16 v61, v3, v61, v1
	v_lshrrev_b32_e32 v4, 16, v4
	v_mul_u32_u24_e32 v63, 0x10001, v0
	ds_load_2addr_b64 v[0:3], v58 offset0:128 offset1:160
	v_mul_u32_u24_e32 v4, 0x10001, v4
	s_wait_dscnt 0x0
	v_pk_fma_f16 v57, v0, v63, v57
	v_pk_fma_f16 v60, v1, v63, v60
	s_delay_alu instid0(VALU_DEP_3)
	v_pk_fma_f16 v0, v0, v4, v62
	v_pk_fma_f16 v1, v1, v4, v61
	v_and_b32_e32 v4, 0xffff, v5
	v_lshrrev_b32_e32 v5, 16, v5
	v_lshrrev_b32_e32 v61, 16, v7
	v_and_b32_e32 v7, 0xffff, v7
	s_delay_alu instid0(VALU_DEP_4) | instskip(NEXT) | instid1(VALU_DEP_4)
	v_mul_u32_u24_e32 v4, 0x10001, v4
	v_mul_u32_u24_e32 v5, 0x10001, v5
	s_delay_alu instid0(VALU_DEP_2) | instskip(SKIP_1) | instid1(VALU_DEP_3)
	v_pk_fma_f16 v57, v2, v4, v57
	v_pk_fma_f16 v4, v3, v4, v60
	;; [unrolled: 1-line block ×3, first 2 shown]
	v_and_b32_e32 v0, 0xffff, v6
	v_pk_fma_f16 v5, v3, v5, v1
	v_lshrrev_b32_e32 v6, 16, v6
	s_delay_alu instid0(VALU_DEP_3) | instskip(SKIP_4) | instid1(VALU_DEP_2)
	v_mul_u32_u24_e32 v62, 0x10001, v0
	ds_load_2addr_b64 v[0:3], v58 offset0:192 offset1:224
	v_mul_u32_u24_e32 v6, 0x10001, v6
	s_wait_dscnt 0x0
	v_pk_fma_f16 v4, v1, v62, v4
	v_pk_fma_f16 v1, v1, v6, v5
	v_mul_u32_u24_e32 v5, 0x10001, v7
	v_pk_fma_f16 v57, v0, v62, v57
	v_pk_fma_f16 v0, v0, v6, v60
	s_delay_alu instid0(VALU_DEP_3) | instskip(SKIP_1) | instid1(VALU_DEP_4)
	v_pk_fma_f16 v58, v3, v5, v4
	v_mul_u32_u24_e32 v4, 0x10001, v61
	v_pk_fma_f16 v57, v2, v5, v57
	s_delay_alu instid0(VALU_DEP_2)
	v_pk_fma_f16 v64, v2, v4, v0
	v_pk_fma_f16 v65, v3, v4, v1
	ds_load_b128 v[0:3], v42 offset:224
	ds_load_b128 v[4:7], v42 offset:240
	s_wait_dscnt 0x1
	v_and_b32_e32 v60, 0xffff, v0
	v_lshrrev_b32_e32 v0, 16, v0
	s_delay_alu instid0(VALU_DEP_2)
	v_mul_u32_u24_e32 v66, 0x10001, v60
	ds_load_2addr_b64 v[60:63], v59 offset1:32
	v_mul_u32_u24_e32 v0, 0x10001, v0
	s_wait_dscnt 0x0
	v_pk_fma_f16 v57, v60, v66, v57
	v_pk_fma_f16 v58, v61, v66, v58
	s_delay_alu instid0(VALU_DEP_3) | instskip(SKIP_4) | instid1(VALU_DEP_3)
	v_pk_fma_f16 v60, v60, v0, v64
	v_pk_fma_f16 v0, v61, v0, v65
	v_and_b32_e32 v61, 0xffff, v1
	v_lshrrev_b32_e32 v1, 16, v1
	v_and_b32_e32 v64, 0xffff, v3
	v_mul_u32_u24_e32 v61, 0x10001, v61
	s_delay_alu instid0(VALU_DEP_3) | instskip(NEXT) | instid1(VALU_DEP_2)
	v_mul_u32_u24_e32 v1, 0x10001, v1
	v_pk_fma_f16 v57, v62, v61, v57
	v_pk_fma_f16 v58, v63, v61, v58
	s_delay_alu instid0(VALU_DEP_3) | instskip(SKIP_4) | instid1(VALU_DEP_4)
	v_pk_fma_f16 v61, v63, v1, v0
	v_and_b32_e32 v0, 0xffff, v2
	v_pk_fma_f16 v60, v62, v1, v60
	v_lshrrev_b32_e32 v62, 16, v2
	v_lshrrev_b32_e32 v63, 16, v3
	v_mul_u32_u24_e32 v65, 0x10001, v0
	ds_load_2addr_b64 v[0:3], v59 offset0:64 offset1:96
	v_mul_u32_u24_e32 v62, 0x10001, v62
	s_wait_dscnt 0x0
	v_pk_fma_f16 v57, v0, v65, v57
	v_pk_fma_f16 v58, v1, v65, v58
	s_delay_alu instid0(VALU_DEP_3) | instskip(SKIP_2) | instid1(VALU_DEP_2)
	v_pk_fma_f16 v0, v0, v62, v60
	v_mul_u32_u24_e32 v60, 0x10001, v64
	v_pk_fma_f16 v1, v1, v62, v61
	v_pk_fma_f16 v57, v2, v60, v57
	;; [unrolled: 1-line block ×3, first 2 shown]
	v_mul_u32_u24_e32 v60, 0x10001, v63
	s_delay_alu instid0(VALU_DEP_1) | instskip(SKIP_3) | instid1(VALU_DEP_3)
	v_pk_fma_f16 v61, v2, v60, v0
	v_and_b32_e32 v0, 0xffff, v4
	v_pk_fma_f16 v60, v3, v60, v1
	v_lshrrev_b32_e32 v4, 16, v4
	v_mul_u32_u24_e32 v62, 0x10001, v0
	ds_load_2addr_b64 v[0:3], v59 offset0:128 offset1:160
	v_mul_u32_u24_e32 v4, 0x10001, v4
	s_wait_dscnt 0x0
	v_pk_fma_f16 v57, v0, v62, v57
	v_pk_fma_f16 v58, v1, v62, v58
	s_delay_alu instid0(VALU_DEP_3)
	v_pk_fma_f16 v0, v0, v4, v61
	v_pk_fma_f16 v1, v1, v4, v60
	v_and_b32_e32 v4, 0xffff, v5
	v_lshrrev_b32_e32 v5, 16, v5
	v_lshrrev_b32_e32 v60, 16, v7
	v_and_b32_e32 v7, 0xffff, v7
	s_delay_alu instid0(VALU_DEP_4) | instskip(NEXT) | instid1(VALU_DEP_4)
	v_mul_u32_u24_e32 v4, 0x10001, v4
	v_mul_u32_u24_e32 v5, 0x10001, v5
	s_delay_alu instid0(VALU_DEP_2) | instskip(SKIP_1) | instid1(VALU_DEP_3)
	v_pk_fma_f16 v57, v2, v4, v57
	v_pk_fma_f16 v4, v3, v4, v58
	;; [unrolled: 1-line block ×3, first 2 shown]
	v_and_b32_e32 v0, 0xffff, v6
	v_pk_fma_f16 v5, v3, v5, v1
	v_lshrrev_b32_e32 v6, 16, v6
	s_delay_alu instid0(VALU_DEP_3)
	v_mul_u32_u24_e32 v61, 0x10001, v0
	ds_load_2addr_b64 v[0:3], v59 offset0:192 offset1:224
	s_wait_loadcnt_dscnt 0x0
	s_barrier_signal -1
	s_barrier_wait -1
	global_inv scope:SCOPE_SE
	s_load_b32 s2, s[26:27], 0x4
	v_mul_u32_u24_e32 v6, 0x10001, v6
	v_pk_fma_f16 v4, v1, v61, v4
	s_delay_alu instid0(VALU_DEP_2)
	v_pk_fma_f16 v1, v1, v6, v5
	v_mul_u32_u24_e32 v5, 0x10001, v7
	v_pk_fma_f16 v57, v0, v61, v57
	v_pk_fma_f16 v0, v0, v6, v58
	s_wait_kmcnt 0x0
	s_lshl_b32 s2, s2, 6
	v_pk_fma_f16 v121, v3, v5, v4
	v_mul_u32_u24_e32 v4, 0x10001, v60
	v_pk_fma_f16 v120, v2, v5, v57
	s_wait_alu 0xfffe
	s_add_co_i32 s14, s2, s14
	s_wait_alu 0xfffe
	s_cmp_lt_i32 s14, s7
	v_pk_fma_f16 v118, v2, v4, v0
	v_pk_fma_f16 v119, v3, v4, v1
	s_cbranch_scc0 .LBB62_20
; %bb.18:                               ;   in Loop: Header=BB62_8 Depth=1
	v_dual_mov_b32 v51, v100 :: v_dual_mov_b32 v52, v101
	v_dual_mov_b32 v49, v123 :: v_dual_mov_b32 v50, v122
	s_branch .LBB62_8
.LBB62_19:
	v_dual_mov_b32 v100, 0xfeffffff :: v_dual_mov_b32 v123, 0
	v_dual_mov_b32 v120, 0 :: v_dual_mov_b32 v121, 0
	s_delay_alu instid0(VALU_DEP_2)
	v_dual_mov_b32 v118, 0 :: v_dual_mov_b32 v101, v100
	v_mov_b32_e32 v119, 0
.LBB62_20:
	s_cmp_gt_i32 s36, s14
	s_cbranch_scc1 .LBB62_23
; %bb.21:
	v_mbcnt_lo_u32_b32 v0, -1, 0
	v_mov_b32_e32 v129, 32
	s_delay_alu instid0(VALU_DEP_2)
	v_xor_b32_e32 v125, 16, v0
	v_xor_b32_e32 v124, 8, v0
	;; [unrolled: 1-line block ×5, first 2 shown]
	s_cbranch_execz .LBB62_24
; %bb.22:
	v_mov_b32_e32 v116, v0
	s_branch .LBB62_44
.LBB62_23:
                                        ; implicit-def: $vgpr0
                                        ; implicit-def: $vgpr129
                                        ; implicit-def: $vgpr125
                                        ; implicit-def: $vgpr124
                                        ; implicit-def: $vgpr126
                                        ; implicit-def: $vgpr127
                                        ; implicit-def: $vgpr128
.LBB62_24:
	v_lshl_add_u32 v18, v24, 2, v33
	s_ashr_i32 s15, s14, 31
	s_ashr_i32 s5, s4, 31
	v_dual_mov_b32 v8, 0 :: v_dual_lshlrev_b32 v19, 2, v32
	s_delay_alu instid0(VALU_DEP_2)
	v_mul_lo_u32 v3, s4, v18
	s_wait_alu 0xfffe
	s_mul_u64 s[2:3], s[14:15], s[4:5]
	s_sub_co_i32 s7, s36, s14
	s_wait_alu 0xfffe
	s_lshl_b64 s[2:3], s[2:3], 2
	s_mov_b32 s40, 0
	s_wait_alu 0xfffe
	s_add_nc_u64 s[24:25], s[24:25], s[2:3]
	v_cmp_gt_i32_e64 s3, s7, v18
	s_mov_b64 s[26:27], src_private_base
	v_ashrrev_i32_e32 v4, 31, v3
	s_mov_b32 s41, s40
	s_mov_b32 s42, s40
	s_lshl_b32 s4, s4, 4
	s_cmp_lg_u64 s[34:35], 0
	v_lshlrev_b64_e32 v[0:1], 2, v[3:4]
	s_wait_alu 0xfffe
	v_add_nc_u32_e32 v11, s4, v3
	s_delay_alu instid0(VALU_DEP_2) | instskip(SKIP_1) | instid1(VALU_DEP_3)
	v_add_co_u32 v0, vcc_lo, s24, v0
	s_wait_alu 0xfffd
	v_add_co_ci_u32_e64 v1, null, s25, v1, vcc_lo
	s_delay_alu instid0(VALU_DEP_3) | instskip(NEXT) | instid1(VALU_DEP_3)
	v_ashrrev_i32_e32 v12, 31, v11
	v_add_co_u32 v13, vcc_lo, v0, v19
	s_wait_alu 0xfffd
	s_delay_alu instid0(VALU_DEP_3) | instskip(SKIP_2) | instid1(VALU_DEP_3)
	v_add_co_ci_u32_e64 v14, null, 0, v1, vcc_lo
	v_dual_mov_b32 v0, s40 :: v_dual_mov_b32 v1, s41
	v_mov_b32_e32 v2, s42
	v_cndmask_b32_e64 v5, s27, v14, s3
	v_cndmask_b32_e64 v4, 0, v13, s3
	s_clause 0x1
	scratch_store_b32 off, v8, off
	scratch_store_b96 off, v[0:2], off offset:4
	v_add_co_u32 v13, s5, 0x80, v13
	flat_load_b128 v[4:7], v[4:5]
	v_lshlrev_b64_e32 v[9:10], 2, v[11:12]
	s_clause 0x1
	scratch_store_b32 off, v8, off
	scratch_store_b96 off, v[0:2], off offset:4
	s_wait_alu 0xf1ff
	v_add_co_ci_u32_e64 v14, null, 0, v14, s5
	v_cndmask_b32_e64 v13, 0, v13, s3
	v_add_co_u32 v3, vcc_lo, s24, v9
	s_wait_alu 0xfffd
	v_add_co_ci_u32_e64 v10, null, s25, v10, vcc_lo
	v_cndmask_b32_e64 v14, s27, v14, s3
	s_delay_alu instid0(VALU_DEP_3) | instskip(SKIP_4) | instid1(VALU_DEP_3)
	v_add_co_u32 v9, vcc_lo, v3, v19
	v_add_nc_u32_e32 v12, 16, v18
	s_wait_alu 0xfffd
	v_add_co_ci_u32_e64 v10, null, 0, v10, vcc_lo
	v_mad_u32_u24 v3, 0x90, v18, v19
	v_cmp_gt_i32_e32 vcc_lo, s7, v12
	s_wait_alu 0xfffd
	s_delay_alu instid0(VALU_DEP_3) | instskip(SKIP_4) | instid1(VALU_DEP_2)
	v_cndmask_b32_e32 v16, s27, v10, vcc_lo
	v_cndmask_b32_e32 v15, 0, v9, vcc_lo
	v_add_co_u32 v9, s3, 0x80, v9
	s_wait_alu 0xf1ff
	v_add_co_ci_u32_e64 v10, null, 0, v10, s3
	v_cndmask_b32_e32 v9, 0, v9, vcc_lo
	s_delay_alu instid0(VALU_DEP_2)
	v_cndmask_b32_e32 v10, s27, v10, vcc_lo
	s_wait_loadcnt_dscnt 0x0
	ds_store_b128 v3, v[4:7]
	flat_load_b128 v[4:7], v[15:16]
	v_add_nc_u32_e32 v15, s4, v11
	s_clause 0x1
	scratch_store_b32 off, v8, off
	scratch_store_b96 off, v[0:2], off offset:4
	v_ashrrev_i32_e32 v16, 31, v15
	s_delay_alu instid0(VALU_DEP_1) | instskip(SKIP_2) | instid1(VALU_DEP_3)
	v_lshlrev_b64_e32 v[11:12], 2, v[15:16]
	v_add_nc_u32_e32 v16, 32, v18
	v_add_nc_u32_e32 v15, s4, v15
	v_add_co_u32 v11, s2, s24, v11
	s_wait_alu 0xf1ff
	s_delay_alu instid0(VALU_DEP_4) | instskip(NEXT) | instid1(VALU_DEP_2)
	v_add_co_ci_u32_e64 v12, null, s25, v12, s2
	v_add_co_u32 v11, s2, v11, v19
	s_wait_alu 0xf1ff
	s_delay_alu instid0(VALU_DEP_2) | instskip(SKIP_2) | instid1(VALU_DEP_1)
	v_add_co_ci_u32_e64 v12, null, 0, v12, s2
	v_cmp_gt_i32_e64 s2, s7, v16
	s_wait_alu 0xf1ff
	v_cndmask_b32_e64 v17, s27, v12, s2
	v_cndmask_b32_e64 v16, 0, v11, s2
	s_wait_loadcnt_dscnt 0x0
	ds_store_b128 v3, v[4:7] offset:2304
	flat_load_b128 v[4:7], v[16:17]
	v_ashrrev_i32_e32 v16, 31, v15
	v_add_nc_u32_e32 v17, 48, v18
	s_clause 0x1
	scratch_store_b32 off, v8, off
	scratch_store_b96 off, v[0:2], off offset:4
	v_lshlrev_b64_e32 v[15:16], 2, v[15:16]
	s_delay_alu instid0(VALU_DEP_1) | instskip(SKIP_1) | instid1(VALU_DEP_2)
	v_add_co_u32 v15, s4, s24, v15
	s_wait_alu 0xf1ff
	v_add_co_ci_u32_e64 v16, null, s25, v16, s4
	s_delay_alu instid0(VALU_DEP_2) | instskip(SKIP_1) | instid1(VALU_DEP_2)
	v_add_co_u32 v15, s4, v15, v19
	s_wait_alu 0xf1ff
	v_add_co_ci_u32_e64 v16, null, 0, v16, s4
	v_cmp_gt_i32_e64 s4, s7, v17
	s_wait_alu 0xf1ff
	s_delay_alu instid0(VALU_DEP_1)
	v_cndmask_b32_e64 v18, s27, v16, s4
	v_cndmask_b32_e64 v17, 0, v15, s4
	s_wait_loadcnt_dscnt 0x0
	ds_store_b128 v3, v[4:7] offset:4608
	flat_load_b128 v[4:7], v[17:18]
	s_wait_loadcnt_dscnt 0x0
	ds_store_b128 v3, v[4:7] offset:6912
	s_wait_storecnt_dscnt 0x0
	s_barrier_signal -1
	s_barrier_wait -1
	global_inv scope:SCOPE_SE
	ds_load_b128 v[17:20], v31
	ds_load_b128 v[32:35], v30 offset:9216
	ds_load_b128 v[36:39], v30 offset:9472
	;; [unrolled: 1-line block ×3, first 2 shown]
	v_mov_b32_e32 v6, 0
	v_dual_mov_b32 v4, 0 :: v_dual_mov_b32 v7, 0
	v_mov_b32_e32 v5, 0
	s_wait_dscnt 0x2
	;;#ASMSTART
	v_dot2_f32_f16 v6, v17, v32, v6
	;;#ASMEND
	;;#ASMSTART
	v_dot2_f32_f16 v6, v18, v33, v6
	;;#ASMEND
	;;#ASMSTART
	v_dot2_f32_f16 v6, v19, v34, v6
	;;#ASMEND
	;;#ASMSTART
	v_dot2_f32_f16 v6, v20, v35, v6
	;;#ASMEND
	s_wait_dscnt 0x1
	;;#ASMSTART
	v_dot2_f32_f16 v4, v17, v36, v4
	;;#ASMEND
	;;#ASMSTART
	v_dot2_f32_f16 v4, v18, v37, v4
	;;#ASMEND
	;;#ASMSTART
	v_dot2_f32_f16 v4, v19, v38, v4
	;;#ASMEND
	;;#ASMSTART
	v_dot2_f32_f16 v4, v20, v39, v4
	;;#ASMEND
	s_wait_dscnt 0x0
	;;#ASMSTART
	v_dot2_f32_f16 v7, v40, v32, v7
	;;#ASMEND
	;;#ASMSTART
	v_dot2_f32_f16 v7, v41, v33, v7
	;;#ASMEND
	;;#ASMSTART
	v_dot2_f32_f16 v7, v42, v34, v7
	;;#ASMEND
	;;#ASMSTART
	v_dot2_f32_f16 v7, v43, v35, v7
	;;#ASMEND
	;;#ASMSTART
	v_dot2_f32_f16 v5, v40, v36, v5
	;;#ASMEND
	;;#ASMSTART
	v_dot2_f32_f16 v5, v41, v37, v5
	;;#ASMEND
	;;#ASMSTART
	v_dot2_f32_f16 v5, v42, v38, v5
	;;#ASMEND
	;;#ASMSTART
	v_dot2_f32_f16 v5, v43, v39, v5
	;;#ASMEND
	ds_load_b128 v[17:20], v31 offset:16
	ds_load_b128 v[32:35], v30 offset:9232
	ds_load_b128 v[36:39], v30 offset:9488
	ds_load_b128 v[40:43], v31 offset:4624
	s_wait_dscnt 0x2
	;;#ASMSTART
	v_dot2_f32_f16 v6, v17, v32, v6
	;;#ASMEND
	;;#ASMSTART
	v_dot2_f32_f16 v6, v18, v33, v6
	;;#ASMEND
	;;#ASMSTART
	v_dot2_f32_f16 v6, v19, v34, v6
	;;#ASMEND
	;;#ASMSTART
	v_dot2_f32_f16 v6, v20, v35, v6
	;;#ASMEND
	s_wait_dscnt 0x1
	;;#ASMSTART
	v_dot2_f32_f16 v4, v17, v36, v4
	;;#ASMEND
	;;#ASMSTART
	v_dot2_f32_f16 v4, v18, v37, v4
	;;#ASMEND
	;;#ASMSTART
	v_dot2_f32_f16 v4, v19, v38, v4
	;;#ASMEND
	;;#ASMSTART
	v_dot2_f32_f16 v4, v20, v39, v4
	;;#ASMEND
	s_wait_dscnt 0x0
	;;#ASMSTART
	v_dot2_f32_f16 v7, v40, v32, v7
	;;#ASMEND
	;;#ASMSTART
	v_dot2_f32_f16 v7, v41, v33, v7
	;;#ASMEND
	;;#ASMSTART
	v_dot2_f32_f16 v7, v42, v34, v7
	;;#ASMEND
	;;#ASMSTART
	v_dot2_f32_f16 v7, v43, v35, v7
	;;#ASMEND
	;;#ASMSTART
	v_dot2_f32_f16 v5, v40, v36, v5
	;;#ASMEND
	;;#ASMSTART
	v_dot2_f32_f16 v5, v41, v37, v5
	;;#ASMEND
	;;#ASMSTART
	v_dot2_f32_f16 v5, v42, v38, v5
	;;#ASMEND
	;;#ASMSTART
	v_dot2_f32_f16 v5, v43, v39, v5
	;;#ASMEND
	ds_load_b128 v[17:20], v31 offset:32
	ds_load_b128 v[32:35], v30 offset:9248
	ds_load_b128 v[36:39], v30 offset:9504
	ds_load_b128 v[40:43], v31 offset:4640
	;; [unrolled: 55-line block ×7, first 2 shown]
	s_wait_dscnt 0x2
	;;#ASMSTART
	v_dot2_f32_f16 v6, v17, v32, v6
	;;#ASMEND
	;;#ASMSTART
	v_dot2_f32_f16 v6, v18, v33, v6
	;;#ASMEND
	;;#ASMSTART
	v_dot2_f32_f16 v6, v19, v34, v6
	;;#ASMEND
	;;#ASMSTART
	v_dot2_f32_f16 v6, v20, v35, v6
	;;#ASMEND
	s_wait_dscnt 0x1
	;;#ASMSTART
	v_dot2_f32_f16 v4, v17, v36, v4
	;;#ASMEND
	;;#ASMSTART
	v_dot2_f32_f16 v4, v18, v37, v4
	;;#ASMEND
	;;#ASMSTART
	v_dot2_f32_f16 v4, v19, v38, v4
	;;#ASMEND
	;;#ASMSTART
	v_dot2_f32_f16 v4, v20, v39, v4
	;;#ASMEND
	;; [unrolled: 13-line block ×3, first 2 shown]
	;;#ASMSTART
	v_dot2_f32_f16 v5, v40, v36, v5
	;;#ASMEND
	;;#ASMSTART
	v_dot2_f32_f16 v5, v41, v37, v5
	;;#ASMEND
	;; [unrolled: 3-line block ×4, first 2 shown]
	s_wait_loadcnt 0x0
	s_barrier_signal -1
	s_barrier_wait -1
	global_inv scope:SCOPE_SE
	s_clause 0x1
	scratch_store_b32 off, v8, off
	scratch_store_b96 off, v[0:2], off offset:4
	flat_load_b128 v[17:20], v[13:14]
	s_clause 0x1
	scratch_store_b32 off, v8, off
	scratch_store_b96 off, v[0:2], off offset:4
	s_wait_loadcnt_dscnt 0x0
	ds_store_b128 v3, v[17:20]
	flat_load_b128 v[17:20], v[9:10]
	v_add_co_u32 v9, vcc_lo, 0x80, v11
	s_wait_alu 0xfffd
	v_add_co_ci_u32_e64 v10, null, 0, v12, vcc_lo
	s_clause 0x1
	scratch_store_b32 off, v8, off
	scratch_store_b96 off, v[0:2], off offset:4
	v_cndmask_b32_e64 v9, 0, v9, s2
	v_add_co_u32 v13, vcc_lo, 0x80, v15
	v_cndmask_b32_e64 v10, s27, v10, s2
	s_wait_alu 0xfffd
	v_add_co_ci_u32_e64 v14, null, 0, v16, vcc_lo
	s_delay_alu instid0(VALU_DEP_3) | instskip(SKIP_1) | instid1(VALU_DEP_3)
	v_cndmask_b32_e64 v13, 0, v13, s4
	v_cmp_gt_i32_e64 s2, s7, v115
	v_cndmask_b32_e64 v14, s27, v14, s4
	s_cselect_b32 s4, -1, 0
	s_wait_loadcnt_dscnt 0x0
	ds_store_b128 v3, v[17:20] offset:2304
	flat_load_b128 v[9:12], v[9:10]
	s_clause 0x1
	scratch_store_b32 off, v8, off
	scratch_store_b96 off, v[0:2], off offset:4
	s_wait_loadcnt_dscnt 0x0
	ds_store_b128 v3, v[9:12] offset:4608
	flat_load_b128 v[9:12], v[13:14]
	s_wait_loadcnt_dscnt 0x0
	ds_store_b128 v3, v[9:12] offset:6912
	s_wait_storecnt_dscnt 0x0
	s_barrier_signal -1
	s_barrier_wait -1
	global_inv scope:SCOPE_SE
	ds_load_b128 v[0:3], v31
	ds_load_b128 v[9:12], v30 offset:9344
	ds_load_b128 v[13:16], v30 offset:9600
	ds_load_b128 v[17:20], v31 offset:4608
	s_wait_dscnt 0x2
	;;#ASMSTART
	v_dot2_f32_f16 v6, v0, v9, v6
	;;#ASMEND
	;;#ASMSTART
	v_dot2_f32_f16 v6, v1, v10, v6
	;;#ASMEND
	;;#ASMSTART
	v_dot2_f32_f16 v6, v2, v11, v6
	;;#ASMEND
	;;#ASMSTART
	v_dot2_f32_f16 v6, v3, v12, v6
	;;#ASMEND
	s_wait_dscnt 0x1
	;;#ASMSTART
	v_dot2_f32_f16 v4, v0, v13, v4
	;;#ASMEND
	;;#ASMSTART
	v_dot2_f32_f16 v4, v1, v14, v4
	;;#ASMEND
	;;#ASMSTART
	v_dot2_f32_f16 v4, v2, v15, v4
	;;#ASMEND
	;;#ASMSTART
	v_dot2_f32_f16 v4, v3, v16, v4
	;;#ASMEND
	s_wait_dscnt 0x0
	;;#ASMSTART
	v_dot2_f32_f16 v7, v17, v9, v7
	;;#ASMEND
	;;#ASMSTART
	v_dot2_f32_f16 v7, v18, v10, v7
	;;#ASMEND
	;;#ASMSTART
	v_dot2_f32_f16 v7, v19, v11, v7
	;;#ASMEND
	;;#ASMSTART
	v_dot2_f32_f16 v7, v20, v12, v7
	;;#ASMEND
	;;#ASMSTART
	v_dot2_f32_f16 v5, v17, v13, v5
	;;#ASMEND
	;;#ASMSTART
	v_dot2_f32_f16 v5, v18, v14, v5
	;;#ASMEND
	;;#ASMSTART
	v_dot2_f32_f16 v5, v19, v15, v5
	;;#ASMEND
	;;#ASMSTART
	v_dot2_f32_f16 v5, v20, v16, v5
	;;#ASMEND
	ds_load_b128 v[0:3], v31 offset:16
	ds_load_b128 v[9:12], v30 offset:9360
	ds_load_b128 v[13:16], v30 offset:9616
	ds_load_b128 v[17:20], v31 offset:4624
	s_wait_dscnt 0x2
	;;#ASMSTART
	v_dot2_f32_f16 v6, v0, v9, v6
	;;#ASMEND
	;;#ASMSTART
	v_dot2_f32_f16 v6, v1, v10, v6
	;;#ASMEND
	;;#ASMSTART
	v_dot2_f32_f16 v6, v2, v11, v6
	;;#ASMEND
	;;#ASMSTART
	v_dot2_f32_f16 v6, v3, v12, v6
	;;#ASMEND
	s_wait_dscnt 0x1
	;;#ASMSTART
	v_dot2_f32_f16 v4, v0, v13, v4
	;;#ASMEND
	;;#ASMSTART
	v_dot2_f32_f16 v4, v1, v14, v4
	;;#ASMEND
	;;#ASMSTART
	v_dot2_f32_f16 v4, v2, v15, v4
	;;#ASMEND
	;;#ASMSTART
	v_dot2_f32_f16 v4, v3, v16, v4
	;;#ASMEND
	s_wait_dscnt 0x0
	;;#ASMSTART
	v_dot2_f32_f16 v7, v17, v9, v7
	;;#ASMEND
	;;#ASMSTART
	v_dot2_f32_f16 v7, v18, v10, v7
	;;#ASMEND
	;;#ASMSTART
	v_dot2_f32_f16 v7, v19, v11, v7
	;;#ASMEND
	;;#ASMSTART
	v_dot2_f32_f16 v7, v20, v12, v7
	;;#ASMEND
	;;#ASMSTART
	v_dot2_f32_f16 v5, v17, v13, v5
	;;#ASMEND
	;;#ASMSTART
	v_dot2_f32_f16 v5, v18, v14, v5
	;;#ASMEND
	;;#ASMSTART
	v_dot2_f32_f16 v5, v19, v15, v5
	;;#ASMEND
	;;#ASMSTART
	v_dot2_f32_f16 v5, v20, v16, v5
	;;#ASMEND
	ds_load_b128 v[0:3], v31 offset:32
	ds_load_b128 v[9:12], v30 offset:9376
	ds_load_b128 v[13:16], v30 offset:9632
	ds_load_b128 v[17:20], v31 offset:4640
	s_wait_dscnt 0x2
	;;#ASMSTART
	v_dot2_f32_f16 v6, v0, v9, v6
	;;#ASMEND
	;;#ASMSTART
	v_dot2_f32_f16 v6, v1, v10, v6
	;;#ASMEND
	;;#ASMSTART
	v_dot2_f32_f16 v6, v2, v11, v6
	;;#ASMEND
	;;#ASMSTART
	v_dot2_f32_f16 v6, v3, v12, v6
	;;#ASMEND
	s_wait_dscnt 0x1
	;;#ASMSTART
	v_dot2_f32_f16 v4, v0, v13, v4
	;;#ASMEND
	;;#ASMSTART
	v_dot2_f32_f16 v4, v1, v14, v4
	;;#ASMEND
	;;#ASMSTART
	v_dot2_f32_f16 v4, v2, v15, v4
	;;#ASMEND
	;;#ASMSTART
	v_dot2_f32_f16 v4, v3, v16, v4
	;;#ASMEND
	s_wait_dscnt 0x0
	;;#ASMSTART
	v_dot2_f32_f16 v7, v17, v9, v7
	;;#ASMEND
	;;#ASMSTART
	v_dot2_f32_f16 v7, v18, v10, v7
	;;#ASMEND
	;;#ASMSTART
	v_dot2_f32_f16 v7, v19, v11, v7
	;;#ASMEND
	;;#ASMSTART
	v_dot2_f32_f16 v7, v20, v12, v7
	;;#ASMEND
	;;#ASMSTART
	v_dot2_f32_f16 v5, v17, v13, v5
	;;#ASMEND
	;;#ASMSTART
	v_dot2_f32_f16 v5, v18, v14, v5
	;;#ASMEND
	;;#ASMSTART
	v_dot2_f32_f16 v5, v19, v15, v5
	;;#ASMEND
	;;#ASMSTART
	v_dot2_f32_f16 v5, v20, v16, v5
	;;#ASMEND
	ds_load_b128 v[0:3], v31 offset:48
	ds_load_b128 v[9:12], v30 offset:9392
	ds_load_b128 v[13:16], v30 offset:9648
	ds_load_b128 v[17:20], v31 offset:4656
	s_wait_dscnt 0x2
	;;#ASMSTART
	v_dot2_f32_f16 v6, v0, v9, v6
	;;#ASMEND
	;;#ASMSTART
	v_dot2_f32_f16 v6, v1, v10, v6
	;;#ASMEND
	;;#ASMSTART
	v_dot2_f32_f16 v6, v2, v11, v6
	;;#ASMEND
	;;#ASMSTART
	v_dot2_f32_f16 v6, v3, v12, v6
	;;#ASMEND
	s_wait_dscnt 0x1
	;;#ASMSTART
	v_dot2_f32_f16 v4, v0, v13, v4
	;;#ASMEND
	;;#ASMSTART
	v_dot2_f32_f16 v4, v1, v14, v4
	;;#ASMEND
	;;#ASMSTART
	v_dot2_f32_f16 v4, v2, v15, v4
	;;#ASMEND
	;;#ASMSTART
	v_dot2_f32_f16 v4, v3, v16, v4
	;;#ASMEND
	s_wait_dscnt 0x0
	;;#ASMSTART
	v_dot2_f32_f16 v7, v17, v9, v7
	;;#ASMEND
	;;#ASMSTART
	v_dot2_f32_f16 v7, v18, v10, v7
	;;#ASMEND
	;;#ASMSTART
	v_dot2_f32_f16 v7, v19, v11, v7
	;;#ASMEND
	;;#ASMSTART
	v_dot2_f32_f16 v7, v20, v12, v7
	;;#ASMEND
	;;#ASMSTART
	v_dot2_f32_f16 v5, v17, v13, v5
	;;#ASMEND
	;;#ASMSTART
	v_dot2_f32_f16 v5, v18, v14, v5
	;;#ASMEND
	;;#ASMSTART
	v_dot2_f32_f16 v5, v19, v15, v5
	;;#ASMEND
	;;#ASMSTART
	v_dot2_f32_f16 v5, v20, v16, v5
	;;#ASMEND
	ds_load_b128 v[0:3], v31 offset:64
	ds_load_b128 v[9:12], v30 offset:9408
	ds_load_b128 v[13:16], v30 offset:9664
	ds_load_b128 v[17:20], v31 offset:4672
	s_wait_dscnt 0x2
	;;#ASMSTART
	v_dot2_f32_f16 v6, v0, v9, v6
	;;#ASMEND
	;;#ASMSTART
	v_dot2_f32_f16 v6, v1, v10, v6
	;;#ASMEND
	;;#ASMSTART
	v_dot2_f32_f16 v6, v2, v11, v6
	;;#ASMEND
	;;#ASMSTART
	v_dot2_f32_f16 v6, v3, v12, v6
	;;#ASMEND
	s_wait_dscnt 0x1
	;;#ASMSTART
	v_dot2_f32_f16 v4, v0, v13, v4
	;;#ASMEND
	;;#ASMSTART
	v_dot2_f32_f16 v4, v1, v14, v4
	;;#ASMEND
	;;#ASMSTART
	v_dot2_f32_f16 v4, v2, v15, v4
	;;#ASMEND
	;;#ASMSTART
	v_dot2_f32_f16 v4, v3, v16, v4
	;;#ASMEND
	s_wait_dscnt 0x0
	;;#ASMSTART
	v_dot2_f32_f16 v7, v17, v9, v7
	;;#ASMEND
	;;#ASMSTART
	v_dot2_f32_f16 v7, v18, v10, v7
	;;#ASMEND
	;;#ASMSTART
	v_dot2_f32_f16 v7, v19, v11, v7
	;;#ASMEND
	;;#ASMSTART
	v_dot2_f32_f16 v7, v20, v12, v7
	;;#ASMEND
	;;#ASMSTART
	v_dot2_f32_f16 v5, v17, v13, v5
	;;#ASMEND
	;;#ASMSTART
	v_dot2_f32_f16 v5, v18, v14, v5
	;;#ASMEND
	;;#ASMSTART
	v_dot2_f32_f16 v5, v19, v15, v5
	;;#ASMEND
	;;#ASMSTART
	v_dot2_f32_f16 v5, v20, v16, v5
	;;#ASMEND
	ds_load_b128 v[0:3], v31 offset:80
	ds_load_b128 v[9:12], v30 offset:9424
	ds_load_b128 v[13:16], v30 offset:9680
	ds_load_b128 v[17:20], v31 offset:4688
	s_wait_dscnt 0x2
	;;#ASMSTART
	v_dot2_f32_f16 v6, v0, v9, v6
	;;#ASMEND
	;;#ASMSTART
	v_dot2_f32_f16 v6, v1, v10, v6
	;;#ASMEND
	;;#ASMSTART
	v_dot2_f32_f16 v6, v2, v11, v6
	;;#ASMEND
	;;#ASMSTART
	v_dot2_f32_f16 v6, v3, v12, v6
	;;#ASMEND
	s_wait_dscnt 0x1
	;;#ASMSTART
	v_dot2_f32_f16 v4, v0, v13, v4
	;;#ASMEND
	;;#ASMSTART
	v_dot2_f32_f16 v4, v1, v14, v4
	;;#ASMEND
	;;#ASMSTART
	v_dot2_f32_f16 v4, v2, v15, v4
	;;#ASMEND
	;;#ASMSTART
	v_dot2_f32_f16 v4, v3, v16, v4
	;;#ASMEND
	s_wait_dscnt 0x0
	;;#ASMSTART
	v_dot2_f32_f16 v7, v17, v9, v7
	;;#ASMEND
	;;#ASMSTART
	v_dot2_f32_f16 v7, v18, v10, v7
	;;#ASMEND
	;;#ASMSTART
	v_dot2_f32_f16 v7, v19, v11, v7
	;;#ASMEND
	;;#ASMSTART
	v_dot2_f32_f16 v7, v20, v12, v7
	;;#ASMEND
	;;#ASMSTART
	v_dot2_f32_f16 v5, v17, v13, v5
	;;#ASMEND
	;;#ASMSTART
	v_dot2_f32_f16 v5, v18, v14, v5
	;;#ASMEND
	;;#ASMSTART
	v_dot2_f32_f16 v5, v19, v15, v5
	;;#ASMEND
	;;#ASMSTART
	v_dot2_f32_f16 v5, v20, v16, v5
	;;#ASMEND
	ds_load_b128 v[0:3], v31 offset:96
	ds_load_b128 v[9:12], v30 offset:9440
	ds_load_b128 v[13:16], v30 offset:9696
	ds_load_b128 v[17:20], v31 offset:4704
	s_wait_dscnt 0x2
	;;#ASMSTART
	v_dot2_f32_f16 v6, v0, v9, v6
	;;#ASMEND
	;;#ASMSTART
	v_dot2_f32_f16 v6, v1, v10, v6
	;;#ASMEND
	;;#ASMSTART
	v_dot2_f32_f16 v6, v2, v11, v6
	;;#ASMEND
	;;#ASMSTART
	v_dot2_f32_f16 v6, v3, v12, v6
	;;#ASMEND
	s_wait_dscnt 0x1
	;;#ASMSTART
	v_dot2_f32_f16 v4, v0, v13, v4
	;;#ASMEND
	;;#ASMSTART
	v_dot2_f32_f16 v4, v1, v14, v4
	;;#ASMEND
	;;#ASMSTART
	v_dot2_f32_f16 v4, v2, v15, v4
	;;#ASMEND
	;;#ASMSTART
	v_dot2_f32_f16 v4, v3, v16, v4
	;;#ASMEND
	s_wait_dscnt 0x0
	;;#ASMSTART
	v_dot2_f32_f16 v7, v17, v9, v7
	;;#ASMEND
	;;#ASMSTART
	v_dot2_f32_f16 v7, v18, v10, v7
	;;#ASMEND
	;;#ASMSTART
	v_dot2_f32_f16 v7, v19, v11, v7
	;;#ASMEND
	;;#ASMSTART
	v_dot2_f32_f16 v7, v20, v12, v7
	;;#ASMEND
	;;#ASMSTART
	v_dot2_f32_f16 v5, v17, v13, v5
	;;#ASMEND
	;;#ASMSTART
	v_dot2_f32_f16 v5, v18, v14, v5
	;;#ASMEND
	;;#ASMSTART
	v_dot2_f32_f16 v5, v19, v15, v5
	;;#ASMEND
	;;#ASMSTART
	v_dot2_f32_f16 v5, v20, v16, v5
	;;#ASMEND
	ds_load_b128 v[10:13], v31 offset:112
	ds_load_b128 v[14:17], v30 offset:9456
	ds_load_b128 v[18:21], v30 offset:9712
	;; [unrolled: 1-line block ×3, first 2 shown]
	s_wait_dscnt 0x2
	;;#ASMSTART
	v_dot2_f32_f16 v6, v10, v14, v6
	;;#ASMEND
	;;#ASMSTART
	v_dot2_f32_f16 v6, v11, v15, v6
	;;#ASMEND
	;; [unrolled: 3-line block ×4, first 2 shown]
	s_wait_dscnt 0x1
	;;#ASMSTART
	v_dot2_f32_f16 v4, v10, v18, v4
	;;#ASMEND
	v_mad_co_u64_u32 v[2:3], null, v29, s37, s[14:15]
	;;#ASMSTART
	v_dot2_f32_f16 v4, v11, v19, v4
	;;#ASMEND
	;;#ASMSTART
	v_dot2_f32_f16 v4, v12, v20, v4
	;;#ASMEND
	v_mov_b32_e32 v0, v100
	;;#ASMSTART
	v_dot2_f32_f16 v4, v13, v21, v4
	;;#ASMEND
	s_wait_dscnt 0x0
	;;#ASMSTART
	v_dot2_f32_f16 v7, v30, v14, v7
	;;#ASMEND
	v_mov_b32_e32 v1, v101
	s_wait_alu 0xfffe
	v_cndmask_b32_e64 v9, 0, 1, s4
	;;#ASMSTART
	v_dot2_f32_f16 v7, v31, v15, v7
	;;#ASMEND
	;;#ASMSTART
	v_dot2_f32_f16 v7, v32, v16, v7
	;;#ASMEND
	;; [unrolled: 3-line block ×7, first 2 shown]
	s_and_saveexec_b32 s3, s2
	s_cbranch_execz .LBB62_28
; %bb.25:
	s_and_not1_b32 vcc_lo, exec_lo, s4
	s_wait_alu 0xfffe
	s_cbranch_vccnz .LBB62_27
; %bb.26:
	v_add_nc_u32_e32 v0, v2, v115
	s_delay_alu instid0(VALU_DEP_1) | instskip(NEXT) | instid1(VALU_DEP_1)
	v_ashrrev_i32_e32 v1, 31, v0
	v_lshlrev_b64_e32 v[0:1], 1, v[0:1]
	s_delay_alu instid0(VALU_DEP_1) | instskip(SKIP_1) | instid1(VALU_DEP_2)
	v_add_co_u32 v0, vcc_lo, s34, v0
	s_wait_alu 0xfffd
	v_add_co_ci_u32_e64 v1, null, s35, v1, vcc_lo
	global_load_u16 v0, v[0:1], off
	s_wait_loadcnt 0x0
	v_cvt_f32_f16_e32 v0, v0
	s_delay_alu instid0(VALU_DEP_1)
	v_mul_f32_e32 v8, v25, v0
.LBB62_27:
	s_delay_alu instid0(VALU_DEP_1) | instskip(NEXT) | instid1(VALU_DEP_1)
	v_add_f32_e32 v6, v6, v8
	v_dual_max_num_f32 v0, v100, v100 :: v_dual_add_f32 v1, 0x40051340, v6
	s_delay_alu instid0(VALU_DEP_1)
	v_dual_max_num_f32 v0, v0, v1 :: v_dual_mov_b32 v1, v101
.LBB62_28:
	s_wait_alu 0xfffe
	s_or_b32 exec_lo, exec_lo, s3
	v_add_nc_u32_e32 v8, 32, v115
	s_delay_alu instid0(VALU_DEP_1)
	v_cmp_gt_i32_e64 s3, s7, v8
	s_and_saveexec_b32 s4, s3
	s_cbranch_execz .LBB62_33
; %bb.29:
	v_cmp_ne_u32_e32 vcc_lo, 1, v9
	s_cbranch_vccnz .LBB62_31
; %bb.30:
	v_ashrrev_i32_e32 v3, 31, v2
	v_add_co_u32 v2, vcc_lo, v2, v115
	s_wait_alu 0xfffd
	s_delay_alu instid0(VALU_DEP_2) | instskip(NEXT) | instid1(VALU_DEP_1)
	v_add_co_ci_u32_e64 v3, null, 0, v3, vcc_lo
	v_lshlrev_b64_e32 v[2:3], 1, v[2:3]
	s_delay_alu instid0(VALU_DEP_1) | instskip(SKIP_1) | instid1(VALU_DEP_2)
	v_add_co_u32 v2, vcc_lo, s34, v2
	s_wait_alu 0xfffd
	v_add_co_ci_u32_e64 v3, null, s35, v3, vcc_lo
	global_load_u16 v2, v[2:3], off offset:64
	s_wait_loadcnt 0x0
	v_cvt_f32_f16_e32 v2, v2
	s_delay_alu instid0(VALU_DEP_1)
	v_mul_f32_e32 v2, v25, v2
	s_branch .LBB62_32
.LBB62_31:
	v_mov_b32_e32 v2, 0
.LBB62_32:
	s_delay_alu instid0(VALU_DEP_1) | instskip(NEXT) | instid1(VALU_DEP_1)
	v_dual_add_f32 v7, v7, v2 :: v_dual_max_num_f32 v0, v0, v0
	v_add_f32_e32 v2, 0x40051340, v7
	s_delay_alu instid0(VALU_DEP_1)
	v_max_num_f32_e32 v0, v0, v2
.LBB62_33:
	s_wait_alu 0xfffe
	s_or_b32 exec_lo, exec_lo, s4
	v_xor_b32_e32 v125, 16, v116
	v_xor_b32_e32 v124, 8, v116
	;; [unrolled: 1-line block ×5, first 2 shown]
	v_cmp_gt_i32_e32 vcc_lo, 32, v125
	v_mul_hi_u32 v14, s20, v28
	v_max_num_f32_e32 v11, v0, v0
	s_wait_alu 0xfffd
	v_dual_mov_b32 v129, 32 :: v_dual_cndmask_b32 v2, v116, v125
	v_cmp_gt_i32_e32 vcc_lo, 32, v124
	s_wait_alu 0xfffd
	s_delay_alu instid0(VALU_DEP_2)
	v_dual_cndmask_b32 v3, v116, v124 :: v_dual_lshlrev_b32 v10, 2, v2
	v_cmp_gt_i32_e32 vcc_lo, 32, v126
	ds_bpermute_b32 v2, v10, v0
	v_lshlrev_b32_e32 v0, 2, v3
	s_wait_dscnt 0x0
	v_max_num_f32_e32 v2, v2, v2
	s_delay_alu instid0(VALU_DEP_1) | instskip(SKIP_3) | instid1(VALU_DEP_2)
	v_max_num_f32_e32 v2, v11, v2
	s_wait_alu 0xfffd
	v_cndmask_b32_e32 v11, v116, v126, vcc_lo
	v_cmp_gt_i32_e32 vcc_lo, 32, v127
	v_lshlrev_b32_e32 v11, 2, v11
	ds_bpermute_b32 v3, v0, v2
	s_wait_alu 0xfffd
	v_cndmask_b32_e32 v12, v116, v127, vcc_lo
	v_cmp_gt_i32_e32 vcc_lo, 32, v128
	s_wait_alu 0xfffd
	v_cndmask_b32_e32 v13, v116, v128, vcc_lo
	s_delay_alu instid0(VALU_DEP_1) | instskip(SKIP_2) | instid1(VALU_DEP_1)
	v_lshlrev_b32_e32 v13, 2, v13
	s_wait_dscnt 0x0
	v_dual_max_num_f32 v3, v3, v3 :: v_dual_lshlrev_b32 v12, 2, v12
	v_max_num_f32_e32 v2, v2, v3
	ds_bpermute_b32 v3, v11, v2
	s_wait_dscnt 0x0
	v_max_num_f32_e32 v3, v3, v3
	s_delay_alu instid0(VALU_DEP_1) | instskip(SKIP_3) | instid1(VALU_DEP_1)
	v_max_num_f32_e32 v2, v2, v3
	ds_bpermute_b32 v3, v12, v2
	s_wait_dscnt 0x0
	v_max_num_f32_e32 v3, v3, v3
	v_dual_max_num_f32 v15, v2, v3 :: v_dual_add_nc_u32 v2, v28, v14
	ds_bpermute_b32 v3, v13, v15
	v_lshrrev_b32_e32 v2, s21, v2
	s_delay_alu instid0(VALU_DEP_1) | instskip(NEXT) | instid1(VALU_DEP_1)
	v_mul_lo_u32 v2, v2, s22
	v_sub_nc_u32_e32 v2, v28, v2
	s_wait_dscnt 0x0
	v_max_num_f32_e32 v14, v3, v3
	s_delay_alu instid0(VALU_DEP_2) | instskip(NEXT) | instid1(VALU_DEP_2)
	v_mad_co_u64_u32 v[2:3], null, v2, s37, s[14:15]
	v_max_num_f32_e32 v102, v15, v14
	s_and_saveexec_b32 s4, s2
	s_cbranch_execz .LBB62_38
; %bb.34:
	v_cmp_ne_u32_e32 vcc_lo, 1, v9
	s_cbranch_vccnz .LBB62_36
; %bb.35:
	s_delay_alu instid0(VALU_DEP_3) | instskip(NEXT) | instid1(VALU_DEP_1)
	v_add_nc_u32_e32 v14, v2, v115
	v_ashrrev_i32_e32 v15, 31, v14
	s_delay_alu instid0(VALU_DEP_1) | instskip(NEXT) | instid1(VALU_DEP_1)
	v_lshlrev_b64_e32 v[14:15], 1, v[14:15]
	v_add_co_u32 v14, vcc_lo, s34, v14
	s_wait_alu 0xfffd
	s_delay_alu instid0(VALU_DEP_2) | instskip(SKIP_3) | instid1(VALU_DEP_1)
	v_add_co_ci_u32_e64 v15, null, s35, v15, vcc_lo
	global_load_u16 v3, v[14:15], off
	s_wait_loadcnt 0x0
	v_cvt_f32_f16_e32 v3, v3
	v_mul_f32_e32 v3, v25, v3
	s_branch .LBB62_37
.LBB62_36:
	v_mov_b32_e32 v3, 0
.LBB62_37:
	s_delay_alu instid0(VALU_DEP_1) | instskip(NEXT) | instid1(VALU_DEP_1)
	v_dual_add_f32 v4, v4, v3 :: v_dual_max_num_f32 v1, v1, v1
	v_add_f32_e32 v3, 0x40051340, v4
	s_delay_alu instid0(VALU_DEP_1)
	v_max_num_f32_e32 v1, v1, v3
.LBB62_38:
	s_wait_alu 0xfffe
	s_or_b32 exec_lo, exec_lo, s4
	s_and_saveexec_b32 s2, s3
	s_cbranch_execz .LBB62_43
; %bb.39:
	v_cmp_ne_u32_e32 vcc_lo, 1, v9
	s_cbranch_vccnz .LBB62_41
; %bb.40:
	v_ashrrev_i32_e32 v3, 31, v2
	v_add_co_u32 v2, vcc_lo, v2, v115
	s_wait_alu 0xfffd
	s_delay_alu instid0(VALU_DEP_2) | instskip(NEXT) | instid1(VALU_DEP_1)
	v_add_co_ci_u32_e64 v3, null, 0, v3, vcc_lo
	v_lshlrev_b64_e32 v[2:3], 1, v[2:3]
	s_delay_alu instid0(VALU_DEP_1) | instskip(SKIP_1) | instid1(VALU_DEP_2)
	v_add_co_u32 v2, vcc_lo, s34, v2
	s_wait_alu 0xfffd
	v_add_co_ci_u32_e64 v3, null, s35, v3, vcc_lo
	global_load_u16 v2, v[2:3], off offset:64
	s_wait_loadcnt 0x0
	v_cvt_f32_f16_e32 v2, v2
	s_delay_alu instid0(VALU_DEP_1)
	v_mul_f32_e32 v2, v25, v2
	s_branch .LBB62_42
.LBB62_41:
	v_mov_b32_e32 v2, 0
.LBB62_42:
	s_delay_alu instid0(VALU_DEP_1) | instskip(SKIP_1) | instid1(VALU_DEP_2)
	v_add_f32_e32 v5, v5, v2
	v_max_num_f32_e32 v1, v1, v1
	v_add_f32_e32 v2, 0x40051340, v5
	s_delay_alu instid0(VALU_DEP_1)
	v_max_num_f32_e32 v1, v1, v2
.LBB62_43:
	s_wait_alu 0xfffe
	s_or_b32 exec_lo, exec_lo, s2
	ds_bpermute_b32 v2, v10, v1
	v_max_num_f32_e32 v1, v1, v1
	s_mov_b32 s24, 0
	s_mov_b64 s[4:5], src_private_base
	s_wait_alu 0xfffe
	s_mov_b32 s26, s24
	s_mov_b32 s25, s24
	s_ashr_i32 s11, s10, 31
	s_wait_loadcnt_dscnt 0x0
	s_wait_alu 0xfffe
	s_mul_u64 s[2:3], s[14:15], s[10:11]
	s_barrier_signal -1
	s_wait_alu 0xfffe
	s_lshl_b64 s[2:3], s[2:3], 2
	s_barrier_wait -1
	s_wait_alu 0xfffe
	s_add_nc_u64 s[20:21], s[8:9], s[2:3]
	global_inv scope:SCOPE_SE
	s_sub_co_i32 s4, s7, 32
	v_dual_sub_f32 v3, v6, v102 :: v_dual_mov_b32 v34, s26
	v_dual_mov_b32 v33, s25 :: v_dual_lshlrev_b32 v130, 8, v24
	v_mov_b32_e32 v32, s24
	v_max_num_f32_e32 v2, v2, v2
	s_delay_alu instid0(VALU_DEP_4) | instskip(SKIP_2) | instid1(VALU_DEP_4)
	v_cmp_ngt_f32_e32 vcc_lo, 0xc2ce8ed0, v3
	v_dual_sub_f32 v6, v7, v102 :: v_dual_lshlrev_b32 v35, 2, v27
	v_mul_f32_e32 v7, 0x3fb8aa3b, v3
	v_dual_max_num_f32 v1, v1, v2 :: v_dual_add_nc_u32 v2, v26, v112
	v_mov_b32_e32 v137, 0
	s_delay_alu instid0(VALU_DEP_4)
	v_cmp_nlt_f32_e64 s2, 0x42b17218, v6
	v_add_nc_u32_e32 v133, 0x800, v117
	ds_bpermute_b32 v0, v0, v1
	v_mul_lo_u32 v9, s10, v2
	v_add_nc_u32_e32 v141, 8, v2
	v_add_nc_u32_e32 v143, 16, v2
	;; [unrolled: 1-line block ×3, first 2 shown]
	v_lshl_or_b32 v140, v2, 8, v35
	s_delay_alu instid0(VALU_DEP_4) | instskip(NEXT) | instid1(VALU_DEP_4)
	v_lshl_or_b32 v142, v141, 8, v35
	v_lshl_or_b32 v144, v143, 8, v35
	s_delay_alu instid0(VALU_DEP_4) | instskip(SKIP_2) | instid1(VALU_DEP_1)
	v_lshl_or_b32 v136, v145, 8, v35
	s_wait_dscnt 0x0
	v_max_num_f32_e32 v0, v0, v0
	v_max_num_f32_e32 v0, v1, v0
	ds_bpermute_b32 v1, v11, v0
	v_add_nc_u32_e32 v11, 0x2c00, v130
	s_clause 0x1
	scratch_store_b32 off, v137, off
	scratch_store_b96 off, v[32:34], off offset:4
	s_wait_dscnt 0x0
	v_max_num_f32_e32 v1, v1, v1
	s_delay_alu instid0(VALU_DEP_1) | instskip(SKIP_3) | instid1(VALU_DEP_1)
	v_max_num_f32_e32 v0, v0, v1
	ds_bpermute_b32 v1, v12, v0
	v_fma_f32 v12, 0x3fb8aa3b, v3, -v7
	s_wait_dscnt 0x0
	v_dual_fmac_f32 v12, 0x32a5705f, v3 :: v_dual_max_num_f32 v1, v1, v1
	s_delay_alu instid0(VALU_DEP_1)
	v_max_num_f32_e32 v0, v0, v1
	ds_bpermute_b32 v1, v13, v0
	v_mul_f32_e32 v10, 0x3fb8aa3b, v6
	v_rndne_f32_e32 v13, v7
	s_wait_dscnt 0x0
	v_max_num_f32_e32 v1, v1, v1
	s_delay_alu instid0(VALU_DEP_1)
	v_max_num_f32_e32 v103, v0, v1
	v_rndne_f32_e32 v1, v10
	v_sub_f32_e32 v7, v7, v13
	v_fma_f32 v0, 0x3fb8aa3b, v6, -v10
	v_cvt_i32_f32_e32 v13, v13
	v_sub_f32_e32 v4, v4, v103
	s_delay_alu instid0(VALU_DEP_4) | instskip(NEXT) | instid1(VALU_DEP_4)
	v_dual_sub_f32 v10, v10, v1 :: v_dual_add_f32 v7, v7, v12
	v_dual_fmac_f32 v0, 0x32a5705f, v6 :: v_dual_sub_f32 v5, v5, v103
	s_delay_alu instid0(VALU_DEP_3) | instskip(SKIP_1) | instid1(VALU_DEP_4)
	v_mul_f32_e32 v12, 0x3fb8aa3b, v4
	v_cmp_nlt_f32_e64 s3, 0x42b17218, v4
	v_exp_f32_e32 v7, v7
	s_delay_alu instid0(VALU_DEP_3) | instskip(NEXT) | instid1(VALU_DEP_3)
	v_mul_f32_e32 v15, 0x3fb8aa3b, v5
	v_fma_f32 v16, 0x3fb8aa3b, v4, -v12
	v_rndne_f32_e32 v17, v12
	s_delay_alu instid0(VALU_DEP_3) | instskip(SKIP_1) | instid1(VALU_DEP_4)
	v_fma_f32 v18, 0x3fb8aa3b, v5, -v15
	v_rndne_f32_e32 v19, v15
	v_fmac_f32_e32 v16, 0x32a5705f, v4
	s_delay_alu instid0(TRANS32_DEP_1) | instskip(SKIP_2) | instid1(VALU_DEP_2)
	v_ldexp_f32 v7, v7, v13
	v_add_nc_u32_e32 v14, v11, v113
	s_wait_alu 0xfffd
	v_dual_fmac_f32 v18, 0x32a5705f, v5 :: v_dual_cndmask_b32 v7, 0, v7
	v_add_f32_e32 v0, v10, v0
	v_ashrrev_i32_e32 v10, 31, v9
	v_cmp_ngt_f32_e32 vcc_lo, 0xc2ce8ed0, v6
	s_delay_alu instid0(VALU_DEP_3) | instskip(SKIP_3) | instid1(VALU_DEP_3)
	v_exp_f32_e32 v20, v0
	v_sub_f32_e32 v0, v12, v17
	v_sub_f32_e32 v12, v15, v19
	v_cvt_i32_f32_e32 v15, v1
	v_add_f32_e32 v16, v0, v16
	s_delay_alu instid0(VALU_DEP_3)
	v_add_f32_e32 v12, v12, v18
	v_lshlrev_b64_e32 v[0:1], 2, v[9:10]
	s_delay_alu instid0(TRANS32_DEP_1) | instid1(VALU_DEP_4)
	v_ldexp_f32 v10, v20, v15
	s_delay_alu instid0(VALU_DEP_4) | instskip(NEXT) | instid1(VALU_DEP_3)
	v_exp_f32_e32 v13, v16
	v_exp_f32_e32 v12, v12
	v_cvt_i32_f32_e32 v15, v17
	v_cvt_i32_f32_e32 v16, v19
	s_wait_alu 0xfffd
	v_cndmask_b32_e32 v10, 0, v10, vcc_lo
	v_cmp_nlt_f32_e32 vcc_lo, 0x42b17218, v3
	s_wait_alu 0xf1ff
	s_delay_alu instid0(VALU_DEP_2)
	v_cndmask_b32_e64 v6, 0x7f800000, v10, s2
	s_wait_alu 0xfffd
	v_cndmask_b32_e32 v3, 0x7f800000, v7, vcc_lo
	v_ldexp_f32 v7, v13, v15
	v_cmp_ngt_f32_e64 s2, 0xc2ce8ed0, v4
	v_ldexp_f32 v12, v12, v16
	v_cmp_gt_u32_e32 vcc_lo, s7, v115
	s_wait_alu 0xf1ff
	s_delay_alu instid0(VALU_DEP_3) | instskip(SKIP_3) | instid1(VALU_DEP_3)
	v_cndmask_b32_e64 v7, 0, v7, s2
	v_cmp_ngt_f32_e64 s2, 0xc2ce8ed0, v5
	s_wait_alu 0xfffd
	v_cndmask_b32_e32 v138, 0, v3, vcc_lo
	v_cndmask_b32_e64 v4, 0x7f800000, v7, s3
	s_wait_alu 0xf1ff
	v_cndmask_b32_e64 v10, 0, v12, s2
	v_cmp_nlt_f32_e64 s3, 0x42b17218, v5
	v_cmp_gt_u32_e64 s2, s7, v8
	v_lshl_add_u32 v8, v8, 2, v11
	v_cndmask_b32_e32 v131, 0, v4, vcc_lo
	s_wait_alu 0xf1ff
	v_cndmask_b32_e64 v5, 0x7f800000, v10, s3
	s_wait_alu 0xfffe
	v_add_co_u32 v7, s3, s20, v0
	s_wait_alu 0xf1ff
	v_add_co_ci_u32_e64 v10, null, s21, v1, s3
	v_cndmask_b32_e64 v139, 0, v6, s2
	v_cndmask_b32_e64 v132, 0, v5, s2
	v_add_co_u32 v3, vcc_lo, v7, v35
	v_cvt_f16_f32_e64 v5, v138
	v_cvt_f16_f32_e64 v7, v131
	s_wait_alu 0xfffd
	v_add_co_ci_u32_e64 v4, null, 0, v10, vcc_lo
	v_cvt_f16_f32_e64 v6, v139
	v_cvt_f16_f32_e64 v10, v132
	v_cmp_gt_i32_e32 vcc_lo, s7, v2
	v_pack_b32_f16 v5, v5, v7
	s_lshl_b32 s2, s10, 3
	v_add_nc_u32_e32 v134, 0x1800, v117
	v_pack_b32_f16 v6, v6, v10
	s_wait_alu 0xfffd
	v_cndmask_b32_e32 v4, s5, v4, vcc_lo
	v_cndmask_b32_e32 v3, 0, v3, vcc_lo
	ds_store_b32 v14, v5
	ds_store_b32 v8, v6
	s_wait_alu 0xfffe
	v_add_nc_u32_e32 v7, s2, v9
	flat_load_b128 v[3:6], v[3:4]
	s_clause 0x1
	scratch_store_b32 off, v137, off
	scratch_store_b96 off, v[32:34], off offset:4
	v_ashrrev_i32_e32 v8, 31, v7
	s_delay_alu instid0(VALU_DEP_1) | instskip(SKIP_1) | instid1(VALU_DEP_2)
	v_lshlrev_b64_e32 v[104:105], 2, v[7:8]
	v_add_nc_u32_e32 v7, s2, v7
	v_add_co_u32 v8, vcc_lo, s20, v104
	s_wait_alu 0xfffd
	s_delay_alu instid0(VALU_DEP_3) | instskip(NEXT) | instid1(VALU_DEP_2)
	v_add_co_ci_u32_e64 v9, null, s21, v105, vcc_lo
	v_add_co_u32 v8, vcc_lo, v8, v35
	s_wait_alu 0xfffd
	s_delay_alu instid0(VALU_DEP_2) | instskip(SKIP_2) | instid1(VALU_DEP_2)
	v_add_co_ci_u32_e64 v9, null, 0, v9, vcc_lo
	v_cmp_gt_i32_e32 vcc_lo, s7, v141
	s_wait_alu 0xfffd
	v_cndmask_b32_e32 v9, s5, v9, vcc_lo
	v_cndmask_b32_e32 v8, 0, v8, vcc_lo
	s_wait_loadcnt_dscnt 0x0
	ds_store_b128 v140, v[3:6]
	flat_load_b128 v[3:6], v[8:9]
	v_ashrrev_i32_e32 v8, 31, v7
	s_clause 0x1
	scratch_store_b32 off, v137, off
	scratch_store_b96 off, v[32:34], off offset:4
	v_lshlrev_b64_e32 v[106:107], 2, v[7:8]
	v_add_nc_u32_e32 v7, s2, v7
	s_or_b32 s2, s14, 32
	s_wait_alu 0xfffe
	s_ashr_i32 s3, s2, 31
	s_delay_alu instid0(VALU_DEP_2)
	v_add_co_u32 v8, vcc_lo, s20, v106
	s_wait_alu 0xfffd
	v_add_co_ci_u32_e64 v9, null, s21, v107, vcc_lo
	s_wait_alu 0xfffe
	s_mul_u64 s[2:3], s[2:3], s[10:11]
	v_add_co_u32 v8, vcc_lo, v8, v35
	s_wait_alu 0xfffd
	v_add_co_ci_u32_e64 v9, null, 0, v9, vcc_lo
	v_cmp_gt_i32_e32 vcc_lo, s7, v143
	s_wait_alu 0xfffe
	s_lshl_b64 s[2:3], s[2:3], 2
	s_wait_alu 0xfffe
	s_add_nc_u64 s[2:3], s[8:9], s[2:3]
	s_wait_alu 0xfffd
	v_cndmask_b32_e32 v9, s5, v9, vcc_lo
	v_cndmask_b32_e32 v8, 0, v8, vcc_lo
	s_wait_loadcnt_dscnt 0x0
	ds_store_b128 v142, v[3:6]
	flat_load_b128 v[3:6], v[8:9]
	v_ashrrev_i32_e32 v8, 31, v7
	s_clause 0x1
	scratch_store_b32 off, v137, off
	scratch_store_b96 off, v[32:34], off offset:4
	v_lshlrev_b64_e32 v[108:109], 2, v[7:8]
	s_delay_alu instid0(VALU_DEP_1) | instskip(SKIP_1) | instid1(VALU_DEP_2)
	v_add_co_u32 v7, vcc_lo, s20, v108
	s_wait_alu 0xfffd
	v_add_co_ci_u32_e64 v8, null, s21, v109, vcc_lo
	s_delay_alu instid0(VALU_DEP_2) | instskip(SKIP_1) | instid1(VALU_DEP_2)
	v_add_co_u32 v7, vcc_lo, v7, v35
	s_wait_alu 0xfffd
	v_add_co_ci_u32_e64 v8, null, 0, v8, vcc_lo
	v_cmp_gt_i32_e32 vcc_lo, s7, v145
	s_wait_alu 0xfffd
	s_delay_alu instid0(VALU_DEP_2)
	v_cndmask_b32_e32 v8, s5, v8, vcc_lo
	v_cndmask_b32_e32 v7, 0, v7, vcc_lo
	s_wait_alu 0xfffe
	v_add_co_u32 v0, vcc_lo, s2, v0
	s_wait_alu 0xfffd
	v_add_co_ci_u32_e64 v1, null, s3, v1, vcc_lo
	s_delay_alu instid0(VALU_DEP_2) | instskip(SKIP_1) | instid1(VALU_DEP_2)
	v_add_co_u32 v0, vcc_lo, v0, v35
	s_wait_alu 0xfffd
	v_add_co_ci_u32_e64 v1, null, 0, v1, vcc_lo
	v_cmp_gt_i32_e32 vcc_lo, s4, v2
	s_wait_alu 0xfffd
	v_dual_cndmask_b32 v146, 0, v0 :: v_dual_add_nc_u32 v135, 0x1000, v117
	s_delay_alu instid0(VALU_DEP_3) | instskip(SKIP_3) | instid1(VALU_DEP_2)
	v_cndmask_b32_e32 v147, s5, v1, vcc_lo
	v_add_co_u32 v104, vcc_lo, s2, v104
	s_wait_alu 0xfffd
	v_add_co_ci_u32_e64 v105, null, s3, v105, vcc_lo
	v_add_co_u32 v104, vcc_lo, v104, v35
	s_wait_alu 0xfffd
	s_delay_alu instid0(VALU_DEP_2) | instskip(SKIP_2) | instid1(VALU_DEP_2)
	v_add_co_ci_u32_e64 v105, null, 0, v105, vcc_lo
	v_cmp_gt_i32_e32 vcc_lo, s4, v141
	s_wait_alu 0xfffd
	v_cndmask_b32_e32 v105, s5, v105, vcc_lo
	v_cndmask_b32_e32 v104, 0, v104, vcc_lo
	s_wait_loadcnt_dscnt 0x0
	ds_store_b128 v144, v[3:6]
	flat_load_b128 v[3:6], v[7:8]
	s_wait_loadcnt_dscnt 0x0
	ds_store_b128 v136, v[3:6]
	s_wait_storecnt_dscnt 0x0
	s_barrier_signal -1
	s_barrier_wait -1
	global_inv scope:SCOPE_SE
	ds_load_2addr_b64 v[64:67], v117 offset1:32
	ds_load_b128 v[96:99], v130 offset:11264
	ds_load_b128 v[92:95], v130 offset:11280
	;; [unrolled: 1-line block ×4, first 2 shown]
	ds_load_2addr_b64 v[60:63], v117 offset0:64 offset1:96
	ds_load_2addr_b64 v[56:59], v117 offset0:128 offset1:160
	;; [unrolled: 1-line block ×3, first 2 shown]
	ds_load_2addr_b64 v[48:51], v133 offset1:32
	ds_load_2addr_b64 v[44:47], v133 offset0:64 offset1:96
	ds_load_2addr_b64 v[40:43], v133 offset0:128 offset1:160
	;; [unrolled: 1-line block ×3, first 2 shown]
	ds_load_2addr_b64 v[28:31], v135 offset1:32
	ds_load_2addr_b64 v[24:27], v135 offset0:64 offset1:96
	ds_load_2addr_b64 v[20:23], v135 offset0:128 offset1:160
	ds_load_b128 v[84:87], v130 offset:11328
	ds_load_b128 v[76:79], v130 offset:11344
	ds_load_2addr_b64 v[16:19], v135 offset0:192 offset1:224
	ds_load_2addr_b64 v[12:15], v134 offset1:32
	ds_load_2addr_b64 v[8:11], v134 offset0:64 offset1:96
	ds_load_2addr_b64 v[4:7], v134 offset0:128 offset1:160
	ds_load_b128 v[72:75], v130 offset:11360
	ds_load_b128 v[68:71], v130 offset:11376
	ds_load_2addr_b64 v[0:3], v134 offset0:192 offset1:224
	s_wait_loadcnt_dscnt 0x0
	s_barrier_signal -1
	s_barrier_wait -1
	global_inv scope:SCOPE_SE
	s_clause 0x1
	scratch_store_b32 off, v137, off
	scratch_store_b96 off, v[32:34], off offset:4
	flat_load_b128 v[146:149], v[146:147]
	s_clause 0x1
	scratch_store_b32 off, v137, off
	scratch_store_b96 off, v[32:34], off offset:4
	v_lshrrev_b32_e32 v150, 16, v87
	v_and_b32_e32 v87, 0xffff, v87
	v_lshrrev_b32_e32 v151, 16, v76
	v_and_b32_e32 v76, 0xffff, v76
	;; [unrolled: 2-line block ×13, first 2 shown]
	s_wait_loadcnt_dscnt 0x0
	ds_store_b128 v140, v[146:149]
	flat_load_b128 v[146:149], v[104:105]
	v_add_co_u32 v104, vcc_lo, s2, v106
	s_wait_alu 0xfffd
	v_add_co_ci_u32_e64 v105, null, s3, v107, vcc_lo
	s_clause 0x1
	scratch_store_b32 off, v137, off
	scratch_store_b96 off, v[32:34], off offset:4
	v_add_co_u32 v104, vcc_lo, v104, v35
	s_wait_alu 0xfffd
	v_add_co_ci_u32_e64 v105, null, 0, v105, vcc_lo
	v_cmp_gt_i32_e32 vcc_lo, s4, v143
	v_sub_f32_e32 v140, v100, v102
	v_lshrrev_b32_e32 v143, 16, v80
	v_and_b32_e32 v80, 0xffff, v80
	s_wait_alu 0xfffd
	v_cndmask_b32_e32 v105, s5, v105, vcc_lo
	v_cndmask_b32_e32 v104, 0, v104, vcc_lo
	v_add_co_u32 v108, vcc_lo, s2, v108
	s_wait_alu 0xfffd
	v_add_co_ci_u32_e64 v109, null, s3, v109, vcc_lo
	v_mul_u32_u24_e32 v80, 0x10001, v80
	s_delay_alu instid0(VALU_DEP_3) | instskip(SKIP_1) | instid1(VALU_DEP_3)
	v_add_co_u32 v35, vcc_lo, v108, v35
	s_wait_alu 0xfffd
	v_add_co_ci_u32_e64 v100, null, 0, v109, vcc_lo
	v_cmp_gt_i32_e32 vcc_lo, s4, v145
	v_dual_sub_f32 v108, v101, v103 :: v_dual_mul_f32 v109, 0x3fb8aa3b, v140
	v_mul_u32_u24_e32 v143, 0x10001, v143
	v_lshrrev_b32_e32 v145, 16, v82
	s_wait_alu 0xfffd
	v_cndmask_b32_e32 v101, s5, v100, vcc_lo
	v_cndmask_b32_e32 v100, 0, v35, vcc_lo
	v_cmp_ngt_f32_e32 vcc_lo, 0xc2ce8ed0, v140
	v_and_b32_e32 v82, 0xffff, v82
	v_mul_u32_u24_e32 v145, 0x10001, v145
	s_delay_alu instid0(VALU_DEP_2)
	v_mul_u32_u24_e32 v82, 0x10001, v82
	s_wait_loadcnt_dscnt 0x0
	ds_store_b128 v142, v[146:149]
	flat_load_b128 v[104:107], v[104:105]
	s_clause 0x1
	scratch_store_b32 off, v137, off
	scratch_store_b96 off, v[32:34], off offset:4
	v_lshrrev_b32_e32 v137, 16, v94
	v_and_b32_e32 v94, 0xffff, v94
	v_lshrrev_b32_e32 v142, 16, v91
	v_and_b32_e32 v91, 0xffff, v91
	v_lshrrev_b32_e32 v146, 16, v83
	v_mul_u32_u24_e32 v137, 0x10001, v137
	v_mul_u32_u24_e32 v94, 0x10001, v94
	;; [unrolled: 1-line block ×4, first 2 shown]
	v_and_b32_e32 v83, 0xffff, v83
	v_lshrrev_b32_e32 v147, 16, v84
	v_and_b32_e32 v84, 0xffff, v84
	v_mul_u32_u24_e32 v146, 0x10001, v146
	v_lshrrev_b32_e32 v148, 16, v85
	v_mul_u32_u24_e32 v83, 0x10001, v83
	v_and_b32_e32 v85, 0xffff, v85
	v_mul_u32_u24_e32 v84, 0x10001, v84
	v_mul_u32_u24_e32 v147, 0x10001, v147
	v_lshrrev_b32_e32 v149, 16, v86
	v_and_b32_e32 v86, 0xffff, v86
	v_mul_u32_u24_e32 v85, 0x10001, v85
	s_wait_loadcnt_dscnt 0x0
	ds_store_b128 v144, v[104:107]
	flat_load_b128 v[32:35], v[100:101]
	v_rndne_f32_e32 v101, v109
	v_mul_f32_e32 v141, 0x3fb8aa3b, v108
	v_fma_f32 v100, 0x3fb8aa3b, v140, -v109
	v_lshrrev_b32_e32 v144, 16, v81
	v_and_b32_e32 v81, 0xffff, v81
	v_sub_f32_e32 v106, v109, v101
	v_fma_f32 v104, 0x3fb8aa3b, v108, -v141
	v_rndne_f32_e32 v105, v141
	v_cvt_i32_f32_e32 v101, v101
	v_lshrrev_b32_e32 v109, 16, v97
	v_mul_u32_u24_e32 v81, 0x10001, v81
	s_delay_alu instid0(VALU_DEP_4) | instskip(SKIP_1) | instid1(VALU_DEP_4)
	v_dual_fmac_f32 v104, 0x32a5705f, v108 :: v_dual_sub_f32 v107, v141, v105
	v_cvt_i32_f32_e32 v105, v105
	v_mul_u32_u24_e32 v109, 0x10001, v109
	v_and_b32_e32 v97, 0xffff, v97
	v_lshrrev_b32_e32 v141, 16, v90
	v_dual_add_f32 v104, v107, v104 :: v_dual_add_f32 v107, v138, v139
	v_fmac_f32_e32 v100, 0x32a5705f, v140
	s_delay_alu instid0(VALU_DEP_4) | instskip(SKIP_1) | instid1(VALU_DEP_4)
	v_mul_u32_u24_e32 v97, 0x10001, v97
	v_lshrrev_b32_e32 v138, 16, v95
	v_exp_f32_e32 v104, v104
	s_delay_alu instid0(VALU_DEP_3) | instskip(SKIP_3) | instid1(VALU_DEP_4)
	v_dual_add_f32 v100, v106, v100 :: v_dual_and_b32 v95, 0xffff, v95
	v_lshrrev_b32_e32 v139, 16, v88
	v_and_b32_e32 v88, 0xffff, v88
	v_mul_u32_u24_e32 v138, 0x10001, v138
	v_mul_u32_u24_e32 v95, 0x10001, v95
	v_exp_f32_e32 v100, v100
	v_mul_u32_u24_e32 v139, 0x10001, v139
	v_mul_u32_u24_e32 v88, 0x10001, v88
	v_and_b32_e32 v90, 0xffff, v90
	v_mul_u32_u24_e32 v141, 0x10001, v141
	v_mul_u32_u24_e32 v144, 0x10001, v144
	s_delay_alu instid0(VALU_DEP_3) | instskip(NEXT) | instid1(TRANS32_DEP_1)
	v_mul_u32_u24_e32 v90, 0x10001, v90
	v_ldexp_f32 v100, v100, v101
	v_ldexp_f32 v101, v104, v105
	s_wait_alu 0xfffd
	s_delay_alu instid0(VALU_DEP_2)
	v_cndmask_b32_e32 v100, 0, v100, vcc_lo
	v_cmp_ngt_f32_e32 vcc_lo, 0xc2ce8ed0, v108
	s_wait_alu 0xfffd
	v_cndmask_b32_e32 v101, 0, v101, vcc_lo
	v_cmp_nlt_f32_e32 vcc_lo, 0x42b17218, v140
	v_lshrrev_b32_e32 v140, 16, v89
	v_and_b32_e32 v89, 0xffff, v89
	s_wait_alu 0xfffd
	v_cndmask_b32_e32 v105, 0x7f800000, v100, vcc_lo
	v_cmp_nlt_f32_e32 vcc_lo, 0x42b17218, v108
	v_lshrrev_b32_e32 v108, 16, v96
	v_and_b32_e32 v96, 0xffff, v96
	v_mul_u32_u24_e32 v89, 0x10001, v89
	v_fmac_f32_e32 v107, v123, v105
	s_wait_alu 0xfffd
	v_cndmask_b32_e32 v100, 0x7f800000, v101, vcc_lo
	v_cvt_f16_f32_e32 v101, v105
	v_mul_u32_u24_e32 v96, 0x10001, v96
	v_mul_u32_u24_e32 v108, 0x10001, v108
	v_mov_b32_e32 v123, v107
	v_cvt_f16_f32_e32 v104, v100
	v_and_b32_e32 v101, 0xffff, v101
	v_pk_mul_f16 v163, v64, v96
	v_pk_mul_f16 v64, v64, v108
	v_mul_u32_u24_e32 v140, 0x10001, v140
	v_and_b32_e32 v106, 0xffff, v104
	v_mul_u32_u24_e32 v104, 0x10001, v101
	v_add_f32_e32 v101, v131, v132
	v_lshrrev_b32_e32 v131, 16, v92
	v_and_b32_e32 v92, 0xffff, v92
	v_mul_u32_u24_e32 v105, 0x10001, v106
	v_pk_mul_f16 v106, v121, v104
	v_pk_fma_f16 v104, v120, v104, v163
	v_lshrrev_b32_e32 v121, 16, v99
	v_and_b32_e32 v99, 0xffff, v99
	v_pk_mul_f16 v107, v119, v105
	v_lshrrev_b32_e32 v119, 16, v98
	v_dual_fmac_f32 v101, v122, v100 :: v_dual_and_b32 v98, 0xffff, v98
	v_pk_fma_f16 v96, v65, v96, v106
	s_delay_alu instid0(VALU_DEP_4) | instskip(SKIP_1) | instid1(VALU_DEP_4)
	v_pk_fma_f16 v65, v65, v108, v107
	v_pk_fma_f16 v64, v118, v105, v64
	v_mul_u32_u24_e32 v98, 0x10001, v98
	v_mul_u32_u24_e32 v119, 0x10001, v119
	v_pk_fma_f16 v96, v67, v97, v96
	v_pk_fma_f16 v65, v67, v109, v65
	;; [unrolled: 1-line block ×4, first 2 shown]
	v_mul_u32_u24_e32 v99, 0x10001, v99
	v_mul_u32_u24_e32 v121, 0x10001, v121
	v_pk_fma_f16 v96, v61, v98, v96
	v_pk_fma_f16 v61, v61, v119, v65
	;; [unrolled: 1-line block ×4, first 2 shown]
	v_lshrrev_b32_e32 v132, 16, v93
	v_and_b32_e32 v93, 0xffff, v93
	v_mul_u32_u24_e32 v92, 0x10001, v92
	v_mul_u32_u24_e32 v131, 0x10001, v131
	v_pk_fma_f16 v67, v63, v99, v96
	v_pk_fma_f16 v61, v63, v121, v61
	;; [unrolled: 1-line block ×4, first 2 shown]
	v_mul_u32_u24_e32 v93, 0x10001, v93
	v_mul_u32_u24_e32 v132, 0x10001, v132
	v_pk_fma_f16 v65, v57, v92, v67
	v_pk_fma_f16 v57, v57, v131, v61
	v_pk_fma_f16 v61, v56, v92, v63
	v_pk_fma_f16 v56, v56, v131, v60
	v_mul_u32_u24_e32 v66, 0x10001, v148
	v_pk_fma_f16 v63, v59, v93, v65
	v_pk_fma_f16 v57, v59, v132, v57
	v_pk_fma_f16 v59, v58, v93, v61
	v_pk_fma_f16 v56, v58, v132, v56
	;; [unrolled: 5-line block ×24, first 2 shown]
	v_mul_u32_u24_e32 v16, 0x10001, v69
	v_mul_u32_u24_e32 v14, 0x10001, v160
	v_pk_fma_f16 v13, v5, v20, v15
	v_pk_fma_f16 v5, v5, v18, v9
	v_pk_fma_f16 v9, v4, v20, v11
	v_pk_fma_f16 v4, v4, v18, v8
	v_mul_u32_u24_e32 v12, 0x10001, v70
	v_mul_u32_u24_e32 v10, 0x10001, v161
	v_pk_fma_f16 v11, v7, v16, v13
	v_pk_fma_f16 v5, v7, v14, v5
	v_pk_fma_f16 v7, v6, v16, v9
	v_pk_fma_f16 v4, v6, v14, v4
	;; [unrolled: 6-line block ×3, first 2 shown]
	s_delay_alu instid0(VALU_DEP_4) | instskip(NEXT) | instid1(VALU_DEP_4)
	v_pk_fma_f16 v96, v3, v8, v9
	v_pk_fma_f16 v97, v3, v6, v1
	s_delay_alu instid0(VALU_DEP_4) | instskip(NEXT) | instid1(VALU_DEP_4)
	v_pk_fma_f16 v98, v2, v8, v5
	v_pk_fma_f16 v99, v2, v6, v0
	s_wait_loadcnt_dscnt 0x0
	ds_store_b128 v136, v[32:35]
	s_wait_storecnt_dscnt 0x0
	s_barrier_signal -1
	s_barrier_wait -1
	global_inv scope:SCOPE_SE
	ds_load_2addr_b64 v[0:3], v117 offset1:32
	ds_load_b128 v[4:7], v130 offset:11392
	ds_load_b128 v[8:11], v130 offset:11408
	;; [unrolled: 1-line block ×4, first 2 shown]
	ds_load_2addr_b64 v[20:23], v117 offset0:64 offset1:96
	ds_load_2addr_b64 v[24:27], v117 offset0:128 offset1:160
	;; [unrolled: 1-line block ×3, first 2 shown]
	ds_load_2addr_b64 v[32:35], v133 offset1:32
	ds_load_2addr_b64 v[36:39], v133 offset0:64 offset1:96
	ds_load_2addr_b64 v[40:43], v133 offset0:128 offset1:160
	;; [unrolled: 1-line block ×3, first 2 shown]
	ds_load_2addr_b64 v[48:51], v135 offset1:32
	ds_load_2addr_b64 v[52:55], v135 offset0:64 offset1:96
	ds_load_2addr_b64 v[56:59], v135 offset0:128 offset1:160
	ds_load_b128 v[60:63], v130 offset:11456
	ds_load_b128 v[64:67], v130 offset:11472
	ds_load_2addr_b64 v[68:71], v135 offset0:192 offset1:224
	ds_load_2addr_b64 v[72:75], v134 offset1:32
	ds_load_2addr_b64 v[76:79], v134 offset0:64 offset1:96
	ds_load_2addr_b64 v[80:83], v134 offset0:128 offset1:160
	ds_load_b128 v[84:87], v130 offset:11488
	ds_load_b128 v[88:91], v130 offset:11504
	ds_load_2addr_b64 v[92:95], v134 offset0:192 offset1:224
	s_wait_dscnt 0x16
	v_lshrrev_b32_e32 v100, 16, v4
	v_and_b32_e32 v4, 0xffff, v4
	v_lshrrev_b32_e32 v104, 16, v5
	v_and_b32_e32 v5, 0xffff, v5
	v_lshrrev_b32_e32 v105, 16, v6
	v_mul_u32_u24_e32 v100, 0x10001, v100
	v_mul_u32_u24_e32 v4, 0x10001, v4
	v_and_b32_e32 v6, 0xffff, v6
	v_mul_u32_u24_e32 v5, 0x10001, v5
	v_mul_u32_u24_e32 v104, 0x10001, v104
	v_lshrrev_b32_e32 v106, 16, v7
	v_pk_fma_f16 v98, v0, v4, v98
	v_pk_fma_f16 v0, v0, v100, v99
	;; [unrolled: 1-line block ×4, first 2 shown]
	v_and_b32_e32 v7, 0xffff, v7
	v_mul_u32_u24_e32 v6, 0x10001, v6
	v_mul_u32_u24_e32 v105, 0x10001, v105
	v_pk_fma_f16 v96, v2, v5, v98
	v_pk_fma_f16 v0, v2, v104, v0
	;; [unrolled: 1-line block ×4, first 2 shown]
	s_wait_dscnt 0x15
	v_lshrrev_b32_e32 v107, 16, v8
	v_and_b32_e32 v8, 0xffff, v8
	v_mul_u32_u24_e32 v7, 0x10001, v7
	v_mul_u32_u24_e32 v106, 0x10001, v106
	s_wait_dscnt 0x12
	v_pk_fma_f16 v4, v20, v6, v96
	v_pk_fma_f16 v0, v20, v105, v0
	v_pk_fma_f16 v2, v21, v6, v2
	v_pk_fma_f16 v1, v21, v105, v1
	v_lshrrev_b32_e32 v108, 16, v9
	v_and_b32_e32 v9, 0xffff, v9
	v_mul_u32_u24_e32 v8, 0x10001, v8
	v_mul_u32_u24_e32 v107, 0x10001, v107
	v_pk_fma_f16 v4, v22, v7, v4
	v_pk_fma_f16 v0, v22, v106, v0
	v_pk_fma_f16 v2, v23, v7, v2
	v_pk_fma_f16 v1, v23, v106, v1
	v_lshrrev_b32_e32 v109, 16, v10
	v_and_b32_e32 v10, 0xffff, v10
	v_mul_u32_u24_e32 v9, 0x10001, v9
	v_mul_u32_u24_e32 v108, 0x10001, v108
	s_wait_dscnt 0x11
	v_pk_fma_f16 v4, v24, v8, v4
	v_pk_fma_f16 v0, v24, v107, v0
	v_pk_fma_f16 v2, v25, v8, v2
	v_pk_fma_f16 v1, v25, v107, v1
	v_lshrrev_b32_e32 v117, 16, v11
	v_and_b32_e32 v11, 0xffff, v11
	v_mul_u32_u24_e32 v10, 0x10001, v10
	v_mul_u32_u24_e32 v109, 0x10001, v109
	v_pk_fma_f16 v4, v26, v9, v4
	v_pk_fma_f16 v0, v26, v108, v0
	v_pk_fma_f16 v2, v27, v9, v2
	v_pk_fma_f16 v1, v27, v108, v1
	;; [unrolled: 17-line block ×6, first 2 shown]
	s_wait_dscnt 0x8
	v_lshrrev_b32_e32 v133, 16, v60
	v_and_b32_e32 v60, 0xffff, v60
	v_mul_u32_u24_e32 v19, 0x10001, v19
	v_mul_u32_u24_e32 v132, 0x10001, v132
	v_pk_fma_f16 v4, v44, v18, v4
	v_pk_fma_f16 v0, v44, v131, v0
	v_pk_fma_f16 v2, v45, v18, v2
	v_pk_fma_f16 v1, v45, v131, v1
	v_lshrrev_b32_e32 v134, 16, v61
	v_and_b32_e32 v61, 0xffff, v61
	v_mul_u32_u24_e32 v60, 0x10001, v60
	v_mul_u32_u24_e32 v133, 0x10001, v133
	v_pk_fma_f16 v4, v46, v19, v4
	v_pk_fma_f16 v0, v46, v132, v0
	v_pk_fma_f16 v2, v47, v19, v2
	v_pk_fma_f16 v1, v47, v132, v1
	v_lshrrev_b32_e32 v135, 16, v62
	v_and_b32_e32 v62, 0xffff, v62
	v_mul_u32_u24_e32 v61, 0x10001, v61
	v_mul_u32_u24_e32 v3, 0x10001, v134
	v_pk_fma_f16 v4, v48, v60, v4
	v_pk_fma_f16 v0, v48, v133, v0
	v_pk_fma_f16 v2, v49, v60, v2
	v_pk_fma_f16 v1, v49, v133, v1
	v_lshrrev_b32_e32 v136, 16, v63
	v_and_b32_e32 v63, 0xffff, v63
	v_mul_u32_u24_e32 v5, 0x10001, v62
	v_mul_u32_u24_e32 v6, 0x10001, v135
	v_pk_fma_f16 v4, v50, v61, v4
	v_pk_fma_f16 v0, v50, v3, v0
	v_pk_fma_f16 v2, v51, v61, v2
	v_pk_fma_f16 v1, v51, v3, v1
	s_wait_dscnt 0x7
	v_lshrrev_b32_e32 v137, 16, v64
	v_and_b32_e32 v64, 0xffff, v64
	v_mul_u32_u24_e32 v7, 0x10001, v63
	v_mul_u32_u24_e32 v8, 0x10001, v136
	v_pk_fma_f16 v4, v52, v5, v4
	v_pk_fma_f16 v0, v52, v6, v0
	v_pk_fma_f16 v2, v53, v5, v2
	v_pk_fma_f16 v1, v53, v6, v1
	v_lshrrev_b32_e32 v138, 16, v65
	v_and_b32_e32 v65, 0xffff, v65
	v_mul_u32_u24_e32 v9, 0x10001, v64
	v_mul_u32_u24_e32 v10, 0x10001, v137
	v_pk_fma_f16 v4, v54, v7, v4
	v_pk_fma_f16 v0, v54, v8, v0
	v_pk_fma_f16 v2, v55, v7, v2
	v_pk_fma_f16 v1, v55, v8, v1
	v_lshrrev_b32_e32 v139, 16, v66
	v_and_b32_e32 v66, 0xffff, v66
	v_mul_u32_u24_e32 v11, 0x10001, v65
	v_mul_u32_u24_e32 v12, 0x10001, v138
	v_pk_fma_f16 v4, v56, v9, v4
	v_pk_fma_f16 v0, v56, v10, v0
	v_pk_fma_f16 v2, v57, v9, v2
	v_pk_fma_f16 v1, v57, v10, v1
	v_lshrrev_b32_e32 v140, 16, v67
	v_and_b32_e32 v67, 0xffff, v67
	v_mul_u32_u24_e32 v13, 0x10001, v66
	v_mul_u32_u24_e32 v14, 0x10001, v139
	v_pk_fma_f16 v4, v58, v11, v4
	v_pk_fma_f16 v0, v58, v12, v0
	v_pk_fma_f16 v2, v59, v11, v2
	v_pk_fma_f16 v1, v59, v12, v1
	;; [unrolled: 33-line block ×4, first 2 shown]
	v_mul_u32_u24_e32 v7, 0x10001, v91
	v_mul_u32_u24_e32 v3, 0x10001, v148
	s_wait_dscnt 0x0
	v_pk_fma_f16 v4, v92, v5, v4
	v_pk_fma_f16 v0, v92, v6, v0
	;; [unrolled: 1-line block ×4, first 2 shown]
	v_mov_b32_e32 v122, v101
	v_mov_b32_e32 v100, v102
	v_pk_fma_f16 v120, v94, v7, v4
	v_pk_fma_f16 v118, v94, v3, v0
	;; [unrolled: 1-line block ×4, first 2 shown]
	v_mov_b32_e32 v101, v103
	s_wait_loadcnt 0x0
	s_barrier_signal -1
	s_barrier_wait -1
	global_inv scope:SCOPE_SE
.LBB62_44:
	v_cmp_lt_i32_e32 vcc_lo, v125, v129
	s_cmp_eq_u64 s[12:13], 0
	s_cselect_b32 s2, -1, 0
	s_cmp_lg_u32 s6, 0
	s_wait_alu 0xfffd
	v_cndmask_b32_e32 v0, v116, v125, vcc_lo
	v_cmp_lt_i32_e32 vcc_lo, v124, v129
	s_cselect_b32 s3, -1, 0
	s_wait_alu 0xfffe
	s_or_b32 s2, s3, s2
	v_lshlrev_b32_e32 v0, 2, v0
	s_wait_alu 0xfffd
	v_cndmask_b32_e32 v2, v116, v124, vcc_lo
	v_cmp_lt_i32_e32 vcc_lo, v126, v129
	ds_bpermute_b32 v1, v0, v123
	v_lshlrev_b32_e32 v2, 2, v2
	s_wait_alu 0xfffd
	v_cndmask_b32_e32 v4, v116, v126, vcc_lo
	v_cmp_lt_i32_e32 vcc_lo, v127, v129
	s_wait_dscnt 0x0
	s_delay_alu instid0(VALU_DEP_2)
	v_dual_add_f32 v1, v123, v1 :: v_dual_lshlrev_b32 v4, 2, v4
	ds_bpermute_b32 v0, v0, v122
	ds_bpermute_b32 v3, v2, v1
	s_wait_dscnt 0x0
	v_dual_add_f32 v1, v1, v3 :: v_dual_add_f32 v0, v122, v0
	ds_bpermute_b32 v2, v2, v0
	s_wait_dscnt 0x0
	v_add_f32_e32 v0, v0, v2
	ds_bpermute_b32 v2, v4, v1
	ds_bpermute_b32 v3, v4, v0
	s_wait_alu 0xfffd
	v_cndmask_b32_e32 v4, v116, v127, vcc_lo
	v_cmp_lt_i32_e32 vcc_lo, v128, v129
	s_wait_dscnt 0x1
	s_delay_alu instid0(VALU_DEP_2)
	v_dual_add_f32 v1, v1, v2 :: v_dual_lshlrev_b32 v4, 2, v4
	s_wait_dscnt 0x0
	v_add_f32_e32 v0, v0, v3
	ds_bpermute_b32 v2, v4, v1
	ds_bpermute_b32 v3, v4, v0
	s_wait_alu 0xfffd
	v_cndmask_b32_e32 v4, v116, v128, vcc_lo
	s_wait_alu 0xfffe
	s_and_b32 vcc_lo, exec_lo, s2
	s_wait_dscnt 0x1
	s_delay_alu instid0(VALU_DEP_1)
	v_dual_add_f32 v1, v1, v2 :: v_dual_lshlrev_b32 v4, 2, v4
	s_wait_dscnt 0x0
	v_add_f32_e32 v2, v0, v3
	ds_bpermute_b32 v0, v4, v1
	ds_bpermute_b32 v3, v4, v2
	s_wait_dscnt 0x0
	v_dual_add_f32 v0, v1, v0 :: v_dual_add_f32 v1, v2, v3
	s_wait_alu 0xfffe
	s_cbranch_vccnz .LBB62_47
; %bb.45:
	v_dual_mov_b32 v2, 0 :: v_dual_max_num_f32 v3, v100, v100
	s_lshl_b64 s[2:3], s[28:29], 2
	v_max_num_f32_e32 v6, v101, v101
	s_wait_alu 0xfffe
	s_add_nc_u64 s[2:3], s[12:13], s[2:3]
	global_load_b32 v2, v2, s[2:3]
	s_wait_loadcnt 0x0
	v_max_num_f32_e32 v5, v2, v2
	s_delay_alu instid0(VALU_DEP_1) | instskip(SKIP_1) | instid1(VALU_DEP_2)
	v_max_num_f32_e32 v4, v3, v5
	v_max_num_f32_e32 v5, v6, v5
	v_sub_f32_e32 v6, v2, v4
	s_delay_alu instid0(VALU_DEP_1) | instskip(SKIP_1) | instid1(VALU_DEP_2)
	v_dual_sub_f32 v8, v2, v5 :: v_dual_mul_f32 v9, 0x3fb8aa3b, v6
	v_sub_f32_e32 v3, v100, v4
	v_mul_f32_e32 v11, 0x3fb8aa3b, v8
	s_delay_alu instid0(VALU_DEP_3) | instskip(NEXT) | instid1(VALU_DEP_3)
	v_rndne_f32_e32 v15, v9
	v_dual_mul_f32 v2, 0x3fb8aa3b, v3 :: v_dual_sub_f32 v7, v101, v5
	v_fma_f32 v14, 0x3fb8aa3b, v6, -v9
	v_cmp_ngt_f32_e32 vcc_lo, 0xc2ce8ed0, v3
	v_rndne_f32_e32 v19, v11
	s_delay_alu instid0(VALU_DEP_4) | instskip(SKIP_3) | instid1(VALU_DEP_4)
	v_rndne_f32_e32 v13, v2
	v_mul_f32_e32 v10, 0x3fb8aa3b, v7
	v_fma_f32 v12, 0x3fb8aa3b, v3, -v2
	v_dual_fmac_f32 v14, 0x32a5705f, v6 :: v_dual_sub_f32 v9, v9, v15
	v_sub_f32_e32 v2, v2, v13
	v_fma_f32 v18, 0x3fb8aa3b, v8, -v11
	v_fma_f32 v16, 0x3fb8aa3b, v7, -v10
	v_sub_f32_e32 v11, v11, v19
	v_dual_fmac_f32 v12, 0x32a5705f, v3 :: v_dual_add_f32 v9, v9, v14
	v_rndne_f32_e32 v17, v10
	v_dual_mov_b32 v101, v5 :: v_dual_mov_b32 v100, v4
	s_delay_alu instid0(VALU_DEP_3) | instskip(NEXT) | instid1(VALU_DEP_4)
	v_add_f32_e32 v2, v2, v12
	v_exp_f32_e32 v9, v9
	v_cvt_i32_f32_e32 v12, v13
	v_cvt_i32_f32_e32 v13, v15
	;; [unrolled: 1-line block ×3, first 2 shown]
	v_exp_f32_e32 v2, v2
	v_cvt_i32_f32_e32 v14, v17
	s_delay_alu instid0(TRANS32_DEP_2) | instid1(VALU_DEP_3)
	v_ldexp_f32 v9, v9, v13
	v_fmac_f32_e32 v18, 0x32a5705f, v8
	v_fmac_f32_e32 v16, 0x32a5705f, v7
	s_delay_alu instid0(TRANS32_DEP_1) | instskip(NEXT) | instid1(VALU_DEP_3)
	v_ldexp_f32 v2, v2, v12
	v_add_f32_e32 v11, v11, v18
	s_wait_alu 0xfffd
	s_delay_alu instid0(VALU_DEP_2) | instskip(SKIP_1) | instid1(VALU_DEP_3)
	v_cndmask_b32_e32 v2, 0, v2, vcc_lo
	v_cmp_ngt_f32_e32 vcc_lo, 0xc2ce8ed0, v7
	v_exp_f32_e32 v11, v11
	s_delay_alu instid0(TRANS32_DEP_1) | instskip(SKIP_1) | instid1(VALU_DEP_1)
	v_ldexp_f32 v11, v11, v15
	v_sub_f32_e32 v10, v10, v17
	v_add_f32_e32 v10, v10, v16
	s_delay_alu instid0(VALU_DEP_1) | instskip(NEXT) | instid1(TRANS32_DEP_1)
	v_exp_f32_e32 v10, v10
	v_ldexp_f32 v10, v10, v14
	s_wait_alu 0xfffd
	s_delay_alu instid0(VALU_DEP_1)
	v_cndmask_b32_e32 v10, 0, v10, vcc_lo
	v_cmp_ngt_f32_e32 vcc_lo, 0xc2ce8ed0, v6
	s_wait_alu 0xfffd
	v_cndmask_b32_e32 v9, 0, v9, vcc_lo
	v_cmp_nlt_f32_e32 vcc_lo, 0x42b17218, v3
	s_wait_alu 0xfffd
	v_cndmask_b32_e32 v12, 0x7f800000, v2, vcc_lo
	v_cmp_nlt_f32_e32 vcc_lo, 0x42b17218, v7
	s_wait_alu 0xfffd
	v_cndmask_b32_e32 v7, 0x7f800000, v10, vcc_lo
	v_cmp_ngt_f32_e32 vcc_lo, 0xc2ce8ed0, v8
	v_cvt_f16_f32_e32 v10, v12
	s_wait_alu 0xfffd
	v_cndmask_b32_e32 v3, 0, v11, vcc_lo
	v_cmp_nlt_f32_e32 vcc_lo, 0x42b17218, v6
	v_cvt_f16_f32_e32 v6, v7
	s_wait_alu 0xfffd
	v_cndmask_b32_e32 v2, 0x7f800000, v9, vcc_lo
	v_cmp_nlt_f32_e32 vcc_lo, 0x42b17218, v8
	v_and_b32_e32 v8, 0xffff, v10
	v_and_b32_e32 v6, 0xffff, v6
	s_wait_alu 0xfffd
	v_dual_fmac_f32 v2, v0, v12 :: v_dual_cndmask_b32 v3, 0x7f800000, v3
	s_delay_alu instid0(VALU_DEP_2) | instskip(NEXT) | instid1(VALU_DEP_2)
	v_mul_u32_u24_e32 v6, 0x10001, v6
	v_fmac_f32_e32 v3, v1, v7
	v_mul_u32_u24_e32 v7, 0x10001, v8
	s_delay_alu instid0(VALU_DEP_4) | instskip(NEXT) | instid1(VALU_DEP_4)
	v_mov_b32_e32 v0, v2
	v_pk_mul_f16 v118, v118, v6
	v_pk_mul_f16 v119, v119, v6
	v_mov_b32_e32 v1, v3
	v_pk_mul_f16 v120, v120, v7
	v_pk_mul_f16 v121, v121, v7
	s_mov_b32 s2, exec_lo
	v_cmpx_gt_i32_e64 s22, v114
	s_cbranch_execnz .LBB62_48
.LBB62_46:
	s_nop 0
	s_sendmsg sendmsg(MSG_DEALLOC_VGPRS)
	s_endpgm
.LBB62_47:
	s_delay_alu instid0(VALU_DEP_1)
	v_dual_mov_b32 v2, v0 :: v_dual_mov_b32 v3, v1
	s_mov_b32 s2, exec_lo
	v_cmpx_gt_i32_e64 s22, v114
	s_cbranch_execz .LBB62_46
.LBB62_48:
	s_load_b32 s1, s[0:1], 0xd4
	v_mov_b32_e32 v6, 1.0
	s_wait_kmcnt 0x0
	s_cmp_lg_u32 s1, 1
	s_cselect_b32 s4, -1, 0
	s_cmp_eq_u32 s1, 1
	s_cselect_b32 s2, -1, 0
	s_wait_alu 0xfffe
	s_and_b32 vcc_lo, exec_lo, s4
	s_wait_alu 0xfffe
	s_cbranch_vccnz .LBB62_50
; %bb.49:
	v_div_scale_f32 v4, null, v2, v2, 1.0
	s_delay_alu instid0(VALU_DEP_1) | instskip(NEXT) | instid1(TRANS32_DEP_1)
	v_rcp_f32_e32 v5, v4
	v_fma_f32 v6, -v4, v5, 1.0
	s_delay_alu instid0(VALU_DEP_1) | instskip(SKIP_1) | instid1(VALU_DEP_1)
	v_fmac_f32_e32 v5, v6, v5
	v_div_scale_f32 v6, vcc_lo, 1.0, v2, 1.0
	v_mul_f32_e32 v7, v6, v5
	s_delay_alu instid0(VALU_DEP_1) | instskip(NEXT) | instid1(VALU_DEP_1)
	v_fma_f32 v8, -v4, v7, v6
	v_fmac_f32_e32 v7, v8, v5
	s_delay_alu instid0(VALU_DEP_1) | instskip(SKIP_1) | instid1(VALU_DEP_1)
	v_fma_f32 v4, -v4, v7, v6
	s_wait_alu 0xfffd
	v_div_fmas_f32 v4, v4, v5, v7
	s_delay_alu instid0(VALU_DEP_1)
	v_div_fixup_f32 v6, v4, v2, 1.0
.LBB62_50:
	s_mul_i32 s3, s30, s22
	v_cvt_f32_f16_e32 v9, v120
	s_wait_alu 0xfffe
	s_add_co_i32 s3, s3, s33
	v_cvt_f32_f16_e32 v10, v121
	s_wait_alu 0xfffe
	v_add_nc_u32_e32 v2, s3, v112
	v_mov_b32_e32 v8, 0
	v_cmp_eq_u32_e32 vcc_lo, 0, v115
	s_delay_alu instid0(VALU_DEP_3) | instskip(SKIP_1) | instid1(VALU_DEP_1)
	v_mad_co_u64_u32 v[4:5], null, v2, s23, s[28:29]
	v_lshrrev_b32_e32 v2, 16, v120
	v_cvt_f32_f16_e32 v2, v2
	s_delay_alu instid0(VALU_DEP_3) | instskip(SKIP_1) | instid1(VALU_DEP_1)
	v_mad_co_u64_u32 v[4:5], null, s1, v4, s[6:7]
	v_lshrrev_b32_e32 v5, 16, v121
	v_cvt_f32_f16_e32 v5, v5
	s_delay_alu instid0(VALU_DEP_3) | instskip(NEXT) | instid1(VALU_DEP_1)
	v_lshl_add_u32 v7, v4, 7, v113
	v_lshlrev_b64_e32 v[11:12], 2, v[7:8]
	v_mul_f32_e32 v7, v6, v9
	v_mul_f32_e32 v9, v6, v10
	;; [unrolled: 1-line block ×4, first 2 shown]
	v_add_co_u32 v5, s0, s16, v11
	s_wait_alu 0xf1ff
	v_add_co_ci_u32_e64 v6, null, s17, v12, s0
	s_and_b32 s0, vcc_lo, s4
	global_store_b128 v[5:6], v[7:10], off
	s_wait_alu 0xfffe
	s_and_saveexec_b32 s4, s0
	s_cbranch_execz .LBB62_52
; %bb.51:
	v_ashrrev_i32_e32 v5, 31, v4
	v_dual_mov_b32 v6, v100 :: v_dual_mov_b32 v7, v0
	s_delay_alu instid0(VALU_DEP_2) | instskip(NEXT) | instid1(VALU_DEP_1)
	v_lshlrev_b64_e32 v[4:5], 3, v[4:5]
	v_add_co_u32 v4, vcc_lo, s18, v4
	s_wait_alu 0xfffd
	s_delay_alu instid0(VALU_DEP_2)
	v_add_co_ci_u32_e64 v5, null, s19, v5, vcc_lo
	global_store_b64 v[4:5], v[6:7], off
.LBB62_52:
	s_wait_alu 0xfffe
	s_or_b32 exec_lo, exec_lo, s4
	v_cmp_gt_i32_e32 vcc_lo, s22, v111
	s_and_b32 exec_lo, exec_lo, vcc_lo
	s_cbranch_execz .LBB62_46
; %bb.53:
	v_mov_b32_e32 v0, 1.0
	s_and_not1_b32 vcc_lo, exec_lo, s2
	s_wait_alu 0xfffe
	s_cbranch_vccnz .LBB62_55
; %bb.54:
	v_div_scale_f32 v0, null, v3, v3, 1.0
	s_delay_alu instid0(VALU_DEP_1) | instskip(NEXT) | instid1(TRANS32_DEP_1)
	v_rcp_f32_e32 v2, v0
	v_fma_f32 v4, -v0, v2, 1.0
	s_delay_alu instid0(VALU_DEP_1) | instskip(SKIP_1) | instid1(VALU_DEP_1)
	v_fmac_f32_e32 v2, v4, v2
	v_div_scale_f32 v4, vcc_lo, 1.0, v3, 1.0
	v_mul_f32_e32 v5, v4, v2
	s_delay_alu instid0(VALU_DEP_1) | instskip(NEXT) | instid1(VALU_DEP_1)
	v_fma_f32 v6, -v0, v5, v4
	v_fmac_f32_e32 v5, v6, v2
	s_delay_alu instid0(VALU_DEP_1) | instskip(SKIP_1) | instid1(VALU_DEP_1)
	v_fma_f32 v0, -v0, v5, v4
	s_wait_alu 0xfffd
	v_div_fmas_f32 v0, v0, v2, v5
	s_delay_alu instid0(VALU_DEP_1)
	v_div_fixup_f32 v0, v0, v3, 1.0
.LBB62_55:
	v_cvt_f32_f16_e32 v9, v118
	v_add_nc_u32_e32 v2, s3, v110
	v_lshrrev_b32_e32 v5, 16, v118
	v_cvt_f32_f16_e32 v10, v119
	v_mov_b32_e32 v4, 0
	v_lshrrev_b32_e32 v6, 16, v119
	v_mad_co_u64_u32 v[2:3], null, v2, s23, s[28:29]
	v_cvt_f32_f16_e32 v11, v5
	v_mul_f32_e32 v5, v0, v10
	s_delay_alu instid0(VALU_DEP_4) | instskip(NEXT) | instid1(VALU_DEP_4)
	v_cvt_f32_f16_e32 v6, v6
	v_mad_co_u64_u32 v[2:3], null, s1, v2, s[6:7]
	s_delay_alu instid0(VALU_DEP_2) | instskip(NEXT) | instid1(VALU_DEP_2)
	v_mul_f32_e32 v6, v0, v6
	v_lshl_add_u32 v3, v2, 7, v113
	s_delay_alu instid0(VALU_DEP_1) | instskip(SKIP_2) | instid1(VALU_DEP_3)
	v_lshlrev_b64_e32 v[7:8], 2, v[3:4]
	v_mul_f32_e32 v3, v0, v9
	v_mul_f32_e32 v4, v0, v11
	v_add_co_u32 v7, vcc_lo, s16, v7
	s_wait_alu 0xfffd
	s_delay_alu instid0(VALU_DEP_4)
	v_add_co_ci_u32_e64 v8, null, s17, v8, vcc_lo
	global_store_b128 v[7:8], v[3:6], off
	s_and_b32 exec_lo, exec_lo, s0
	s_cbranch_execz .LBB62_46
; %bb.56:
	v_ashrrev_i32_e32 v3, 31, v2
	v_mov_b32_e32 v0, v101
	s_delay_alu instid0(VALU_DEP_2) | instskip(NEXT) | instid1(VALU_DEP_1)
	v_lshlrev_b64_e32 v[2:3], 3, v[2:3]
	v_add_co_u32 v2, vcc_lo, s18, v2
	s_wait_alu 0xfffd
	s_delay_alu instid0(VALU_DEP_2)
	v_add_co_ci_u32_e64 v3, null, s19, v3, vcc_lo
	global_store_b64 v[2:3], v[0:1], off
	s_nop 0
	s_sendmsg sendmsg(MSG_DEALLOC_VGPRS)
	s_endpgm
	.section	.rodata,"a",@progbits
	.p2align	6, 0x0
	.amdhsa_kernel _ZL15flash_attn_tileILi128ELi128ELi8ELi1ELb0EEvPKcS1_S1_S1_S1_PKiPfP15HIP_vector_typeIfLj2EEffffjfiS5_IjLj3EEiiiiiiiiiiiliiliiiiil
		.amdhsa_group_segment_fixed_size 12288
		.amdhsa_private_segment_fixed_size 32
		.amdhsa_kernarg_size 464
		.amdhsa_user_sgpr_count 2
		.amdhsa_user_sgpr_dispatch_ptr 0
		.amdhsa_user_sgpr_queue_ptr 0
		.amdhsa_user_sgpr_kernarg_segment_ptr 1
		.amdhsa_user_sgpr_dispatch_id 0
		.amdhsa_user_sgpr_private_segment_size 0
		.amdhsa_wavefront_size32 1
		.amdhsa_uses_dynamic_stack 0
		.amdhsa_enable_private_segment 1
		.amdhsa_system_sgpr_workgroup_id_x 1
		.amdhsa_system_sgpr_workgroup_id_y 1
		.amdhsa_system_sgpr_workgroup_id_z 1
		.amdhsa_system_sgpr_workgroup_info 0
		.amdhsa_system_vgpr_workitem_id 1
		.amdhsa_next_free_vgpr 164
		.amdhsa_next_free_sgpr 47
		.amdhsa_reserve_vcc 1
		.amdhsa_float_round_mode_32 0
		.amdhsa_float_round_mode_16_64 0
		.amdhsa_float_denorm_mode_32 3
		.amdhsa_float_denorm_mode_16_64 3
		.amdhsa_fp16_overflow 0
		.amdhsa_workgroup_processor_mode 1
		.amdhsa_memory_ordered 1
		.amdhsa_forward_progress 1
		.amdhsa_inst_pref_size 177
		.amdhsa_round_robin_scheduling 0
		.amdhsa_exception_fp_ieee_invalid_op 0
		.amdhsa_exception_fp_denorm_src 0
		.amdhsa_exception_fp_ieee_div_zero 0
		.amdhsa_exception_fp_ieee_overflow 0
		.amdhsa_exception_fp_ieee_underflow 0
		.amdhsa_exception_fp_ieee_inexact 0
		.amdhsa_exception_int_div_zero 0
	.end_amdhsa_kernel
	.section	.text._ZL15flash_attn_tileILi128ELi128ELi8ELi1ELb0EEvPKcS1_S1_S1_S1_PKiPfP15HIP_vector_typeIfLj2EEffffjfiS5_IjLj3EEiiiiiiiiiiiliiliiiiil,"axG",@progbits,_ZL15flash_attn_tileILi128ELi128ELi8ELi1ELb0EEvPKcS1_S1_S1_S1_PKiPfP15HIP_vector_typeIfLj2EEffffjfiS5_IjLj3EEiiiiiiiiiiiliiliiiiil,comdat
.Lfunc_end62:
	.size	_ZL15flash_attn_tileILi128ELi128ELi8ELi1ELb0EEvPKcS1_S1_S1_S1_PKiPfP15HIP_vector_typeIfLj2EEffffjfiS5_IjLj3EEiiiiiiiiiiiliiliiiiil, .Lfunc_end62-_ZL15flash_attn_tileILi128ELi128ELi8ELi1ELb0EEvPKcS1_S1_S1_S1_PKiPfP15HIP_vector_typeIfLj2EEffffjfiS5_IjLj3EEiiiiiiiiiiiliiliiiiil
                                        ; -- End function
	.set _ZL15flash_attn_tileILi128ELi128ELi8ELi1ELb0EEvPKcS1_S1_S1_S1_PKiPfP15HIP_vector_typeIfLj2EEffffjfiS5_IjLj3EEiiiiiiiiiiiliiliiiiil.num_vgpr, 164
	.set _ZL15flash_attn_tileILi128ELi128ELi8ELi1ELb0EEvPKcS1_S1_S1_S1_PKiPfP15HIP_vector_typeIfLj2EEffffjfiS5_IjLj3EEiiiiiiiiiiiliiliiiiil.num_agpr, 0
	.set _ZL15flash_attn_tileILi128ELi128ELi8ELi1ELb0EEvPKcS1_S1_S1_S1_PKiPfP15HIP_vector_typeIfLj2EEffffjfiS5_IjLj3EEiiiiiiiiiiiliiliiiiil.numbered_sgpr, 47
	.set _ZL15flash_attn_tileILi128ELi128ELi8ELi1ELb0EEvPKcS1_S1_S1_S1_PKiPfP15HIP_vector_typeIfLj2EEffffjfiS5_IjLj3EEiiiiiiiiiiiliiliiiiil.num_named_barrier, 0
	.set _ZL15flash_attn_tileILi128ELi128ELi8ELi1ELb0EEvPKcS1_S1_S1_S1_PKiPfP15HIP_vector_typeIfLj2EEffffjfiS5_IjLj3EEiiiiiiiiiiiliiliiiiil.private_seg_size, 32
	.set _ZL15flash_attn_tileILi128ELi128ELi8ELi1ELb0EEvPKcS1_S1_S1_S1_PKiPfP15HIP_vector_typeIfLj2EEffffjfiS5_IjLj3EEiiiiiiiiiiiliiliiiiil.uses_vcc, 1
	.set _ZL15flash_attn_tileILi128ELi128ELi8ELi1ELb0EEvPKcS1_S1_S1_S1_PKiPfP15HIP_vector_typeIfLj2EEffffjfiS5_IjLj3EEiiiiiiiiiiiliiliiiiil.uses_flat_scratch, 1
	.set _ZL15flash_attn_tileILi128ELi128ELi8ELi1ELb0EEvPKcS1_S1_S1_S1_PKiPfP15HIP_vector_typeIfLj2EEffffjfiS5_IjLj3EEiiiiiiiiiiiliiliiiiil.has_dyn_sized_stack, 0
	.set _ZL15flash_attn_tileILi128ELi128ELi8ELi1ELb0EEvPKcS1_S1_S1_S1_PKiPfP15HIP_vector_typeIfLj2EEffffjfiS5_IjLj3EEiiiiiiiiiiiliiliiiiil.has_recursion, 0
	.set _ZL15flash_attn_tileILi128ELi128ELi8ELi1ELb0EEvPKcS1_S1_S1_S1_PKiPfP15HIP_vector_typeIfLj2EEffffjfiS5_IjLj3EEiiiiiiiiiiiliiliiiiil.has_indirect_call, 0
	.section	.AMDGPU.csdata,"",@progbits
; Kernel info:
; codeLenInByte = 22604
; TotalNumSgprs: 49
; NumVgprs: 164
; ScratchSize: 32
; MemoryBound: 0
; FloatMode: 240
; IeeeMode: 1
; LDSByteSize: 12288 bytes/workgroup (compile time only)
; SGPRBlocks: 0
; VGPRBlocks: 20
; NumSGPRsForWavesPerEU: 49
; NumVGPRsForWavesPerEU: 164
; Occupancy: 9
; WaveLimiterHint : 1
; COMPUTE_PGM_RSRC2:SCRATCH_EN: 1
; COMPUTE_PGM_RSRC2:USER_SGPR: 2
; COMPUTE_PGM_RSRC2:TRAP_HANDLER: 0
; COMPUTE_PGM_RSRC2:TGID_X_EN: 1
; COMPUTE_PGM_RSRC2:TGID_Y_EN: 1
; COMPUTE_PGM_RSRC2:TGID_Z_EN: 1
; COMPUTE_PGM_RSRC2:TIDIG_COMP_CNT: 1
	.section	.text._ZL33flash_attn_stream_k_fixup_uniformILi128ELi8ELi1EEvPfPK15HIP_vector_typeIfLj2EEiiiiiiS1_IjLj3EES5_S5_,"axG",@progbits,_ZL33flash_attn_stream_k_fixup_uniformILi128ELi8ELi1EEvPfPK15HIP_vector_typeIfLj2EEiiiiiiS1_IjLj3EES5_S5_,comdat
	.globl	_ZL33flash_attn_stream_k_fixup_uniformILi128ELi8ELi1EEvPfPK15HIP_vector_typeIfLj2EEiiiiiiS1_IjLj3EES5_S5_ ; -- Begin function _ZL33flash_attn_stream_k_fixup_uniformILi128ELi8ELi1EEvPfPK15HIP_vector_typeIfLj2EEiiiiiiS1_IjLj3EES5_S5_
	.p2align	8
	.type	_ZL33flash_attn_stream_k_fixup_uniformILi128ELi8ELi1EEvPfPK15HIP_vector_typeIfLj2EEiiiiiiS1_IjLj3EES5_S5_,@function
_ZL33flash_attn_stream_k_fixup_uniformILi128ELi8ELi1EEvPfPK15HIP_vector_typeIfLj2EEiiiiiiS1_IjLj3EES5_S5_: ; @_ZL33flash_attn_stream_k_fixup_uniformILi128ELi8ELi1EEvPfPK15HIP_vector_typeIfLj2EEiiiiiiS1_IjLj3EES5_S5_
; %bb.0:
	s_clause 0x1
	s_load_b256 s[4:11], s[0:1], 0x1c
	s_load_b128 s[12:15], s[0:1], 0x3c
	s_wait_kmcnt 0x0
	s_mul_hi_u32 s2, s7, ttmp9
	s_delay_alu instid0(SALU_CYCLE_1) | instskip(NEXT) | instid1(SALU_CYCLE_1)
	s_add_co_i32 s2, ttmp9, s2
	s_lshr_b32 s2, s2, s8
	s_delay_alu instid0(SALU_CYCLE_1) | instskip(SKIP_2) | instid1(SALU_CYCLE_1)
	s_mul_i32 s3, s2, s9
	s_load_b64 s[8:9], s[0:1], 0x10
	s_sub_co_i32 s7, ttmp9, s3
	s_mul_hi_u32 s3, s7, s10
	s_delay_alu instid0(SALU_CYCLE_1) | instskip(NEXT) | instid1(SALU_CYCLE_1)
	s_add_co_i32 s3, s7, s3
	s_lshr_b32 s3, s3, s11
	s_delay_alu instid0(SALU_CYCLE_1) | instskip(NEXT) | instid1(SALU_CYCLE_1)
	s_mul_i32 s10, s3, s12
	s_sub_co_i32 s7, s7, s10
	s_delay_alu instid0(SALU_CYCLE_1) | instskip(NEXT) | instid1(SALU_CYCLE_1)
	s_mul_hi_u32 s10, s7, s13
	s_add_co_i32 s10, s7, s10
	s_delay_alu instid0(SALU_CYCLE_1) | instskip(NEXT) | instid1(SALU_CYCLE_1)
	s_lshr_b32 s11, s10, s14
	s_mul_i32 s10, s11, s15
	s_delay_alu instid0(SALU_CYCLE_1) | instskip(SKIP_2) | instid1(SALU_CYCLE_1)
	s_sub_co_i32 s12, s7, s10
	s_and_b32 s7, ttmp7, 0xffff
	s_lshl_b32 s10, s12, 3
	s_add_co_i32 s13, s10, s7
	s_lshr_b32 s10, ttmp7, 16
	s_wait_kmcnt 0x0
	s_cmp_lt_i32 s13, s8
	s_cselect_b32 s13, -1, 0
	s_add_co_i32 s14, s11, s10
	s_delay_alu instid0(SALU_CYCLE_1) | instskip(SKIP_1) | instid1(SALU_CYCLE_1)
	s_cmp_lt_i32 s14, s5
	s_cselect_b32 s14, -1, 0
	s_and_b32 s13, s13, s14
	s_delay_alu instid0(SALU_CYCLE_1)
	s_and_not1_b32 vcc_lo, exec_lo, s13
	s_cbranch_vccnz .LBB63_6
; %bb.1:
	s_mul_i32 s2, s2, s8
	s_mul_i32 s5, s3, s5
	s_add_co_i32 s2, s2, s7
	s_delay_alu instid0(SALU_CYCLE_1) | instskip(NEXT) | instid1(SALU_CYCLE_1)
	s_mul_i32 s2, s2, s9
	s_add_co_i32 s8, s2, s10
	s_load_b128 s[0:3], s[0:1], 0x0
	s_add_co_i32 s5, s8, s5
	s_mul_i32 s8, s9, s12
	s_add_co_i32 s5, s5, s11
	s_lshl_b32 s8, s8, 10
	s_lshl_b32 s5, s5, 7
	s_add_co_i32 s9, s7, s10
	s_add_co_i32 s8, s8, s5
	s_delay_alu instid0(SALU_CYCLE_1) | instskip(SKIP_3) | instid1(SALU_CYCLE_1)
	v_or_b32_e32 v1, s8, v0
	s_mul_i32 s8, s6, ttmp9
	s_wait_alu 0xfffe
	s_add_co_i32 s5, s8, s6
	s_add_co_i32 s7, s5, -2
	v_ashrrev_i32_e32 v2, 31, v1
	s_delay_alu instid0(VALU_DEP_1) | instskip(SKIP_1) | instid1(VALU_DEP_1)
	v_lshlrev_b64_e32 v[1:2], 2, v[1:2]
	s_wait_kmcnt 0x0
	v_add_co_u32 v1, vcc_lo, s0, v1
	s_delay_alu instid0(VALU_DEP_1)
	v_add_co_ci_u32_e64 v2, null, s1, v2, vcc_lo
	s_lshl_b32 s0, s5, 3
	s_wait_alu 0xfffe
	s_add_co_i32 s0, s9, s0
	global_load_b32 v5, v[1:2], off
	s_wait_alu 0xfffe
	s_add_co_i32 s0, s0, -8
	s_wait_alu 0xfffe
	s_ashr_i32 s1, s0, 31
	s_wait_alu 0xfffe
	s_lshl_b64 s[0:1], s[0:1], 3
	s_cmp_lt_i32 s7, s8
	s_wait_alu 0xfffe
	s_add_nc_u64 s[0:1], s[2:3], s[0:1]
	s_load_b32 s10, s[0:1], 0x4
	s_cbranch_scc1 .LBB63_4
; %bb.2:
	s_load_b32 s0, s[0:1], 0x0
	s_add_co_i32 s7, ttmp9, 1
	s_wait_kmcnt 0x0
	v_mov_b32_e32 v6, s10
	s_mul_i32 s1, s6, s7
	s_lshl_b32 s7, s9, 7
	s_wait_alu 0xfffe
	s_lshl_b32 s11, s1, 10
	s_lshl_b32 s6, s4, 5
	s_wait_alu 0xfffe
	s_add_co_i32 s11, s7, s11
	s_lshl_b32 s1, s1, 3
	s_wait_alu 0xfffe
	v_or_b32_e32 v0, s11, v0
	s_ashr_i32 s7, s6, 31
	s_add_co_i32 s1, s9, s1
	s_lshl_b32 s4, s4, 3
	s_lshl_b64 s[6:7], s[6:7], 2
	v_add_nc_u32_e32 v3, 0xfffff800, v0
	s_wait_alu 0xfffe
	s_add_co_i32 s4, s1, s4
	s_add_nc_u64 s[6:7], s[2:3], s[6:7]
	s_add_co_i32 s1, s5, -1
	s_add_co_i32 s4, s4, -16
.LBB63_3:                               ; =>This Inner Loop Header: Depth=1
	v_ashrrev_i32_e32 v4, 31, v3
	s_ashr_i32 s5, s4, 31
	v_mov_b32_e32 v10, v6
	s_lshl_b64 s[10:11], s[4:5], 3
	s_wait_loadcnt 0x0
	v_mov_b32_e32 v9, v5
	v_lshlrev_b64_e32 v[7:8], 2, v[3:4]
	s_wait_alu 0xfffe
	s_add_nc_u64 s[10:11], s[2:3], s[10:11]
	v_max_num_f32_e64 v4, s0, s0
	s_load_b64 s[10:11], s[10:11], 0x0
	v_add_nc_u32_e32 v3, 0xfffffc00, v3
	v_add_co_u32 v7, vcc_lo, s6, v7
	s_wait_alu 0xfffd
	v_add_co_ci_u32_e64 v8, null, s7, v8, vcc_lo
	v_readfirstlane_b32 s5, v4
	global_load_b32 v0, v[7:8], off
	s_wait_kmcnt 0x0
	v_max_num_f32_e64 v4, s10, s10
	s_delay_alu instid0(VALU_DEP_1) | instskip(SKIP_1) | instid1(SALU_CYCLE_3)
	v_readfirstlane_b32 s9, v4
	s_max_num_f32 s5, s5, s9
	s_sub_f32 s0, s0, s5
	s_sub_f32 s9, s10, s5
	s_wait_alu 0xfffe
	s_delay_alu instid0(SALU_CYCLE_1) | instskip(NEXT) | instid1(SALU_CYCLE_1)
	s_mul_f32 s10, s0, 0x3fb8aa3b
	s_mul_f32 s12, s9, 0x3fb8aa3b
	s_wait_alu 0xfffe
	s_delay_alu instid0(SALU_CYCLE_1)
	s_xor_b32 s13, s10, 0x80000000
	s_rndne_f32 s14, s10
	s_fmamk_f32 s13, s0, 0x3fb8aa3b, s13
	s_cmp_nlt_f32 s0, 0xc2ce8ed0
	s_rndne_f32 s15, s12
	s_wait_alu 0xfffe
	s_sub_f32 s10, s10, s14
	s_fmamk_f32 s13, s0, 0x32a5705f, s13
	s_cvt_i32_f32 s14, s14
	s_cselect_b32 vcc_lo, -1, 0
	s_cmp_ngt_f32 s0, 0x42b17218
	s_wait_alu 0xfffe
	s_add_f32 s10, s10, s13
	s_sub_f32 s13, s12, s15
	s_wait_alu 0xfffe
	s_delay_alu instid0(SALU_CYCLE_1) | instskip(SKIP_1) | instid1(TRANS32_DEP_1)
	v_s_exp_f32 s10, s10
	s_wait_alu 0xf1ff
	v_ldexp_f32 v4, s10, s14
	s_cvt_i32_f32 s10, s15
	s_delay_alu instid0(VALU_DEP_1) | instskip(SKIP_3) | instid1(VALU_DEP_1)
	v_cndmask_b32_e32 v4, 0, v4, vcc_lo
	s_cselect_b32 vcc_lo, -1, 0
	s_cmp_ge_f32 s0, 0xc1a00000
	s_wait_alu 0xfffe
	v_cndmask_b32_e32 v4, 0x7f800000, v4, vcc_lo
	s_cselect_b32 vcc_lo, -1, 0
	s_xor_b32 s0, s12, 0x80000000
	s_cmp_nlt_f32 s9, 0xc2ce8ed0
	s_wait_alu 0xfffe
	s_fmamk_f32 s0, s9, 0x3fb8aa3b, s0
	s_wait_alu 0xfffe
	s_delay_alu instid0(SALU_CYCLE_2) | instskip(SKIP_1) | instid1(SALU_CYCLE_2)
	s_fmamk_f32 s0, s9, 0x32a5705f, s0
	s_wait_alu 0xfffe
	s_add_f32 s0, s13, s0
	s_wait_alu 0xfffe
	s_delay_alu instid0(SALU_CYCLE_2) | instskip(SKIP_1) | instid1(TRANS32_DEP_1)
	v_s_exp_f32 s0, s0
	s_wait_alu 0xf1ff
	v_ldexp_f32 v7, s0, s10
	s_cselect_b32 s0, -1, 0
	s_cmp_ngt_f32 s9, 0x42b17218
	s_wait_alu 0xfffe
	s_delay_alu instid0(VALU_DEP_1) | instskip(SKIP_3) | instid1(VALU_DEP_1)
	v_cndmask_b32_e64 v7, 0, v7, s0
	s_cselect_b32 s0, -1, 0
	s_cmp_ge_f32 s9, 0xc1a00000
	s_wait_alu 0xfffe
	v_cndmask_b32_e64 v7, 0x7f800000, v7, s0
	s_cselect_b32 s0, -1, 0
	s_add_co_i32 s1, s1, -1
	s_add_co_i32 s4, s4, -8
	s_wait_alu 0xfffe
	s_cmp_le_i32 s1, s8
	v_cndmask_b32_e64 v7, 0, v7, s0
	s_mov_b32 s0, s5
	s_wait_loadcnt 0x0
	s_delay_alu instid0(VALU_DEP_1) | instskip(NEXT) | instid1(VALU_DEP_1)
	v_dual_mul_f32 v5, v0, v7 :: v_dual_cndmask_b32 v4, 0, v4
	v_dual_mul_f32 v8, s11, v7 :: v_dual_fmac_f32 v5, v9, v4
	s_delay_alu instid0(VALU_DEP_1) | instskip(NEXT) | instid1(VALU_DEP_1)
	v_mov_b32_e32 v6, v8
	v_fmac_f32_e32 v6, v10, v4
	s_cbranch_scc0 .LBB63_3
	s_branch .LBB63_5
.LBB63_4:
	s_wait_kmcnt 0x0
	v_mov_b32_e32 v6, s10
.LBB63_5:
	s_wait_loadcnt 0x0
	s_delay_alu instid0(VALU_DEP_1) | instskip(NEXT) | instid1(VALU_DEP_1)
	v_div_scale_f32 v0, null, v6, v6, v5
	v_rcp_f32_e32 v3, v0
	s_delay_alu instid0(TRANS32_DEP_1) | instskip(NEXT) | instid1(VALU_DEP_1)
	v_fma_f32 v4, -v0, v3, 1.0
	v_fmac_f32_e32 v3, v4, v3
	v_div_scale_f32 v4, vcc_lo, v5, v6, v5
	s_delay_alu instid0(VALU_DEP_1) | instskip(NEXT) | instid1(VALU_DEP_1)
	v_mul_f32_e32 v7, v4, v3
	v_fma_f32 v8, -v0, v7, v4
	s_delay_alu instid0(VALU_DEP_1) | instskip(NEXT) | instid1(VALU_DEP_1)
	v_fmac_f32_e32 v7, v8, v3
	v_fma_f32 v0, -v0, v7, v4
	s_wait_alu 0xfffd
	s_delay_alu instid0(VALU_DEP_1) | instskip(NEXT) | instid1(VALU_DEP_1)
	v_div_fmas_f32 v0, v0, v3, v7
	v_div_fixup_f32 v0, v0, v6, v5
	global_store_b32 v[1:2], v0, off
.LBB63_6:
	s_endpgm
	.section	.rodata,"a",@progbits
	.p2align	6, 0x0
	.amdhsa_kernel _ZL33flash_attn_stream_k_fixup_uniformILi128ELi8ELi1EEvPfPK15HIP_vector_typeIfLj2EEiiiiiiS1_IjLj3EES5_S5_
		.amdhsa_group_segment_fixed_size 0
		.amdhsa_private_segment_fixed_size 0
		.amdhsa_kernarg_size 76
		.amdhsa_user_sgpr_count 2
		.amdhsa_user_sgpr_dispatch_ptr 0
		.amdhsa_user_sgpr_queue_ptr 0
		.amdhsa_user_sgpr_kernarg_segment_ptr 1
		.amdhsa_user_sgpr_dispatch_id 0
		.amdhsa_user_sgpr_private_segment_size 0
		.amdhsa_wavefront_size32 1
		.amdhsa_uses_dynamic_stack 0
		.amdhsa_enable_private_segment 0
		.amdhsa_system_sgpr_workgroup_id_x 1
		.amdhsa_system_sgpr_workgroup_id_y 1
		.amdhsa_system_sgpr_workgroup_id_z 1
		.amdhsa_system_sgpr_workgroup_info 0
		.amdhsa_system_vgpr_workitem_id 0
		.amdhsa_next_free_vgpr 11
		.amdhsa_next_free_sgpr 16
		.amdhsa_reserve_vcc 1
		.amdhsa_float_round_mode_32 0
		.amdhsa_float_round_mode_16_64 0
		.amdhsa_float_denorm_mode_32 3
		.amdhsa_float_denorm_mode_16_64 3
		.amdhsa_fp16_overflow 0
		.amdhsa_workgroup_processor_mode 1
		.amdhsa_memory_ordered 1
		.amdhsa_forward_progress 1
		.amdhsa_inst_pref_size 9
		.amdhsa_round_robin_scheduling 0
		.amdhsa_exception_fp_ieee_invalid_op 0
		.amdhsa_exception_fp_denorm_src 0
		.amdhsa_exception_fp_ieee_div_zero 0
		.amdhsa_exception_fp_ieee_overflow 0
		.amdhsa_exception_fp_ieee_underflow 0
		.amdhsa_exception_fp_ieee_inexact 0
		.amdhsa_exception_int_div_zero 0
	.end_amdhsa_kernel
	.section	.text._ZL33flash_attn_stream_k_fixup_uniformILi128ELi8ELi1EEvPfPK15HIP_vector_typeIfLj2EEiiiiiiS1_IjLj3EES5_S5_,"axG",@progbits,_ZL33flash_attn_stream_k_fixup_uniformILi128ELi8ELi1EEvPfPK15HIP_vector_typeIfLj2EEiiiiiiS1_IjLj3EES5_S5_,comdat
.Lfunc_end63:
	.size	_ZL33flash_attn_stream_k_fixup_uniformILi128ELi8ELi1EEvPfPK15HIP_vector_typeIfLj2EEiiiiiiS1_IjLj3EES5_S5_, .Lfunc_end63-_ZL33flash_attn_stream_k_fixup_uniformILi128ELi8ELi1EEvPfPK15HIP_vector_typeIfLj2EEiiiiiiS1_IjLj3EES5_S5_
                                        ; -- End function
	.set _ZL33flash_attn_stream_k_fixup_uniformILi128ELi8ELi1EEvPfPK15HIP_vector_typeIfLj2EEiiiiiiS1_IjLj3EES5_S5_.num_vgpr, 11
	.set _ZL33flash_attn_stream_k_fixup_uniformILi128ELi8ELi1EEvPfPK15HIP_vector_typeIfLj2EEiiiiiiS1_IjLj3EES5_S5_.num_agpr, 0
	.set _ZL33flash_attn_stream_k_fixup_uniformILi128ELi8ELi1EEvPfPK15HIP_vector_typeIfLj2EEiiiiiiS1_IjLj3EES5_S5_.numbered_sgpr, 16
	.set _ZL33flash_attn_stream_k_fixup_uniformILi128ELi8ELi1EEvPfPK15HIP_vector_typeIfLj2EEiiiiiiS1_IjLj3EES5_S5_.num_named_barrier, 0
	.set _ZL33flash_attn_stream_k_fixup_uniformILi128ELi8ELi1EEvPfPK15HIP_vector_typeIfLj2EEiiiiiiS1_IjLj3EES5_S5_.private_seg_size, 0
	.set _ZL33flash_attn_stream_k_fixup_uniformILi128ELi8ELi1EEvPfPK15HIP_vector_typeIfLj2EEiiiiiiS1_IjLj3EES5_S5_.uses_vcc, 1
	.set _ZL33flash_attn_stream_k_fixup_uniformILi128ELi8ELi1EEvPfPK15HIP_vector_typeIfLj2EEiiiiiiS1_IjLj3EES5_S5_.uses_flat_scratch, 0
	.set _ZL33flash_attn_stream_k_fixup_uniformILi128ELi8ELi1EEvPfPK15HIP_vector_typeIfLj2EEiiiiiiS1_IjLj3EES5_S5_.has_dyn_sized_stack, 0
	.set _ZL33flash_attn_stream_k_fixup_uniformILi128ELi8ELi1EEvPfPK15HIP_vector_typeIfLj2EEiiiiiiS1_IjLj3EES5_S5_.has_recursion, 0
	.set _ZL33flash_attn_stream_k_fixup_uniformILi128ELi8ELi1EEvPfPK15HIP_vector_typeIfLj2EEiiiiiiS1_IjLj3EES5_S5_.has_indirect_call, 0
	.section	.AMDGPU.csdata,"",@progbits
; Kernel info:
; codeLenInByte = 1120
; TotalNumSgprs: 18
; NumVgprs: 11
; ScratchSize: 0
; MemoryBound: 0
; FloatMode: 240
; IeeeMode: 1
; LDSByteSize: 0 bytes/workgroup (compile time only)
; SGPRBlocks: 0
; VGPRBlocks: 1
; NumSGPRsForWavesPerEU: 18
; NumVGPRsForWavesPerEU: 11
; Occupancy: 16
; WaveLimiterHint : 0
; COMPUTE_PGM_RSRC2:SCRATCH_EN: 0
; COMPUTE_PGM_RSRC2:USER_SGPR: 2
; COMPUTE_PGM_RSRC2:TRAP_HANDLER: 0
; COMPUTE_PGM_RSRC2:TGID_X_EN: 1
; COMPUTE_PGM_RSRC2:TGID_Y_EN: 1
; COMPUTE_PGM_RSRC2:TGID_Z_EN: 1
; COMPUTE_PGM_RSRC2:TIDIG_COMP_CNT: 0
	.section	.text._ZL33flash_attn_stream_k_fixup_generalILi128ELi8ELi1EEvPfPK15HIP_vector_typeIfLj2EEiiiiS1_IjLj3EES5_S5_S5_,"axG",@progbits,_ZL33flash_attn_stream_k_fixup_generalILi128ELi8ELi1EEvPfPK15HIP_vector_typeIfLj2EEiiiiS1_IjLj3EES5_S5_S5_,comdat
	.globl	_ZL33flash_attn_stream_k_fixup_generalILi128ELi8ELi1EEvPfPK15HIP_vector_typeIfLj2EEiiiiS1_IjLj3EES5_S5_S5_ ; -- Begin function _ZL33flash_attn_stream_k_fixup_generalILi128ELi8ELi1EEvPfPK15HIP_vector_typeIfLj2EEiiiiS1_IjLj3EES5_S5_S5_
	.p2align	8
	.type	_ZL33flash_attn_stream_k_fixup_generalILi128ELi8ELi1EEvPfPK15HIP_vector_typeIfLj2EEiiiiS1_IjLj3EES5_S5_S5_,@function
_ZL33flash_attn_stream_k_fixup_generalILi128ELi8ELi1EEvPfPK15HIP_vector_typeIfLj2EEiiiiS1_IjLj3EES5_S5_S5_: ; @_ZL33flash_attn_stream_k_fixup_generalILi128ELi8ELi1EEvPfPK15HIP_vector_typeIfLj2EEiiiiS1_IjLj3EES5_S5_S5_
; %bb.0:
	s_clause 0x1
	s_load_b128 s[4:7], s[0:1], 0x10
	s_load_b32 s16, s[0:1], 0x50
	s_mov_b32 s2, ttmp9
	s_ashr_i32 s3, ttmp9, 31
	s_mov_b32 s17, 0
	s_delay_alu instid0(SALU_CYCLE_1) | instskip(SKIP_3) | instid1(SALU_CYCLE_1)
	s_mov_b32 s8, s17
	s_wait_kmcnt 0x0
	s_ashr_i32 s19, s7, 31
	s_mov_b32 s18, s7
	s_mul_u64 s[2:3], s[18:19], s[2:3]
	s_delay_alu instid0(SALU_CYCLE_1) | instskip(NEXT) | instid1(SALU_CYCLE_1)
	s_mov_b32 s9, s3
	s_cmp_lg_u64 s[8:9], 0
	s_cbranch_scc0 .LBB64_21
; %bb.1:
	s_add_nc_u64 s[8:9], s[16:17], 0
	s_mov_b32 s15, s17
	s_xor_b64 s[8:9], s[8:9], 0
	s_mov_b32 s23, s17
	s_cvt_f32_u32 s7, s8
	s_cvt_f32_u32 s10, s9
	s_sub_nc_u64 s[12:13], 0, s[8:9]
	s_delay_alu instid0(SALU_CYCLE_2) | instskip(NEXT) | instid1(SALU_CYCLE_3)
	s_fmamk_f32 s7, s10, 0x4f800000, s7
	v_s_rcp_f32 s7, s7
	s_delay_alu instid0(TRANS32_DEP_1) | instskip(SKIP_1) | instid1(SALU_CYCLE_2)
	s_mul_f32 s7, s7, 0x5f7ffffc
	s_wait_alu 0xfffe
	s_mul_f32 s10, s7, 0x2f800000
	s_delay_alu instid0(SALU_CYCLE_3) | instskip(NEXT) | instid1(SALU_CYCLE_3)
	s_trunc_f32 s10, s10
	s_fmamk_f32 s7, s10, 0xcf800000, s7
	s_cvt_u32_f32 s11, s10
	s_wait_alu 0xfffe
	s_delay_alu instid0(SALU_CYCLE_1) | instskip(NEXT) | instid1(SALU_CYCLE_3)
	s_cvt_u32_f32 s10, s7
	s_mul_u64 s[20:21], s[12:13], s[10:11]
	s_delay_alu instid0(SALU_CYCLE_1)
	s_mul_hi_u32 s25, s10, s21
	s_mul_i32 s24, s10, s21
	s_mul_hi_u32 s14, s10, s20
	s_mul_i32 s22, s11, s20
	s_add_nc_u64 s[14:15], s[14:15], s[24:25]
	s_mul_hi_u32 s7, s11, s20
	s_mul_hi_u32 s26, s11, s21
	s_add_co_u32 s14, s14, s22
	s_wait_alu 0xfffe
	s_add_co_ci_u32 s22, s15, s7
	s_mul_i32 s20, s11, s21
	s_add_co_ci_u32 s21, s26, 0
	s_delay_alu instid0(SALU_CYCLE_1)
	s_add_nc_u64 s[14:15], s[22:23], s[20:21]
	s_mov_b32 s21, s17
	s_add_co_u32 s10, s10, s14
	s_cselect_b32 s7, -1, 0
	s_wait_alu 0xfffe
	s_cmp_lg_u32 s7, 0
	s_add_co_ci_u32 s11, s11, s15
	s_mov_b32 s15, s17
	s_mul_u64 s[12:13], s[12:13], s[10:11]
	s_delay_alu instid0(SALU_CYCLE_1)
	s_mul_hi_u32 s23, s10, s13
	s_mul_i32 s22, s10, s13
	s_mul_hi_u32 s14, s10, s12
	s_mul_i32 s20, s11, s12
	s_add_nc_u64 s[14:15], s[14:15], s[22:23]
	s_mul_hi_u32 s7, s11, s12
	s_mul_hi_u32 s24, s11, s13
	s_mul_i32 s12, s11, s13
	s_add_co_u32 s13, s14, s20
	s_wait_alu 0xfffe
	s_add_co_ci_u32 s20, s15, s7
	s_add_co_ci_u32 s13, s24, 0
	s_mov_b32 s15, s17
	s_add_nc_u64 s[12:13], s[20:21], s[12:13]
	s_delay_alu instid0(SALU_CYCLE_1) | instskip(SKIP_1) | instid1(SALU_CYCLE_1)
	s_add_co_u32 s7, s10, s12
	s_cselect_b32 s10, -1, 0
	s_cmp_lg_u32 s10, 0
	s_add_co_ci_u32 s20, s11, s13
	s_ashr_i32 s10, s3, 31
	s_delay_alu instid0(SALU_CYCLE_1) | instskip(NEXT) | instid1(SALU_CYCLE_1)
	s_mov_b32 s11, s10
	s_add_nc_u64 s[12:13], s[2:3], s[10:11]
	s_delay_alu instid0(SALU_CYCLE_1) | instskip(NEXT) | instid1(SALU_CYCLE_1)
	s_xor_b64 s[12:13], s[12:13], s[10:11]
	s_mul_hi_u32 s23, s12, s20
	s_mul_i32 s22, s12, s20
	s_wait_alu 0xfffe
	s_mul_hi_u32 s14, s12, s7
	s_mul_hi_u32 s24, s13, s7
	s_mul_i32 s7, s13, s7
	s_add_nc_u64 s[14:15], s[14:15], s[22:23]
	s_mul_hi_u32 s3, s13, s20
	s_wait_alu 0xfffe
	s_add_co_u32 s7, s14, s7
	s_mul_i32 s22, s13, s20
	s_add_co_ci_u32 s20, s15, s24
	s_add_co_ci_u32 s23, s3, 0
	s_delay_alu instid0(SALU_CYCLE_1) | instskip(NEXT) | instid1(SALU_CYCLE_1)
	s_add_nc_u64 s[14:15], s[20:21], s[22:23]
	s_mul_u64 s[20:21], s[8:9], s[14:15]
	s_delay_alu instid0(SALU_CYCLE_1)
	s_sub_co_u32 s3, s12, s20
	s_cselect_b32 s7, -1, 0
	s_sub_co_i32 s12, s13, s21
	s_wait_alu 0xfffe
	s_cmp_lg_u32 s7, 0
	s_sub_co_ci_u32 s12, s12, s9
	s_sub_co_u32 s20, s3, s8
	s_cselect_b32 s22, -1, 0
	s_delay_alu instid0(SALU_CYCLE_1) | instskip(SKIP_2) | instid1(SALU_CYCLE_1)
	s_cmp_lg_u32 s22, 0
	s_add_nc_u64 s[22:23], s[14:15], 1
	s_sub_co_ci_u32 s12, s12, 0
	s_cmp_ge_u32 s12, s9
	s_cselect_b32 s24, -1, 0
	s_cmp_ge_u32 s20, s8
	s_cselect_b32 s20, -1, 0
	s_cmp_eq_u32 s12, s9
	s_cselect_b32 s12, s20, s24
	s_add_nc_u64 s[24:25], s[14:15], 2
	s_cmp_lg_u32 s12, 0
	s_cselect_b32 s12, s24, s22
	s_cselect_b32 s20, s25, s23
	s_cmp_lg_u32 s7, 0
	s_sub_co_ci_u32 s7, s13, s21
	s_wait_alu 0xfffe
	s_cmp_ge_u32 s7, s9
	s_cselect_b32 s13, -1, 0
	s_cmp_ge_u32 s3, s8
	s_cselect_b32 s3, -1, 0
	s_cmp_eq_u32 s7, s9
	s_cselect_b32 s3, s3, s13
	s_delay_alu instid0(SALU_CYCLE_1) | instskip(SKIP_4) | instid1(SALU_CYCLE_1)
	s_cmp_lg_u32 s3, 0
	s_mov_b32 s3, s17
	s_cselect_b32 s9, s20, s15
	s_cselect_b32 s8, s12, s14
	s_xor_b64 s[10:11], s[10:11], 0
	s_xor_b64 s[8:9], s[8:9], s[10:11]
	s_delay_alu instid0(SALU_CYCLE_1)
	s_sub_nc_u64 s[20:21], s[8:9], s[10:11]
	s_and_not1_b32 vcc_lo, exec_lo, s3
	s_cbranch_vccnz .LBB64_3
.LBB64_2:
	v_cvt_f32_u32_e32 v1, s16
	s_sub_co_i32 s7, 0, s16
	s_delay_alu instid0(VALU_DEP_1) | instskip(NEXT) | instid1(TRANS32_DEP_1)
	v_rcp_iflag_f32_e32 v1, v1
	v_mul_f32_e32 v1, 0x4f7ffffe, v1
	s_delay_alu instid0(VALU_DEP_1) | instskip(NEXT) | instid1(VALU_DEP_1)
	v_cvt_u32_f32_e32 v1, v1
	v_readfirstlane_b32 s3, v1
	s_wait_alu 0xfffe
	s_mul_i32 s7, s7, s3
	s_wait_alu 0xfffe
	s_mul_hi_u32 s7, s3, s7
	s_wait_alu 0xfffe
	s_add_co_i32 s3, s3, s7
	s_delay_alu instid0(SALU_CYCLE_1) | instskip(NEXT) | instid1(SALU_CYCLE_1)
	s_mul_hi_u32 s3, s2, s3
	s_mul_i32 s7, s3, s16
	s_wait_alu 0xfffe
	s_sub_co_i32 s2, s2, s7
	s_add_co_i32 s7, s3, 1
	s_sub_co_i32 s8, s2, s16
	s_cmp_ge_u32 s2, s16
	s_wait_alu 0xfffe
	s_cselect_b32 s3, s7, s3
	s_cselect_b32 s2, s8, s2
	s_add_co_i32 s7, s3, 1
	s_cmp_ge_u32 s2, s16
	s_wait_alu 0xfffe
	s_cselect_b32 s20, s7, s3
.LBB64_3:
	s_add_co_i32 s2, ttmp9, 1
	s_mov_b32 s8, 0
	s_ashr_i32 s3, s2, 31
	s_delay_alu instid0(SALU_CYCLE_1) | instskip(NEXT) | instid1(SALU_CYCLE_1)
	s_mul_u64 s[2:3], s[18:19], s[2:3]
	s_mov_b32 s9, s3
	s_delay_alu instid0(SALU_CYCLE_1)
	s_cmp_lg_u64 s[8:9], 0
	s_cbranch_scc0 .LBB64_22
; %bb.4:
	s_add_nc_u64 s[10:11], s[16:17], 0
	s_mov_b32 s23, s8
	s_xor_b64 s[10:11], s[10:11], 0
	s_mov_b32 s27, s8
	s_cvt_f32_u32 s7, s10
	s_cvt_f32_u32 s9, s11
	s_sub_nc_u64 s[14:15], 0, s[10:11]
	s_wait_alu 0xfffe
	s_delay_alu instid0(SALU_CYCLE_1) | instskip(SKIP_1) | instid1(SALU_CYCLE_2)
	s_fmamk_f32 s7, s9, 0x4f800000, s7
	s_wait_alu 0xfffe
	v_s_rcp_f32 s7, s7
	s_delay_alu instid0(TRANS32_DEP_1) | instskip(SKIP_1) | instid1(SALU_CYCLE_2)
	s_mul_f32 s7, s7, 0x5f7ffffc
	s_wait_alu 0xfffe
	s_mul_f32 s9, s7, 0x2f800000
	s_delay_alu instid0(SALU_CYCLE_3) | instskip(NEXT) | instid1(SALU_CYCLE_3)
	s_trunc_f32 s9, s9
	s_fmamk_f32 s7, s9, 0xcf800000, s7
	s_cvt_u32_f32 s13, s9
	s_wait_alu 0xfffe
	s_delay_alu instid0(SALU_CYCLE_1) | instskip(NEXT) | instid1(SALU_CYCLE_3)
	s_cvt_u32_f32 s12, s7
	s_mul_u64 s[24:25], s[14:15], s[12:13]
	s_delay_alu instid0(SALU_CYCLE_1)
	s_mul_hi_u32 s29, s12, s25
	s_mul_i32 s28, s12, s25
	s_mul_hi_u32 s22, s12, s24
	s_mul_i32 s9, s13, s24
	s_add_nc_u64 s[22:23], s[22:23], s[28:29]
	s_mul_hi_u32 s7, s13, s24
	s_mul_hi_u32 s21, s13, s25
	s_add_co_u32 s9, s22, s9
	s_wait_alu 0xfffe
	s_add_co_ci_u32 s26, s23, s7
	s_mul_i32 s24, s13, s25
	s_add_co_ci_u32 s25, s21, 0
	s_delay_alu instid0(SALU_CYCLE_1)
	s_add_nc_u64 s[22:23], s[26:27], s[24:25]
	s_mov_b32 s25, s8
	s_add_co_u32 s12, s12, s22
	s_cselect_b32 s7, -1, 0
	s_wait_alu 0xfffe
	s_cmp_lg_u32 s7, 0
	s_add_co_ci_u32 s13, s13, s23
	s_mov_b32 s23, s8
	s_mul_u64 s[14:15], s[14:15], s[12:13]
	s_delay_alu instid0(SALU_CYCLE_1)
	s_mul_hi_u32 s27, s12, s15
	s_mul_i32 s26, s12, s15
	s_mul_hi_u32 s22, s12, s14
	s_mul_i32 s9, s13, s14
	s_add_nc_u64 s[22:23], s[22:23], s[26:27]
	s_mul_hi_u32 s7, s13, s14
	s_mul_hi_u32 s21, s13, s15
	s_add_co_u32 s9, s22, s9
	s_wait_alu 0xfffe
	s_add_co_ci_u32 s24, s23, s7
	s_mul_i32 s14, s13, s15
	s_add_co_ci_u32 s15, s21, 0
	s_mov_b32 s23, s8
	s_add_nc_u64 s[14:15], s[24:25], s[14:15]
	s_delay_alu instid0(SALU_CYCLE_1) | instskip(SKIP_1) | instid1(SALU_CYCLE_1)
	s_add_co_u32 s7, s12, s14
	s_cselect_b32 s9, -1, 0
	s_cmp_lg_u32 s9, 0
	s_add_co_ci_u32 s9, s13, s15
	s_ashr_i32 s12, s3, 31
	s_delay_alu instid0(SALU_CYCLE_1) | instskip(NEXT) | instid1(SALU_CYCLE_1)
	s_mov_b32 s13, s12
	s_add_nc_u64 s[14:15], s[2:3], s[12:13]
	s_delay_alu instid0(SALU_CYCLE_1) | instskip(NEXT) | instid1(SALU_CYCLE_1)
	s_xor_b64 s[14:15], s[14:15], s[12:13]
	s_mul_hi_u32 s27, s14, s9
	s_mul_i32 s26, s14, s9
	s_wait_alu 0xfffe
	s_mul_hi_u32 s22, s14, s7
	s_mul_hi_u32 s21, s15, s7
	s_mul_i32 s7, s15, s7
	s_add_nc_u64 s[22:23], s[22:23], s[26:27]
	s_mul_hi_u32 s3, s15, s9
	s_wait_alu 0xfffe
	s_add_co_u32 s7, s22, s7
	s_add_co_ci_u32 s24, s23, s21
	s_mul_i32 s26, s15, s9
	s_add_co_ci_u32 s27, s3, 0
	s_delay_alu instid0(SALU_CYCLE_1) | instskip(NEXT) | instid1(SALU_CYCLE_1)
	s_add_nc_u64 s[22:23], s[24:25], s[26:27]
	s_mul_u64 s[24:25], s[10:11], s[22:23]
	s_add_nc_u64 s[26:27], s[22:23], 1
	s_sub_co_u32 s3, s14, s24
	s_cselect_b32 s7, -1, 0
	s_sub_co_i32 s9, s15, s25
	s_wait_alu 0xfffe
	s_cmp_lg_u32 s7, 0
	s_add_nc_u64 s[28:29], s[22:23], 2
	s_sub_co_ci_u32 s9, s9, s11
	s_sub_co_u32 s14, s3, s10
	s_cselect_b32 s21, -1, 0
	s_delay_alu instid0(SALU_CYCLE_1) | instskip(SKIP_1) | instid1(SALU_CYCLE_1)
	s_cmp_lg_u32 s21, 0
	s_sub_co_ci_u32 s9, s9, 0
	s_cmp_ge_u32 s9, s11
	s_cselect_b32 s21, -1, 0
	s_cmp_ge_u32 s14, s10
	s_cselect_b32 s14, -1, 0
	s_cmp_eq_u32 s9, s11
	s_cselect_b32 s9, s14, s21
	s_delay_alu instid0(SALU_CYCLE_1)
	s_cmp_lg_u32 s9, 0
	s_cselect_b32 s9, s28, s26
	s_cselect_b32 s14, s29, s27
	s_cmp_lg_u32 s7, 0
	s_sub_co_ci_u32 s7, s15, s25
	s_wait_alu 0xfffe
	s_cmp_ge_u32 s7, s11
	s_cselect_b32 s15, -1, 0
	s_cmp_ge_u32 s3, s10
	s_cselect_b32 s3, -1, 0
	s_cmp_eq_u32 s7, s11
	s_cselect_b32 s3, s3, s15
	s_delay_alu instid0(SALU_CYCLE_1) | instskip(SKIP_3) | instid1(SALU_CYCLE_1)
	s_cmp_lg_u32 s3, 0
	s_cselect_b32 s11, s14, s23
	s_cselect_b32 s10, s9, s22
	s_xor_b64 s[12:13], s[12:13], 0
	s_xor_b64 s[10:11], s[10:11], s[12:13]
	s_delay_alu instid0(SALU_CYCLE_1)
	s_sub_nc_u64 s[10:11], s[10:11], s[12:13]
	s_load_b96 s[12:14], s[0:1], 0x44
	s_and_not1_b32 vcc_lo, exec_lo, s8
	s_cbranch_vccnz .LBB64_6
.LBB64_5:
	v_cvt_f32_u32_e32 v1, s16
	s_sub_co_i32 s7, 0, s16
	s_delay_alu instid0(VALU_DEP_1) | instskip(NEXT) | instid1(TRANS32_DEP_1)
	v_rcp_iflag_f32_e32 v1, v1
	v_mul_f32_e32 v1, 0x4f7ffffe, v1
	s_delay_alu instid0(VALU_DEP_1) | instskip(NEXT) | instid1(VALU_DEP_1)
	v_cvt_u32_f32_e32 v1, v1
	v_readfirstlane_b32 s3, v1
	s_wait_alu 0xfffe
	s_mul_i32 s7, s7, s3
	s_wait_alu 0xfffe
	s_mul_hi_u32 s7, s3, s7
	s_wait_alu 0xfffe
	s_add_co_i32 s3, s3, s7
	s_delay_alu instid0(SALU_CYCLE_1) | instskip(NEXT) | instid1(SALU_CYCLE_1)
	s_mul_hi_u32 s3, s2, s3
	s_mul_i32 s7, s3, s16
	s_wait_alu 0xfffe
	s_sub_co_i32 s2, s2, s7
	s_add_co_i32 s7, s3, 1
	s_sub_co_i32 s8, s2, s16
	s_cmp_ge_u32 s2, s16
	s_wait_alu 0xfffe
	s_cselect_b32 s3, s7, s3
	s_cselect_b32 s2, s8, s2
	s_add_co_i32 s7, s3, 1
	s_cmp_ge_u32 s2, s16
	s_wait_alu 0xfffe
	s_cselect_b32 s10, s7, s3
.LBB64_6:
	s_mov_b32 s21, 0
	s_wait_kmcnt 0x0
	s_mov_b32 s22, s12
	s_mov_b32 s23, s21
	s_cmp_eq_u32 s20, s10
	s_mul_u64 s[2:3], s[20:21], s[22:23]
	s_cselect_b32 s7, -1, 0
	s_add_co_i32 s2, s3, s20
	s_mov_b32 s11, s21
	s_lshr_b32 s12, s2, s13
	s_mul_u64 s[2:3], s[10:11], s[22:23]
	s_mul_i32 s2, s12, s14
	s_delay_alu instid0(SALU_CYCLE_1) | instskip(SKIP_2) | instid1(SALU_CYCLE_1)
	s_cmp_eq_u32 s2, s20
	s_cselect_b32 s2, -1, 0
	s_add_co_i32 s3, s3, s10
	s_lshr_b32 s3, s3, s13
	s_delay_alu instid0(SALU_CYCLE_1)
	s_cmp_eq_u32 s12, s3
	s_mul_i32 s3, s3, s14
	s_cselect_b32 s8, -1, 0
	s_cmp_lg_u32 s3, s10
	s_cselect_b32 s3, -1, 0
	s_wait_alu 0xfffe
	s_or_b32 s2, s7, s2
	s_and_b32 s3, s8, s3
	s_delay_alu instid0(SALU_CYCLE_1) | instskip(NEXT) | instid1(SALU_CYCLE_1)
	s_or_b32 s2, s2, s3
	s_and_b32 vcc_lo, exec_lo, s2
	s_cbranch_vccnz .LBB64_24
; %bb.7:
	s_load_b256 s[24:31], s[0:1], 0x20
	s_mov_b32 s3, s21
	s_and_b32 s15, ttmp7, 0xffff
	s_wait_kmcnt 0x0
	s_mov_b32 s2, s24
	s_delay_alu instid0(SALU_CYCLE_1) | instskip(NEXT) | instid1(SALU_CYCLE_1)
	s_mul_u64 s[2:3], s[20:21], s[2:3]
	s_add_co_i32 s2, s3, s20
	s_delay_alu instid0(SALU_CYCLE_1) | instskip(SKIP_4) | instid1(SALU_CYCLE_1)
	s_lshr_b32 s3, s2, s25
	s_load_b32 s2, s[0:1], 0x40
	s_mul_i32 s7, s3, s26
	s_wait_alu 0xfffe
	s_sub_co_i32 s8, s20, s7
	s_mul_hi_u32 s7, s8, s27
	s_wait_alu 0xfffe
	s_add_co_i32 s7, s8, s7
	s_wait_alu 0xfffe
	s_lshr_b32 s7, s7, s28
	s_wait_alu 0xfffe
	s_mul_i32 s9, s7, s29
	s_delay_alu instid0(SALU_CYCLE_1) | instskip(NEXT) | instid1(SALU_CYCLE_1)
	s_sub_co_i32 s8, s8, s9
	s_mul_hi_u32 s9, s8, s30
	s_delay_alu instid0(SALU_CYCLE_1) | instskip(NEXT) | instid1(SALU_CYCLE_1)
	s_add_co_i32 s9, s8, s9
	s_lshr_b32 s24, s9, s31
	s_mov_b32 s9, s21
	s_wait_kmcnt 0x0
	s_mul_i32 s2, s24, s2
	s_delay_alu instid0(SALU_CYCLE_1) | instskip(NEXT) | instid1(SALU_CYCLE_1)
	s_sub_co_i32 s8, s8, s2
	s_mul_u64 s[10:11], s[8:9], s[22:23]
	s_delay_alu instid0(SALU_CYCLE_1) | instskip(NEXT) | instid1(SALU_CYCLE_1)
	s_add_co_i32 s2, s8, s11
	s_lshr_b32 s21, s2, s13
	s_delay_alu instid0(SALU_CYCLE_1) | instskip(NEXT) | instid1(SALU_CYCLE_1)
	s_lshl_b32 s2, s21, 3
	s_add_co_i32 s8, s2, s15
	s_lshr_b32 s2, ttmp7, 16
	s_cmp_lt_i32 s8, s4
	s_cselect_b32 s8, -1, 0
	s_add_co_i32 s9, s24, s2
	s_delay_alu instid0(SALU_CYCLE_1) | instskip(SKIP_1) | instid1(SALU_CYCLE_1)
	s_cmp_lt_i32 s9, s6
	s_cselect_b32 s9, -1, 0
	s_and_b32 s8, s8, s9
	s_delay_alu instid0(SALU_CYCLE_1)
	s_and_not1_b32 vcc_lo, exec_lo, s8
	s_cbranch_vccnz .LBB64_24
; %bb.8:
	s_mul_i32 s3, s3, s4
	s_mul_i32 s7, s7, s6
	s_add_co_i32 s3, s3, s15
	s_load_b128 s[8:11], s[0:1], 0x0
	s_mul_i32 s3, s3, s5
	s_mul_i32 s1, s5, s21
	s_add_co_i32 s3, s3, s2
	s_lshl_b32 s1, s1, 10
	s_add_co_i32 s0, s3, s7
	s_add_co_i32 s15, s15, s2
	;; [unrolled: 1-line block ×3, first 2 shown]
	v_cvt_f32_u32_e32 v4, s16
	s_lshl_b32 s0, s0, 7
	s_add_co_i32 s34, ttmp9, -1
	s_add_co_i32 s1, s1, s0
	s_delay_alu instid0(VALU_DEP_1)
	v_rcp_iflag_f32_e32 v4, v4
	v_or_b32_e32 v1, s1, v0
	s_add_nc_u64 s[0:1], s[16:17], 0
	v_lshl_or_b32 v0, s15, 7, v0
	s_wait_alu 0xfffe
	s_xor_b64 s[6:7], s[0:1], 0
	s_lshl_b32 s0, ttmp9, 3
	v_ashrrev_i32_e32 v2, 31, v1
	s_wait_alu 0xfffe
	s_cvt_f32_u32 s1, s6
	s_cvt_f32_u32 s2, s7
	s_add_co_i32 s0, s0, s15
	s_sub_nc_u64 s[30:31], 0, s[6:7]
	v_lshlrev_b64_e32 v[1:2], 2, v[1:2]
	s_wait_alu 0xfffe
	s_fmamk_f32 s2, s2, 0x4f800000, s1
	s_ashr_i32 s1, s0, 31
	s_wait_alu 0xfffe
	s_lshl_b64 s[0:1], s[0:1], 3
	v_s_rcp_f32 s2, s2
	s_wait_kmcnt 0x0
	v_add_co_u32 v1, vcc_lo, s8, v1
	s_delay_alu instid0(VALU_DEP_1)
	v_add_co_ci_u32_e64 v2, null, s9, v2, vcc_lo
	s_wait_alu 0xfffe
	s_add_nc_u64 s[0:1], s[10:11], s[0:1]
	s_mov_b32 s8, 0
	s_load_b64 s[26:27], s[0:1], 0x0
	global_load_b32 v3, v[1:2], off
	s_mul_f32 s2, s2, 0x5f7ffffc
	v_mul_f32_e32 v4, 0x4f7ffffe, v4
	s_lshl_b32 s0, s16, 5
	s_wait_alu 0xfffe
	s_mul_f32 s1, s2, 0x2f800000
	s_wait_alu 0xfffe
	s_delay_alu instid0(SALU_CYCLE_2)
	s_trunc_f32 s3, s1
	s_mov_b32 s1, s8
	s_wait_alu 0xfffe
	s_lshl_b64 s[0:1], s[0:1], 2
	s_fmamk_f32 s2, s3, 0xcf800000, s2
	s_cvt_u32_f32 s29, s3
	s_wait_alu 0xfffe
	s_add_nc_u64 s[24:25], s[10:11], s[0:1]
	s_cvt_u32_f32 s28, s2
	s_wait_kmcnt 0x0
	v_mov_b32_e32 v5, s27
	v_cvt_u32_f32_e32 v4, v4
.LBB64_9:                               ; =>This Inner Loop Header: Depth=1
	s_wait_alu 0xfffe
	s_ashr_i32 s35, s34, 31
	s_mov_b32 s2, -1
	s_wait_alu 0xfffe
	s_mul_u64 s[0:1], s[34:35], s[18:19]
                                        ; implicit-def: $sgpr38_sgpr39
	s_wait_alu 0xfffe
	s_mov_b32 s9, s1
	s_wait_alu 0xfffe
	s_cmp_lg_u64 s[8:9], 0
	s_cbranch_scc0 .LBB64_11
; %bb.10:                               ;   in Loop: Header=BB64_9 Depth=1
	s_mul_u64 s[2:3], s[30:31], s[28:29]
	s_mov_b32 s37, s8
	s_wait_alu 0xfffe
	s_mul_hi_u32 s5, s28, s3
	s_mul_i32 s4, s28, s3
	s_mul_hi_u32 s36, s28, s2
	s_mul_hi_u32 s9, s29, s2
	s_wait_alu 0xfffe
	s_add_nc_u64 s[4:5], s[36:37], s[4:5]
	s_mul_i32 s2, s29, s2
	s_mul_hi_u32 s17, s29, s3
	s_wait_alu 0xfffe
	s_add_co_u32 s2, s4, s2
	s_add_co_ci_u32 s2, s5, s9
	s_add_co_ci_u32 s5, s17, 0
	s_mul_i32 s4, s29, s3
	s_mov_b32 s3, s8
	s_mov_b32 s39, s8
	s_wait_alu 0xfffe
	s_add_nc_u64 s[2:3], s[2:3], s[4:5]
	s_wait_alu 0xfffe
	s_add_co_u32 s2, s28, s2
	s_cselect_b32 s4, -1, 0
	s_wait_alu 0xfffe
	s_cmp_lg_u32 s4, 0
	s_add_co_ci_u32 s3, s29, s3
	s_wait_alu 0xfffe
	s_mul_u64 s[4:5], s[30:31], s[2:3]
	s_wait_alu 0xfffe
	s_mul_hi_u32 s37, s2, s5
	s_mul_i32 s36, s2, s5
	s_mul_hi_u32 s38, s2, s4
	s_mul_hi_u32 s9, s3, s4
	s_mul_i32 s4, s3, s4
	s_wait_alu 0xfffe
	s_add_nc_u64 s[36:37], s[38:39], s[36:37]
	s_mul_hi_u32 s17, s3, s5
	s_wait_alu 0xfffe
	s_add_co_u32 s4, s36, s4
	s_add_co_ci_u32 s4, s37, s9
	s_add_co_ci_u32 s37, s17, 0
	s_mul_i32 s36, s3, s5
	s_mov_b32 s5, s8
	s_wait_alu 0xfffe
	s_add_nc_u64 s[4:5], s[4:5], s[36:37]
	s_mov_b32 s37, s8
	s_wait_alu 0xfffe
	s_add_co_u32 s9, s2, s4
	s_cselect_b32 s2, -1, 0
	s_wait_alu 0xfffe
	s_cmp_lg_u32 s2, 0
	s_add_co_ci_u32 s17, s3, s5
	s_ashr_i32 s2, s1, 31
	s_wait_alu 0xfffe
	s_mov_b32 s3, s2
	s_wait_alu 0xfffe
	s_add_nc_u64 s[4:5], s[0:1], s[2:3]
	s_wait_alu 0xfffe
	s_xor_b64 s[4:5], s[4:5], s[2:3]
	s_wait_alu 0xfffe
	s_mul_hi_u32 s39, s4, s17
	s_mul_i32 s38, s4, s17
	s_mul_hi_u32 s36, s4, s9
	s_mul_i32 s21, s5, s9
	s_wait_alu 0xfffe
	s_add_nc_u64 s[36:37], s[36:37], s[38:39]
	s_mul_hi_u32 s9, s5, s9
	s_mul_hi_u32 s1, s5, s17
	s_wait_alu 0xfffe
	s_add_co_u32 s21, s36, s21
	s_add_co_ci_u32 s36, s37, s9
	s_add_co_ci_u32 s39, s1, 0
	s_mul_i32 s38, s5, s17
	s_mov_b32 s37, s8
	s_wait_alu 0xfffe
	s_add_nc_u64 s[36:37], s[36:37], s[38:39]
	s_wait_alu 0xfffe
	s_mul_u64 s[38:39], s[6:7], s[36:37]
	s_add_nc_u64 s[40:41], s[36:37], 1
	s_sub_co_u32 s1, s4, s38
	s_cselect_b32 s4, -1, 0
	s_sub_co_i32 s9, s5, s39
	s_wait_alu 0xfffe
	s_cmp_lg_u32 s4, 0
	s_add_nc_u64 s[42:43], s[36:37], 2
	s_sub_co_ci_u32 s9, s9, s7
	s_sub_co_u32 s17, s1, s6
	s_cselect_b32 s21, -1, 0
	s_delay_alu instid0(SALU_CYCLE_1)
	s_cmp_lg_u32 s21, 0
	s_wait_alu 0xfffe
	s_sub_co_ci_u32 s9, s9, 0
	s_wait_alu 0xfffe
	s_cmp_ge_u32 s9, s7
	s_cselect_b32 s21, -1, 0
	s_cmp_ge_u32 s17, s6
	s_cselect_b32 s17, -1, 0
	s_cmp_eq_u32 s9, s7
	s_wait_alu 0xfffe
	s_cselect_b32 s9, s17, s21
	s_wait_alu 0xfffe
	s_cmp_lg_u32 s9, 0
	s_cselect_b32 s9, s42, s40
	s_cselect_b32 s17, s43, s41
	s_cmp_lg_u32 s4, 0
	s_sub_co_ci_u32 s4, s5, s39
	s_wait_alu 0xfffe
	s_cmp_ge_u32 s4, s7
	s_cselect_b32 s5, -1, 0
	s_cmp_ge_u32 s1, s6
	s_cselect_b32 s1, -1, 0
	s_cmp_eq_u32 s4, s7
	s_wait_alu 0xfffe
	s_cselect_b32 s1, s1, s5
	s_wait_alu 0xfffe
	s_cmp_lg_u32 s1, 0
	s_cselect_b32 s5, s17, s37
	s_cselect_b32 s4, s9, s36
	s_xor_b64 s[2:3], s[2:3], 0
	s_wait_alu 0xfffe
	s_xor_b64 s[4:5], s[4:5], s[2:3]
	s_wait_alu 0xfffe
	s_sub_nc_u64 s[38:39], s[4:5], s[2:3]
	s_mov_b32 s2, 0
.LBB64_11:                              ;   in Loop: Header=BB64_9 Depth=1
	s_wait_alu 0xfffe
	s_and_not1_b32 vcc_lo, exec_lo, s2
	s_wait_alu 0xfffe
	s_cbranch_vccnz .LBB64_13
; %bb.12:                               ;   in Loop: Header=BB64_9 Depth=1
	v_readfirstlane_b32 s1, v4
	s_sub_co_i32 s2, 0, s16
	s_wait_alu 0xfffe
	s_mul_i32 s2, s2, s1
	s_wait_alu 0xfffe
	s_mul_hi_u32 s2, s1, s2
	s_wait_alu 0xfffe
	s_add_co_i32 s1, s1, s2
	s_wait_alu 0xfffe
	s_mul_hi_u32 s1, s0, s1
	s_wait_alu 0xfffe
	s_mul_i32 s2, s1, s16
	s_wait_alu 0xfffe
	s_sub_co_i32 s0, s0, s2
	s_add_co_i32 s2, s1, 1
	s_wait_alu 0xfffe
	s_sub_co_i32 s3, s0, s16
	s_cmp_ge_u32 s0, s16
	s_cselect_b32 s1, s2, s1
	s_wait_alu 0xfffe
	s_cselect_b32 s0, s3, s0
	s_add_co_i32 s2, s1, 1
	s_wait_alu 0xfffe
	s_cmp_ge_u32 s0, s16
	s_cselect_b32 s38, s2, s1
.LBB64_13:                              ;   in Loop: Header=BB64_9 Depth=1
	v_readfirstlane_b32 s9, v0
	s_cmp_lg_u32 s20, s38
	s_mov_b32 s0, -1
                                        ; implicit-def: $sgpr21
                                        ; implicit-def: $vgpr6
                                        ; implicit-def: $vgpr7
                                        ; implicit-def: $sgpr17
                                        ; implicit-def: $sgpr27
	s_cbranch_scc1 .LBB64_16
; %bb.14:                               ;   in Loop: Header=BB64_9 Depth=1
	s_wait_alu 0xfffe
	s_and_not1_b32 vcc_lo, exec_lo, s0
	s_wait_alu 0xfffe
	s_cbranch_vccz .LBB64_19
.LBB64_15:                              ;   in Loop: Header=BB64_9 Depth=1
	s_and_not1_b32 vcc_lo, exec_lo, s21
	s_wait_alu 0xfffe
	s_cbranch_vccnz .LBB64_20
	s_branch .LBB64_23
.LBB64_16:                              ;   in Loop: Header=BB64_9 Depth=1
	s_add_co_i32 s0, s34, s16
	s_mov_b32 s1, s8
	s_wait_alu 0xfffe
	s_lshl_b32 s0, s0, 3
	v_max_num_f32_e64 v6, s26, s26
	s_wait_alu 0xfffe
	s_add_co_i32 s0, s0, s15
	s_mov_b32 s39, s8
	s_wait_alu 0xfffe
	s_lshl_b64 s[0:1], s[0:1], 3
	s_mul_u64 s[40:41], s[38:39], s[22:23]
	s_wait_alu 0xfffe
	s_add_nc_u64 s[0:1], s[10:11], s[0:1]
	s_mov_b32 s27, s20
	s_load_b64 s[36:37], s[0:1], 0x0
	v_readfirstlane_b32 s0, v6
	s_wait_kmcnt 0x0
	v_max_num_f32_e64 v7, s36, s36
	s_delay_alu instid0(VALU_DEP_1) | instskip(SKIP_2) | instid1(SALU_CYCLE_2)
	v_readfirstlane_b32 s1, v7
	s_max_num_f32 s9, s0, s1
	s_wait_alu 0xfffe
	s_sub_f32 s33, s26, s9
	s_sub_f32 s35, s36, s9
	s_wait_alu 0xfffe
	s_delay_alu instid0(SALU_CYCLE_1)
	s_cmp_nlt_f32 s33, 0xc2ce8ed0
	s_cselect_b32 s0, -1, 0
	s_cmp_ngt_f32 s33, 0x42b17218
	s_cselect_b32 s1, -1, 0
	s_cmp_ge_f32 s33, 0xc1a00000
	s_cselect_b32 s2, -1, 0
	s_cmp_nlt_f32 s35, 0xc2ce8ed0
	s_cselect_b32 s3, -1, 0
	s_cmp_ngt_f32 s35, 0x42b17218
	s_cselect_b32 s4, -1, 0
	s_cmp_ge_f32 s35, 0xc1a00000
	s_cselect_b32 s5, -1, 0
	s_add_co_i32 s17, s41, s38
	s_wait_alu 0xfffe
	s_lshr_b32 s17, s17, s13
	s_wait_alu 0xfffe
	s_mul_i32 s21, s17, s14
	s_delay_alu instid0(SALU_CYCLE_1)
	s_cmp_eq_u32 s21, s38
	s_cselect_b32 s21, -1, 0
	s_cmp_lt_u32 s17, s12
	s_cselect_b32 s17, -1, 0
	s_wait_alu 0xfffe
	s_or_b32 s17, s17, s21
	s_mov_b32 s21, -1
	s_wait_alu 0xfffe
	s_and_b32 vcc_lo, exec_lo, s17
	s_mov_b32 s17, s34
	s_wait_alu 0xfffe
	s_cbranch_vccnz .LBB64_18
; %bb.17:                               ;   in Loop: Header=BB64_9 Depth=1
	s_add_co_i32 s17, s34, -1
	s_mov_b32 s21, 0
	s_mov_b32 s27, s38
.LBB64_18:                              ;   in Loop: Header=BB64_9 Depth=1
	v_lshl_add_u32 v6, s34, 10, v0
	s_mul_f32 s36, s35, 0x3fb8aa3b
	s_mul_f32 s38, s33, 0x3fb8aa3b
	s_wait_alu 0xfffe
	s_delay_alu instid0(SALU_CYCLE_1)
	s_xor_b32 s39, s36, 0x80000000
	v_ashrrev_i32_e32 v7, 31, v6
	s_rndne_f32 s40, s36
	s_fmamk_f32 s39, s35, 0x3fb8aa3b, s39
	s_xor_b32 s41, s38, 0x80000000
	s_rndne_f32 s42, s38
	v_lshlrev_b64_e32 v[6:7], 2, v[6:7]
	s_sub_f32 s36, s36, s40
	s_fmamk_f32 s35, s35, 0x32a5705f, s39
	s_fmamk_f32 s39, s33, 0x3fb8aa3b, s41
	s_sub_f32 s38, s38, s42
	s_delay_alu instid0(VALU_DEP_1)
	v_add_co_u32 v6, vcc_lo, s24, v6
	s_wait_alu 0xfffd
	v_add_co_ci_u32_e64 v7, null, s25, v7, vcc_lo
	s_wait_alu 0xfffe
	s_add_f32 s35, s36, s35
	s_fmamk_f32 s33, s33, 0x32a5705f, s39
	s_cvt_i32_f32 s36, s40
	global_load_b32 v6, v[6:7], off
	s_wait_alu 0xfffe
	v_s_exp_f32 s35, s35
	s_add_f32 s33, s38, s33
	s_wait_alu 0xfffe
	s_delay_alu instid0(SALU_CYCLE_2) | instskip(NEXT) | instid1(TRANS32_DEP_2)
	v_s_exp_f32 s33, s33
	v_ldexp_f32 v7, s35, s36
	s_cvt_i32_f32 s35, s42
	s_wait_alu 0xf1fe
	s_delay_alu instid0(TRANS32_DEP_1) | instid1(SALU_CYCLE_2)
	v_ldexp_f32 v8, s33, s35
	s_delay_alu instid0(VALU_DEP_2) | instskip(NEXT) | instid1(VALU_DEP_2)
	v_cndmask_b32_e64 v7, 0, v7, s3
	v_cndmask_b32_e64 v8, 0, v8, s0
	s_delay_alu instid0(VALU_DEP_2) | instskip(NEXT) | instid1(VALU_DEP_2)
	v_cndmask_b32_e64 v7, 0x7f800000, v7, s4
	v_cndmask_b32_e64 v8, 0x7f800000, v8, s1
	;; [unrolled: 3-line block ×3, first 2 shown]
	s_wait_loadcnt 0x0
	s_delay_alu instid0(VALU_DEP_2) | instskip(SKIP_1) | instid1(VALU_DEP_1)
	v_mul_f32_e32 v6, v6, v7
	v_mul_f32_e32 v7, s37, v7
	v_fmac_f32_e32 v7, v5, v8
	s_delay_alu instid0(VALU_DEP_3)
	v_fmac_f32_e32 v6, v3, v8
	s_cbranch_execnz .LBB64_15
.LBB64_19:                              ;   in Loop: Header=BB64_9 Depth=1
	s_wait_loadcnt 0x0
	v_dual_mov_b32 v7, v5 :: v_dual_mov_b32 v6, v3
	s_add_co_i32 s17, s34, -1
	s_mov_b32 s27, s20
	s_mov_b32 s9, s26
	s_cbranch_execz .LBB64_23
.LBB64_20:                              ;   in Loop: Header=BB64_9 Depth=1
	v_mov_b32_e32 v5, v7
	s_wait_loadcnt 0x0
	v_mov_b32_e32 v3, v6
	s_wait_alu 0xfffe
	s_mov_b32 s20, s27
	s_mov_b32 s34, s17
	;; [unrolled: 1-line block ×3, first 2 shown]
	s_branch .LBB64_9
.LBB64_21:
                                        ; implicit-def: $sgpr20_sgpr21
	s_branch .LBB64_2
.LBB64_22:
                                        ; implicit-def: $sgpr10_sgpr11
	s_load_b96 s[12:14], s[0:1], 0x44
	s_branch .LBB64_5
.LBB64_23:
	v_div_scale_f32 v0, null, v7, v7, v6
	s_wait_loadcnt 0x0
	s_delay_alu instid0(VALU_DEP_1) | instskip(NEXT) | instid1(TRANS32_DEP_1)
	v_rcp_f32_e32 v3, v0
	v_fma_f32 v4, -v0, v3, 1.0
	s_delay_alu instid0(VALU_DEP_1) | instskip(SKIP_1) | instid1(VALU_DEP_1)
	v_fmac_f32_e32 v3, v4, v3
	v_div_scale_f32 v4, vcc_lo, v6, v7, v6
	v_mul_f32_e32 v5, v4, v3
	s_delay_alu instid0(VALU_DEP_1) | instskip(NEXT) | instid1(VALU_DEP_1)
	v_fma_f32 v8, -v0, v5, v4
	v_fmac_f32_e32 v5, v8, v3
	s_delay_alu instid0(VALU_DEP_1) | instskip(SKIP_1) | instid1(VALU_DEP_1)
	v_fma_f32 v0, -v0, v5, v4
	s_wait_alu 0xfffd
	v_div_fmas_f32 v0, v0, v3, v5
	s_delay_alu instid0(VALU_DEP_1)
	v_div_fixup_f32 v0, v0, v7, v6
	global_store_b32 v[1:2], v0, off
.LBB64_24:
	s_endpgm
	.section	.rodata,"a",@progbits
	.p2align	6, 0x0
	.amdhsa_kernel _ZL33flash_attn_stream_k_fixup_generalILi128ELi8ELi1EEvPfPK15HIP_vector_typeIfLj2EEiiiiS1_IjLj3EES5_S5_S5_
		.amdhsa_group_segment_fixed_size 0
		.amdhsa_private_segment_fixed_size 0
		.amdhsa_kernarg_size 336
		.amdhsa_user_sgpr_count 2
		.amdhsa_user_sgpr_dispatch_ptr 0
		.amdhsa_user_sgpr_queue_ptr 0
		.amdhsa_user_sgpr_kernarg_segment_ptr 1
		.amdhsa_user_sgpr_dispatch_id 0
		.amdhsa_user_sgpr_private_segment_size 0
		.amdhsa_wavefront_size32 1
		.amdhsa_uses_dynamic_stack 0
		.amdhsa_enable_private_segment 0
		.amdhsa_system_sgpr_workgroup_id_x 1
		.amdhsa_system_sgpr_workgroup_id_y 1
		.amdhsa_system_sgpr_workgroup_id_z 1
		.amdhsa_system_sgpr_workgroup_info 0
		.amdhsa_system_vgpr_workitem_id 0
		.amdhsa_next_free_vgpr 9
		.amdhsa_next_free_sgpr 44
		.amdhsa_reserve_vcc 1
		.amdhsa_float_round_mode_32 0
		.amdhsa_float_round_mode_16_64 0
		.amdhsa_float_denorm_mode_32 3
		.amdhsa_float_denorm_mode_16_64 3
		.amdhsa_fp16_overflow 0
		.amdhsa_workgroup_processor_mode 1
		.amdhsa_memory_ordered 1
		.amdhsa_forward_progress 1
		.amdhsa_inst_pref_size 28
		.amdhsa_round_robin_scheduling 0
		.amdhsa_exception_fp_ieee_invalid_op 0
		.amdhsa_exception_fp_denorm_src 0
		.amdhsa_exception_fp_ieee_div_zero 0
		.amdhsa_exception_fp_ieee_overflow 0
		.amdhsa_exception_fp_ieee_underflow 0
		.amdhsa_exception_fp_ieee_inexact 0
		.amdhsa_exception_int_div_zero 0
	.end_amdhsa_kernel
	.section	.text._ZL33flash_attn_stream_k_fixup_generalILi128ELi8ELi1EEvPfPK15HIP_vector_typeIfLj2EEiiiiS1_IjLj3EES5_S5_S5_,"axG",@progbits,_ZL33flash_attn_stream_k_fixup_generalILi128ELi8ELi1EEvPfPK15HIP_vector_typeIfLj2EEiiiiS1_IjLj3EES5_S5_S5_,comdat
.Lfunc_end64:
	.size	_ZL33flash_attn_stream_k_fixup_generalILi128ELi8ELi1EEvPfPK15HIP_vector_typeIfLj2EEiiiiS1_IjLj3EES5_S5_S5_, .Lfunc_end64-_ZL33flash_attn_stream_k_fixup_generalILi128ELi8ELi1EEvPfPK15HIP_vector_typeIfLj2EEiiiiS1_IjLj3EES5_S5_S5_
                                        ; -- End function
	.set _ZL33flash_attn_stream_k_fixup_generalILi128ELi8ELi1EEvPfPK15HIP_vector_typeIfLj2EEiiiiS1_IjLj3EES5_S5_S5_.num_vgpr, 9
	.set _ZL33flash_attn_stream_k_fixup_generalILi128ELi8ELi1EEvPfPK15HIP_vector_typeIfLj2EEiiiiS1_IjLj3EES5_S5_S5_.num_agpr, 0
	.set _ZL33flash_attn_stream_k_fixup_generalILi128ELi8ELi1EEvPfPK15HIP_vector_typeIfLj2EEiiiiS1_IjLj3EES5_S5_S5_.numbered_sgpr, 44
	.set _ZL33flash_attn_stream_k_fixup_generalILi128ELi8ELi1EEvPfPK15HIP_vector_typeIfLj2EEiiiiS1_IjLj3EES5_S5_S5_.num_named_barrier, 0
	.set _ZL33flash_attn_stream_k_fixup_generalILi128ELi8ELi1EEvPfPK15HIP_vector_typeIfLj2EEiiiiS1_IjLj3EES5_S5_S5_.private_seg_size, 0
	.set _ZL33flash_attn_stream_k_fixup_generalILi128ELi8ELi1EEvPfPK15HIP_vector_typeIfLj2EEiiiiS1_IjLj3EES5_S5_S5_.uses_vcc, 1
	.set _ZL33flash_attn_stream_k_fixup_generalILi128ELi8ELi1EEvPfPK15HIP_vector_typeIfLj2EEiiiiS1_IjLj3EES5_S5_S5_.uses_flat_scratch, 0
	.set _ZL33flash_attn_stream_k_fixup_generalILi128ELi8ELi1EEvPfPK15HIP_vector_typeIfLj2EEiiiiS1_IjLj3EES5_S5_S5_.has_dyn_sized_stack, 0
	.set _ZL33flash_attn_stream_k_fixup_generalILi128ELi8ELi1EEvPfPK15HIP_vector_typeIfLj2EEiiiiS1_IjLj3EES5_S5_S5_.has_recursion, 0
	.set _ZL33flash_attn_stream_k_fixup_generalILi128ELi8ELi1EEvPfPK15HIP_vector_typeIfLj2EEiiiiS1_IjLj3EES5_S5_S5_.has_indirect_call, 0
	.section	.AMDGPU.csdata,"",@progbits
; Kernel info:
; codeLenInByte = 3556
; TotalNumSgprs: 46
; NumVgprs: 9
; ScratchSize: 0
; MemoryBound: 0
; FloatMode: 240
; IeeeMode: 1
; LDSByteSize: 0 bytes/workgroup (compile time only)
; SGPRBlocks: 0
; VGPRBlocks: 1
; NumSGPRsForWavesPerEU: 46
; NumVGPRsForWavesPerEU: 9
; Occupancy: 16
; WaveLimiterHint : 0
; COMPUTE_PGM_RSRC2:SCRATCH_EN: 0
; COMPUTE_PGM_RSRC2:USER_SGPR: 2
; COMPUTE_PGM_RSRC2:TRAP_HANDLER: 0
; COMPUTE_PGM_RSRC2:TGID_X_EN: 1
; COMPUTE_PGM_RSRC2:TGID_Y_EN: 1
; COMPUTE_PGM_RSRC2:TGID_Z_EN: 1
; COMPUTE_PGM_RSRC2:TIDIG_COMP_CNT: 0
	.section	.text._ZL15flash_attn_tileILi128ELi128ELi4ELi1ELb0EEvPKcS1_S1_S1_S1_PKiPfP15HIP_vector_typeIfLj2EEffffjfiS5_IjLj3EEiiiiiiiiiiiliiliiiiil,"axG",@progbits,_ZL15flash_attn_tileILi128ELi128ELi4ELi1ELb0EEvPKcS1_S1_S1_S1_PKiPfP15HIP_vector_typeIfLj2EEffffjfiS5_IjLj3EEiiiiiiiiiiiliiliiiiil,comdat
	.globl	_ZL15flash_attn_tileILi128ELi128ELi4ELi1ELb0EEvPKcS1_S1_S1_S1_PKiPfP15HIP_vector_typeIfLj2EEffffjfiS5_IjLj3EEiiiiiiiiiiiliiliiiiil ; -- Begin function _ZL15flash_attn_tileILi128ELi128ELi4ELi1ELb0EEvPKcS1_S1_S1_S1_PKiPfP15HIP_vector_typeIfLj2EEffffjfiS5_IjLj3EEiiiiiiiiiiiliiliiiiil
	.p2align	8
	.type	_ZL15flash_attn_tileILi128ELi128ELi4ELi1ELb0EEvPKcS1_S1_S1_S1_PKiPfP15HIP_vector_typeIfLj2EEffffjfiS5_IjLj3EEiiiiiiiiiiiliiliiiiil,@function
_ZL15flash_attn_tileILi128ELi128ELi4ELi1ELb0EEvPKcS1_S1_S1_S1_PKiPfP15HIP_vector_typeIfLj2EEffffjfiS5_IjLj3EEiiiiiiiiiiiliiliiiiil: ; @_ZL15flash_attn_tileILi128ELi128ELi4ELi1ELb0EEvPKcS1_S1_S1_S1_PKiPfP15HIP_vector_typeIfLj2EEffffjfiS5_IjLj3EEiiiiiiiiiiiliiliiiiil
; %bb.0:
	s_clause 0x1
	s_load_b128 s[20:23], s[0:1], 0x5c
	s_load_b64 s[2:3], s[0:1], 0x80
	s_lshr_b32 s6, ttmp7, 16
	s_load_b64 s[38:39], s[0:1], 0xb8
	s_mov_b32 s37, 0
	s_mov_b64 s[34:35], 0
	s_wait_kmcnt 0x0
	s_cvt_f32_u32 s4, s23
	s_sub_co_i32 s5, 0, s23
	s_delay_alu instid0(SALU_CYCLE_2) | instskip(NEXT) | instid1(TRANS32_DEP_1)
	v_rcp_iflag_f32_e32 v1, s4
	v_readfirstlane_b32 s4, v1
	s_mul_f32 s4, s4, 0x4f7ffffe
	s_wait_alu 0xfffe
	s_delay_alu instid0(SALU_CYCLE_2) | instskip(SKIP_1) | instid1(SALU_CYCLE_2)
	s_cvt_u32_f32 s4, s4
	s_wait_alu 0xfffe
	s_mul_i32 s5, s5, s4
	s_wait_alu 0xfffe
	s_mul_hi_u32 s5, s4, s5
	s_wait_alu 0xfffe
	s_add_co_i32 s4, s4, s5
	s_wait_alu 0xfffe
	s_mul_hi_u32 s4, s6, s4
	s_wait_alu 0xfffe
	s_mul_i32 s5, s4, s23
	s_add_co_i32 s7, s4, 1
	s_wait_alu 0xfffe
	s_sub_co_i32 s5, s6, s5
	s_wait_alu 0xfffe
	s_sub_co_i32 s8, s5, s23
	s_cmp_ge_u32 s5, s23
	s_cselect_b32 s4, s7, s4
	s_cselect_b32 s5, s8, s5
	s_wait_alu 0xfffe
	s_add_co_i32 s7, s4, 1
	s_cmp_ge_u32 s5, s23
	s_cselect_b32 s28, s7, s4
	s_abs_i32 s4, s3
	s_abs_i32 s9, s23
	s_wait_alu 0xfffe
	s_cvt_f32_u32 s5, s4
	s_sub_co_i32 s7, 0, s4
	s_mul_i32 s8, s28, s23
	s_xor_b32 s3, s23, s3
	s_wait_alu 0xfffe
	v_rcp_iflag_f32_e32 v1, s5
	s_sub_co_i32 s30, s6, s8
	s_ashr_i32 s3, s3, 31
	s_delay_alu instid0(TRANS32_DEP_1) | instskip(SKIP_2) | instid1(SALU_CYCLE_2)
	v_readfirstlane_b32 s5, v1
	s_mul_f32 s5, s5, 0x4f7ffffe
	s_wait_alu 0xfffe
	s_cvt_u32_f32 s5, s5
	s_wait_alu 0xfffe
	s_delay_alu instid0(SALU_CYCLE_2) | instskip(NEXT) | instid1(SALU_CYCLE_1)
	s_mul_i32 s7, s7, s5
	s_mul_hi_u32 s7, s5, s7
	s_delay_alu instid0(SALU_CYCLE_1)
	s_add_co_i32 s5, s5, s7
	s_wait_alu 0xfffe
	s_mul_hi_u32 s5, s9, s5
	s_wait_alu 0xfffe
	s_mul_i32 s6, s5, s4
	s_add_co_i32 s7, s5, 1
	s_sub_co_i32 s6, s9, s6
	s_delay_alu instid0(SALU_CYCLE_1)
	s_sub_co_i32 s8, s6, s4
	s_cmp_ge_u32 s6, s4
	s_cselect_b32 s5, s7, s5
	s_cselect_b32 s6, s8, s6
	s_wait_alu 0xfffe
	s_add_co_i32 s7, s5, 1
	s_cmp_ge_u32 s6, s4
	s_cselect_b32 s4, s7, s5
	s_abs_i32 s36, s30
	s_wait_alu 0xfffe
	s_xor_b32 s4, s4, s3
	s_wait_alu 0xfffe
	s_sub_co_i32 s29, s4, s3
	s_delay_alu instid0(SALU_CYCLE_1) | instskip(NEXT) | instid1(SALU_CYCLE_1)
	s_abs_i32 s3, s29
	s_cvt_f32_u32 s4, s3
	s_sub_co_i32 s25, 0, s3
	s_wait_alu 0xfffe
	s_delay_alu instid0(SALU_CYCLE_1) | instskip(SKIP_1) | instid1(TRANS32_DEP_1)
	v_rcp_iflag_f32_e32 v1, s4
	s_load_b512 s[4:19], s[0:1], 0x0
	v_readfirstlane_b32 s24, v1
	s_mul_f32 s24, s24, 0x4f7ffffe
	s_delay_alu instid0(SALU_CYCLE_3) | instskip(NEXT) | instid1(SALU_CYCLE_3)
	s_cvt_u32_f32 s24, s24
	s_mul_i32 s25, s25, s24
	s_delay_alu instid0(SALU_CYCLE_1) | instskip(NEXT) | instid1(SALU_CYCLE_1)
	s_mul_hi_u32 s25, s24, s25
	s_add_co_i32 s40, s24, s25
	s_wait_kmcnt 0x0
	s_cmp_eq_u64 s[10:11], 0
	s_cbranch_scc1 .LBB65_2
; %bb.1:
	s_abs_i32 s26, s38
	s_delay_alu instid0(SALU_CYCLE_1) | instskip(NEXT) | instid1(SALU_CYCLE_3)
	s_cvt_f32_u32 s24, s26
	v_rcp_iflag_f32_e32 v1, s24
	s_delay_alu instid0(TRANS32_DEP_1) | instskip(SKIP_2) | instid1(SALU_CYCLE_2)
	v_readfirstlane_b32 s24, v1
	s_mul_f32 s24, s24, 0x4f7ffffe
	s_wait_alu 0xfffe
	s_cvt_u32_f32 s27, s24
	s_sub_co_i32 s24, 0, s26
	s_wait_alu 0xfffe
	s_delay_alu instid0(SALU_CYCLE_1) | instskip(SKIP_4) | instid1(SALU_CYCLE_1)
	s_mul_i32 s24, s24, s27
	s_wait_alu 0xfffe
	s_mul_hi_u32 s31, s27, s24
	s_load_b64 s[24:25], s[0:1], 0xc8
	s_add_co_i32 s27, s27, s31
	s_mul_hi_u32 s27, s28, s27
	s_delay_alu instid0(SALU_CYCLE_1) | instskip(NEXT) | instid1(SALU_CYCLE_1)
	s_mul_i32 s27, s27, s26
	s_sub_co_i32 s27, s28, s27
	s_delay_alu instid0(SALU_CYCLE_1) | instskip(SKIP_2) | instid1(SALU_CYCLE_1)
	s_sub_co_i32 s31, s27, s26
	s_cmp_ge_u32 s27, s26
	s_cselect_b32 s27, s31, s27
	s_sub_co_i32 s31, s27, s26
	s_cmp_ge_u32 s27, s26
	s_cselect_b32 s26, s31, s27
	s_delay_alu instid0(SALU_CYCLE_1)
	s_ashr_i32 s27, s26, 31
	s_wait_kmcnt 0x0
	s_mul_u64 s[24:25], s[24:25], s[26:27]
	s_wait_alu 0xfffe
	s_add_nc_u64 s[34:35], s[10:11], s[24:25]
.LBB65_2:
	s_clause 0x1
	s_load_b128 s[24:27], s[0:1], 0x40
	s_load_b32 s10, s[0:1], 0x50
	v_mov_b32_e32 v42, 1.0
	s_mov_b32 s41, s37
	s_wait_kmcnt 0x0
	s_cmp_le_f32 s25, 0
	s_cbranch_scc1 .LBB65_4
; %bb.3:
	v_sub_co_u32 v1, s10, s30, s10
	s_and_b32 s25, s10, exec_lo
	s_cselect_b32 s25, s26, s27
	s_add_co_i32 s26, s30, 1
	v_readfirstlane_b32 s11, v1
	s_lshl_b32 s11, s11, 1
	s_wait_alu 0xfffe
	s_or_b32 s11, s11, 1
	s_and_b32 s10, s10, exec_lo
	s_wait_alu 0xfffe
	s_cselect_b32 s10, s26, s11
	s_cmp_neq_f32 s25, 1.0
	s_wait_alu 0xfffe
	s_cvt_f32_i32 s10, s10
	s_wait_alu 0xfffe
	s_delay_alu instid0(SALU_CYCLE_2)
	s_cselect_b32 s11, s10, 1.0
	s_wait_alu 0xfffe
	s_cmp_neq_f32 s11, 0
	s_cselect_b32 s10, s25, 1.0
	s_wait_alu 0xfffe
	v_frexp_mant_f32_e64 v1, |s10|
	s_delay_alu instid0(VALU_DEP_1) | instskip(SKIP_3) | instid1(SALU_CYCLE_1)
	v_readfirstlane_b32 s25, v1
	v_cvt_f64_f32_e64 v[1:2], |s10|
	s_cmp_lt_f32 s25, 0x3f2aaaab
	s_cselect_b32 s26, -1, 0
	s_and_b32 s27, s26, exec_lo
	s_cselect_b32 s27, 2.0, 1.0
	s_delay_alu instid0(SALU_CYCLE_1) | instskip(SKIP_1) | instid1(SALU_CYCLE_2)
	s_mul_f32 s25, s25, s27
	s_wait_alu 0xfffe
	s_add_f32 s27, s25, 1.0
	s_add_f32 s33, s25, -1.0
	s_delay_alu instid0(SALU_CYCLE_2) | instskip(SKIP_1) | instid1(SALU_CYCLE_3)
	v_s_rcp_f32 s31, s27
	s_add_f32 s43, s27, -1.0
	s_sub_f32 s25, s25, s43
	s_delay_alu instid0(TRANS32_DEP_1) | instskip(NEXT) | instid1(SALU_CYCLE_3)
	s_mul_f32 s38, s33, s31
	s_mul_f32 s42, s27, s38
	s_delay_alu instid0(SALU_CYCLE_3) | instskip(NEXT) | instid1(VALU_DEP_1)
	s_xor_b32 s44, s42, 0x80000000
	v_frexp_exp_i32_f64_e32 v1, v[1:2]
	s_fmac_f32 s44, s38, s27
	s_wait_alu 0xfffe
	s_delay_alu instid0(SALU_CYCLE_2) | instskip(NEXT) | instid1(SALU_CYCLE_3)
	s_fmac_f32 s44, s38, s25
	s_add_f32 s25, s42, s44
	s_wait_alu 0xfffe
	s_delay_alu instid0(SALU_CYCLE_2) | instskip(SKIP_2) | instid1(SALU_CYCLE_1)
	s_sub_f32 s27, s33, s25
	s_sub_f32 s42, s25, s42
	s_wait_alu 0xfffe
	s_sub_f32 s33, s33, s27
	s_delay_alu instid0(SALU_CYCLE_1) | instskip(NEXT) | instid1(SALU_CYCLE_2)
	s_sub_f32 s42, s42, s44
	s_sub_f32 s25, s33, s25
	s_wait_alu 0xfffe
	s_delay_alu instid0(SALU_CYCLE_2) | instskip(SKIP_2) | instid1(SALU_CYCLE_1)
	s_add_f32 s25, s42, s25
	s_mov_b32 s42, 0x3e76c4e1
	s_wait_alu 0xfffe
	s_add_f32 s25, s27, s25
	s_wait_alu 0xfffe
	s_delay_alu instid0(SALU_CYCLE_2) | instskip(SKIP_1) | instid1(SALU_CYCLE_2)
	s_mul_f32 s25, s31, s25
	s_wait_alu 0xfffe
	s_add_f32 s27, s38, s25
	s_wait_alu 0xfffe
	s_delay_alu instid0(SALU_CYCLE_2) | instskip(SKIP_2) | instid1(SALU_CYCLE_1)
	s_sub_f32 s31, s27, s38
	s_mul_f32 s33, s27, s27
	s_wait_alu 0xfffe
	s_sub_f32 s25, s25, s31
	s_delay_alu instid0(SALU_CYCLE_1) | instskip(SKIP_4) | instid1(SALU_CYCLE_2)
	s_xor_b32 s31, s33, 0x80000000
	s_wait_alu 0xfffe
	s_fmac_f32 s31, s27, s27
	s_add_f32 s38, s25, s25
	s_wait_alu 0xfffe
	s_fmac_f32 s31, s27, s38
	s_wait_alu 0xfffe
	s_delay_alu instid0(SALU_CYCLE_2) | instskip(NEXT) | instid1(SALU_CYCLE_3)
	s_add_f32 s38, s33, s31
	s_fmaak_f32 s42, s38, s42, 0x3e91f4c4
	s_sub_f32 s33, s38, s33
	s_delay_alu instid0(SALU_CYCLE_2) | instskip(NEXT) | instid1(SALU_CYCLE_2)
	s_fmaak_f32 s42, s38, s42, 0x3ecccdef
	s_sub_f32 s31, s31, s33
	s_mul_f32 s33, s27, s38
	s_delay_alu instid0(SALU_CYCLE_1) | instskip(NEXT) | instid1(SALU_CYCLE_2)
	s_mul_f32 s43, s38, s42
	s_xor_b32 s45, s33, 0x80000000
	s_delay_alu instid0(SALU_CYCLE_2) | instskip(SKIP_2) | instid1(SALU_CYCLE_2)
	s_xor_b32 s44, s43, 0x80000000
	s_fmac_f32 s45, s38, s27
	s_fmac_f32 s44, s38, s42
	;; [unrolled: 1-line block ×3, first 2 shown]
	s_wait_alu 0xfffe
	s_delay_alu instid0(SALU_CYCLE_1) | instskip(NEXT) | instid1(SALU_CYCLE_1)
	s_fmac_f32 s44, s31, s42
	s_fmac_f32 s45, s31, s27
	s_delay_alu instid0(SALU_CYCLE_2) | instskip(NEXT) | instid1(SALU_CYCLE_3)
	s_add_f32 s42, s43, s44
	s_sub_f32 s43, s42, s43
	s_add_f32 s46, s42, 0x3f2aaaaa
	s_delay_alu instid0(SALU_CYCLE_2) | instskip(NEXT) | instid1(SALU_CYCLE_2)
	s_sub_f32 s43, s44, s43
	s_add_f32 s44, s46, 0xbf2aaaaa
	s_delay_alu instid0(SALU_CYCLE_2) | instskip(NEXT) | instid1(SALU_CYCLE_2)
	s_add_f32 s38, s43, 0x31739010
	s_sub_f32 s42, s42, s44
	s_delay_alu instid0(SALU_CYCLE_3) | instskip(SKIP_2) | instid1(SALU_CYCLE_1)
	s_add_f32 s31, s38, s42
	s_add_f32 s38, s33, s45
	s_wait_alu 0xfffe
	s_add_f32 s42, s46, s31
	s_delay_alu instid0(SALU_CYCLE_1) | instskip(NEXT) | instid1(SALU_CYCLE_2)
	s_sub_f32 s33, s38, s33
	s_mul_f32 s43, s38, s42
	s_sub_f32 s44, s46, s42
	s_delay_alu instid0(SALU_CYCLE_1) | instskip(NEXT) | instid1(SALU_CYCLE_1)
	s_sub_f32 s33, s45, s33
	s_xor_b32 s46, s43, 0x80000000
	s_delay_alu instid0(SALU_CYCLE_1)
	s_add_f32 s31, s31, s44
	s_fmac_f32 s46, s38, s42
	v_readfirstlane_b32 s44, v1
	v_ldexp_f32 v1, s27, 1
	s_cmp_lg_u32 s26, 0
	s_wait_alu 0xfffe
	s_fmac_f32 s46, s38, s31
	s_sub_co_ci_u32 s26, s44, 0
	v_readfirstlane_b32 s27, v1
	s_delay_alu instid0(SALU_CYCLE_1)
	s_fmac_f32 s46, s33, s42
	s_wait_alu 0xfffe
	s_cvt_f32_i32 s26, s26
	v_ldexp_f32 v1, s25, 1
	s_add_f32 s31, s43, s46
	s_wait_alu 0xfffe
	s_mul_f32 s25, s26, 0x3f317218
	s_delay_alu instid0(VALU_DEP_1)
	v_readfirstlane_b32 s42, v1
	s_add_f32 s33, s27, s31
	s_sub_f32 s38, s31, s43
	s_wait_alu 0xfffe
	s_xor_b32 s43, s25, 0x80000000
	s_sub_f32 s27, s33, s27
	s_sub_f32 s38, s46, s38
	s_fmamk_f32 s43, s26, 0x3f317218, s43
	s_wait_alu 0xfffe
	s_sub_f32 s27, s31, s27
	s_add_f32 s31, s42, s38
	s_fmamk_f32 s26, s26, 0xb102e308, s43
	s_wait_alu 0xfffe
	s_delay_alu instid0(SALU_CYCLE_1) | instskip(NEXT) | instid1(SALU_CYCLE_1)
	s_add_f32 s27, s31, s27
	s_add_f32 s31, s25, s26
	s_wait_alu 0xfffe
	s_delay_alu instid0(SALU_CYCLE_1) | instskip(NEXT) | instid1(SALU_CYCLE_1)
	s_add_f32 s38, s33, s27
	s_sub_f32 s25, s31, s25
	s_delay_alu instid0(SALU_CYCLE_2)
	s_add_f32 s42, s31, s38
	s_sub_f32 s33, s38, s33
	s_wait_alu 0xfffe
	s_sub_f32 s25, s26, s25
	s_sub_f32 s43, s42, s31
	;; [unrolled: 1-line block ×3, first 2 shown]
	s_delay_alu instid0(SALU_CYCLE_2)
	s_sub_f32 s44, s42, s43
	s_sub_f32 s27, s38, s43
	s_wait_alu 0xfffe
	s_add_f32 s33, s25, s26
	s_sub_f32 s31, s31, s44
	s_wait_alu 0xfffe
	s_delay_alu instid0(SALU_CYCLE_2) | instskip(SKIP_2) | instid1(SALU_CYCLE_1)
	s_add_f32 s27, s27, s31
	s_sub_f32 s31, s33, s25
	s_wait_alu 0xfffe
	s_add_f32 s27, s33, s27
	s_delay_alu instid0(SALU_CYCLE_1) | instskip(SKIP_4) | instid1(SALU_CYCLE_2)
	s_sub_f32 s33, s33, s31
	s_sub_f32 s26, s26, s31
	s_wait_alu 0xfffe
	s_add_f32 s38, s42, s27
	s_sub_f32 s25, s25, s33
	s_sub_f32 s31, s38, s42
	s_wait_alu 0xfffe
	s_delay_alu instid0(SALU_CYCLE_1) | instskip(NEXT) | instid1(SALU_CYCLE_1)
	s_add_f32 s25, s26, s25
	s_sub_f32 s26, s27, s31
	s_wait_alu 0xfffe
	s_delay_alu instid0(SALU_CYCLE_2) | instskip(SKIP_1) | instid1(SALU_CYCLE_2)
	s_add_f32 s25, s25, s26
	s_wait_alu 0xfffe
	s_add_f32 s26, s38, s25
	s_wait_alu 0xfffe
	s_delay_alu instid0(SALU_CYCLE_2) | instskip(SKIP_2) | instid1(SALU_CYCLE_1)
	s_mul_f32 s27, s11, s26
	s_sub_f32 s31, s26, s38
	s_wait_alu 0xfffe
	s_xor_b32 s33, s27, 0x80000000
	s_delay_alu instid0(SALU_CYCLE_1) | instskip(SKIP_2) | instid1(SALU_CYCLE_2)
	s_sub_f32 s25, s25, s31
	s_fmac_f32 s33, s11, s26
	s_wait_alu 0xfffe
	s_fmac_f32 s33, s11, s25
	v_cmp_class_f32_e64 s25, s27, 0x204
	s_delay_alu instid0(SALU_CYCLE_2) | instskip(SKIP_2) | instid1(SALU_CYCLE_1)
	s_add_f32 s26, s27, s33
	s_and_b32 s25, s25, exec_lo
	s_wait_alu 0xfffe
	s_sub_f32 s25, s26, s27
	s_cselect_b32 s26, s27, s26
	s_wait_alu 0xfffe
	s_and_b32 s27, s26, 0x7fffffff
	s_sub_f32 s25, s33, s25
	s_wait_alu 0xfffe
	s_cmp_neq_f32 s27, 0x7f800000
	s_delay_alu instid0(SALU_CYCLE_1)
	s_cselect_b32 s25, s25, 0
	s_cmp_eq_f32 s26, 0x42b17218
	s_cselect_b32 s27, 0x37000000, 0
	s_wait_alu 0xfffe
	s_sub_f32 s26, s26, s27
	s_add_f32 s25, s27, s25
	s_wait_alu 0xfffe
	s_delay_alu instid0(SALU_CYCLE_1) | instskip(SKIP_1) | instid1(SALU_CYCLE_2)
	s_mul_f32 s31, s26, 0x3fb8aa3b
	s_wait_alu 0xfffe
	s_xor_b32 s33, s31, 0x80000000
	s_rndne_f32 s38, s31
	s_fmamk_f32 s33, s26, 0x3fb8aa3b, s33
	s_cmp_nlt_f32 s26, 0xc2ce8ed0
	s_delay_alu instid0(SALU_CYCLE_1) | instskip(NEXT) | instid1(SALU_CYCLE_1)
	s_sub_f32 s31, s31, s38
	s_fmamk_f32 s33, s26, 0x32a5705f, s33
	s_cselect_b32 vcc_lo, -1, 0
	s_cmp_ngt_f32 s26, 0x42b17218
	s_trunc_f32 s26, s11
	s_wait_alu 0xfffe
	s_add_f32 s31, s31, s33
	s_cvt_i32_f32 s33, s38
	s_wait_alu 0xfffe
	s_delay_alu instid0(SALU_CYCLE_1) | instskip(SKIP_1) | instid1(TRANS32_DEP_1)
	v_s_exp_f32 s31, s31
	s_wait_alu 0xf1ff
	v_ldexp_f32 v1, s31, s33
	s_mul_f32 s31, s11, 0.5
	s_delay_alu instid0(VALU_DEP_1)
	v_cndmask_b32_e32 v1, 0, v1, vcc_lo
	s_cselect_b32 vcc_lo, -1, 0
	s_cmp_eq_f32 s26, s11
	s_wait_alu 0xfffe
	s_trunc_f32 s33, s31
	v_cndmask_b32_e32 v1, 0x7f800000, v1, vcc_lo
	s_cselect_b32 s38, -1, 0
	s_wait_alu 0xfffe
	s_cmp_neq_f32 s33, s31
	s_delay_alu instid0(VALU_DEP_1)
	v_fma_f32 v2, s25, v1, v1
	v_cmp_class_f32_e64 vcc_lo, v1, 0x204
	s_cselect_b32 s27, -1, 0
	s_wait_alu 0xfffe
	s_and_b32 s25, s38, s27
	s_wait_alu 0xfffd
	v_cndmask_b32_e32 v1, v2, v1, vcc_lo
	s_wait_alu 0xfffe
	s_and_b32 s27, s25, exec_lo
	s_cselect_b32 s27, s10, 1.0
	s_cmp_eq_f32 s26, s11
	v_cmp_class_f32_e64 s26, s10, 0x204
	s_wait_alu 0xfffe
	v_bfi_b32 v1, 0x7fffffff, v1, s27
	s_cselect_b32 vcc_lo, -1, 0
	s_cmp_lt_f32 s10, 0
	s_wait_alu 0xfffe
	s_delay_alu instid0(VALU_DEP_1) | instskip(SKIP_3) | instid1(VALU_DEP_1)
	v_cndmask_b32_e32 v2, 0x7fc00000, v1, vcc_lo
	s_cselect_b32 vcc_lo, -1, 0
	s_cmp_eq_f32 s10, 0
	s_wait_alu 0xfffe
	v_cndmask_b32_e32 v1, v1, v2, vcc_lo
	s_cselect_b32 s27, -1, 0
	s_wait_alu 0xfffe
	s_or_b32 vcc_lo, s27, s26
	s_cmp_lt_f32 s11, 0
	s_cselect_b32 s11, -1, 0
	s_wait_alu 0xfffe
	s_xor_b32 s11, s11, s27
	s_wait_alu 0xfffe
	s_and_b32 s11, s11, exec_lo
	s_cselect_b32 s11, 0, 0x7f800000
	s_and_b32 s25, s25, exec_lo
	s_cselect_b32 s25, s10, 0
	s_cmp_o_f32 s10, s10
	s_wait_alu 0xfffe
	v_mov_b32_e32 v2, s25
	s_delay_alu instid0(VALU_DEP_1) | instskip(NEXT) | instid1(VALU_DEP_1)
	v_bfi_b32 v2, 0x7fffffff, s11, v2
	v_cndmask_b32_e32 v1, v1, v2, vcc_lo
	s_cselect_b32 vcc_lo, -1, 0
	s_wait_alu 0xfffe
	s_delay_alu instid0(VALU_DEP_1)
	v_cndmask_b32_e32 v42, 0x7fc00000, v1, vcc_lo
.LBB65_4:
	v_bfe_u32 v40, v0, 10, 10
	s_load_b96 s[44:46], s[0:1], 0x70
	v_and_b32_e32 v17, 0x3ff, v0
	s_ashr_i32 s31, s30, 31
	s_delay_alu instid0(VALU_DEP_2) | instskip(SKIP_1) | instid1(VALU_DEP_3)
	v_lshl_add_u32 v16, ttmp9, 2, v40
	v_lshl_add_u32 v46, v40, 8, 0x2400
	v_lshlrev_b32_e32 v38, 3, v17
	s_delay_alu instid0(VALU_DEP_3) | instskip(NEXT) | instid1(VALU_DEP_2)
	v_mul_hi_u32 v1, s20, v16
	v_add_nc_u32_e32 v4, v46, v38
	s_delay_alu instid0(VALU_DEP_2) | instskip(SKIP_3) | instid1(VALU_DEP_1)
	v_add_nc_u32_e32 v1, v16, v1
	s_wait_kmcnt 0x0
	s_mul_i32 s10, s30, s45
	s_ashr_i32 s45, s44, 31
	v_lshrrev_b32_e32 v1, s21, v1
	s_lshr_b64 s[20:21], s[44:45], 2
	s_lshr_b32 s11, s45, 2
	s_delay_alu instid0(VALU_DEP_1) | instskip(NEXT) | instid1(VALU_DEP_1)
	v_mul_lo_u32 v1, v1, s22
	v_sub_nc_u32_e32 v45, v16, v1
	s_wait_alu 0xfffe
	s_delay_alu instid0(VALU_DEP_1)
	v_mad_co_u64_u32 v[1:2], null, s20, v45, 0
	s_mul_i32 s20, s28, s46
	s_wait_alu 0xfffe
	s_ashr_i32 s21, s20, 31
	s_wait_alu 0xfffe
	s_add_nc_u64 s[4:5], s[4:5], s[20:21]
	v_mad_co_u64_u32 v[2:3], null, s11, v45, v[2:3]
	s_ashr_i32 s11, s10, 31
	s_wait_alu 0xfffe
	s_add_nc_u64 s[4:5], s[4:5], s[10:11]
	s_ashr_i32 s10, s29, 31
	s_mov_b32 s29, 0
	s_cmp_eq_u64 s[14:15], 0
	v_lshlrev_b64_e32 v[0:1], 2, v[1:2]
	v_lshlrev_b32_e32 v2, 4, v17
	s_wait_alu 0xfffe
	s_delay_alu instid0(VALU_DEP_2) | instskip(SKIP_1) | instid1(VALU_DEP_3)
	v_add_co_u32 v0, vcc_lo, s4, v0
	s_wait_alu 0xfffd
	v_add_co_ci_u32_e64 v1, null, s5, v1, vcc_lo
	s_mul_u64 s[4:5], s[36:37], s[40:41]
	v_add_co_u32 v0, vcc_lo, v0, v2
	s_wait_alu 0xfffd
	v_add_co_ci_u32_e64 v1, null, 0, v1, vcc_lo
	global_load_b128 v[0:3], v[0:1], off
	s_wait_loadcnt 0x0
	v_fma_mixlo_f16 v1, s24, v1, 0
	v_fma_mixlo_f16 v0, s24, v0, 0
	;; [unrolled: 1-line block ×4, first 2 shown]
	s_delay_alu instid0(VALU_DEP_4) | instskip(NEXT) | instid1(VALU_DEP_4)
	v_lshlrev_b32_e32 v1, 16, v1
	v_and_b32_e32 v0, 0xffff, v0
	s_delay_alu instid0(VALU_DEP_4) | instskip(NEXT) | instid1(VALU_DEP_4)
	v_and_b32_e32 v2, 0xffff, v2
	v_lshlrev_b32_e32 v3, 16, v3
	s_delay_alu instid0(VALU_DEP_3) | instskip(NEXT) | instid1(VALU_DEP_2)
	v_or_b32_e32 v0, v1, v0
	v_or3_b32 v1, v3, v2, 0
	v_mov_b32_e32 v3, 0
	s_delay_alu instid0(VALU_DEP_3)
	v_or3_b32 v0, 0, 0, v0
	ds_store_b64 v4, v[0:1]
	s_wait_dscnt 0x0
	s_barrier_signal -1
	s_barrier_wait -1
	global_inv scope:SCOPE_SE
	s_cbranch_scc1 .LBB65_6
; %bb.5:
	s_load_b32 s2, s[0:1], 0xd0
	s_mov_b32 s21, s29
	s_wait_kmcnt 0x0
	s_mul_i32 s2, s2, s28
	s_delay_alu instid0(SALU_CYCLE_1)
	s_add_co_i32 s20, s2, ttmp9
	s_wait_alu 0xfffe
	s_lshl_b64 s[20:21], s[20:21], 2
	s_wait_alu 0xfffe
	s_add_nc_u64 s[14:15], s[14:15], s[20:21]
	s_load_b32 s2, s[14:15], 0x0
.LBB65_6:
	s_clause 0x2
	s_load_b64 s[14:15], s[0:1], 0x8c
	s_load_b128 s[24:27], s[0:1], 0x98
	s_load_b64 s[20:21], s[0:1], 0xa8
	s_mul_i32 s4, s5, s3
	s_ashr_i32 s33, s39, 1
	s_wait_alu 0xfffe
	s_sub_co_i32 s36, s36, s4
	s_xor_b32 s11, s31, s10
	s_add_co_i32 s37, s5, 1
	s_sub_co_i32 s38, s36, s3
	v_lshlrev_b32_e32 v36, 2, v17
	v_lshrrev_b32_e32 v49, 3, v17
	v_mul_u32_u24_e32 v47, 0x90, v17
	v_lshrrev_b32_e32 v43, 4, v17
	v_mbcnt_lo_u32_b32 v37, -1, 0
	v_and_b32_e32 v48, 28, v36
	v_and_b32_e32 v44, 60, v36
	s_wait_kmcnt 0x0
	s_ashr_i32 s4, s14, 2
	s_ashr_i32 s10, s26, 2
	s_cmp_ge_u32 s36, s3
	s_mul_u64 s[24:25], s[24:25], s[28:29]
	s_cselect_b32 s5, s37, s5
	s_cselect_b32 s14, s38, s36
	s_wait_alu 0xfffe
	s_add_co_i32 s26, s5, 1
	s_cmp_ge_u32 s14, s3
	s_mul_u64 s[20:21], s[20:21], s[28:29]
	s_wait_alu 0xfffe
	s_cselect_b32 s3, s26, s5
	s_add_nc_u64 s[6:7], s[6:7], s[24:25]
	s_xor_b32 s5, s3, s11
	s_add_nc_u64 s[24:25], s[8:9], s[20:21]
	s_wait_alu 0xfffe
	s_sub_co_i32 s5, s5, s11
	s_and_b32 s8, ttmp7, 0xffff
	s_wait_alu 0xfffe
	s_mul_i32 s14, s5, s15
	s_mul_i32 s26, s5, s27
	s_sub_co_i32 s3, s2, 64
	s_lshl_b32 s20, s8, 6
	s_ashr_i32 s15, s14, 31
	s_wait_alu 0xfffe
	s_ashr_i32 s27, s26, 31
	s_cmp_ge_i32 s20, s3
	s_add_nc_u64 s[6:7], s[6:7], s[14:15]
	s_wait_alu 0xfffe
	s_add_nc_u64 s[14:15], s[24:25], s[26:27]
	s_cbranch_scc1 .LBB65_15
; %bb.7:
	v_lshl_add_u32 v1, v40, 2, v49
	v_lshl_add_u32 v5, v40, 1, v43
	s_ashr_i32 s5, s4, 31
	s_lshl_b32 s11, s4, 4
	s_cmp_lg_u64 s[34:35], 0
	v_mul_lo_u32 v0, s4, v1
	v_mul_lo_u32 v2, s10, v5
	s_cselect_b32 s9, -1, 0
	s_lshl_b32 s21, s10, 3
	v_dual_mov_b32 v39, 0 :: v_dual_lshlrev_b32 v6, 2, v44
	v_dual_mov_b32 v64, 0xfeffffff :: v_dual_lshlrev_b32 v3, 2, v48
	s_wait_alu 0xfffe
	s_delay_alu instid0(VALU_DEP_4) | instskip(NEXT) | instid1(VALU_DEP_4)
	v_dual_mov_b32 v41, 0 :: v_dual_add_nc_u32 v4, s11, v0
	v_add_nc_u32_e32 v8, s21, v2
	v_lshl_or_b32 v52, v5, 8, v6
	v_mad_u32_u24 v51, 0x90, v1, v3
	s_delay_alu instid0(VALU_DEP_4) | instskip(NEXT) | instid1(VALU_DEP_4)
	v_dual_mov_b32 v63, 0 :: v_dual_add_nc_u32 v6, s11, v4
	v_add_nc_u32_e32 v12, s21, v8
	v_ashrrev_i32_e32 v1, 31, v0
	v_ashrrev_i32_e32 v5, 31, v4
	s_delay_alu instid0(VALU_DEP_4)
	v_add_nc_u32_e32 v10, s11, v6
	v_ashrrev_i32_e32 v7, 31, v6
	v_add_nc_u32_e32 v14, s21, v12
	v_ashrrev_i32_e32 v3, 31, v2
	v_ashrrev_i32_e32 v9, 31, v8
	;; [unrolled: 1-line block ×5, first 2 shown]
	v_lshl_add_u32 v50, v40, 7, 0x2800
	v_mad_co_u64_u32 v[19:20], null, v45, s33, v[17:18]
	v_lshlrev_b64_e32 v[20:21], 2, v[0:1]
	v_lshlrev_b64_e32 v[22:23], 2, v[4:5]
	;; [unrolled: 1-line block ×8, first 2 shown]
	v_add_nc_u32_e32 v53, 0x900, v51
	v_add_nc_u32_e32 v54, 0x1200, v51
	;; [unrolled: 1-line block ×3, first 2 shown]
	v_lshl_add_u32 v56, v17, 1, v50
	v_add_nc_u32_e32 v57, 0x800, v52
	v_add_nc_u32_e32 v58, 0x1000, v52
	;; [unrolled: 1-line block ×3, first 2 shown]
	v_lshlrev_b32_e32 v60, 2, v48
	v_lshlrev_b32_e32 v61, 2, v44
	v_mbcnt_lo_u32_b32 v62, -1, 0
	s_ashr_i32 s11, s10, 31
	s_add_nc_u64 s[24:25], s[0:1], 0xd0
.LBB65_8:                               ; =>This Inner Loop Header: Depth=1
	s_ashr_i32 s21, s20, 31
	v_dual_mov_b32 v18, 0 :: v_dual_mov_b32 v65, 0
	s_wait_alu 0xfffe
	s_mul_u64 s[26:27], s[20:21], s[4:5]
	s_wait_alu 0xfffe
	s_lshl_b64 s[26:27], s[26:27], 2
	s_wait_alu 0xfffe
	s_add_nc_u64 s[26:27], s[6:7], s[26:27]
	s_wait_alu 0xfffe
	v_add_co_u32 v0, vcc_lo, s26, v20
	s_wait_alu 0xfffd
	v_add_co_ci_u32_e64 v1, null, s27, v21, vcc_lo
	v_add_co_u32 v2, vcc_lo, s26, v22
	s_wait_alu 0xfffd
	v_add_co_ci_u32_e64 v3, null, s27, v23, vcc_lo
	;; [unrolled: 3-line block ×8, first 2 shown]
	s_clause 0x3
	global_load_b128 v[0:3], v[66:67], off
	global_load_b128 v[4:7], v[68:69], off
	;; [unrolled: 1-line block ×4, first 2 shown]
	s_and_not1_b32 vcc_lo, exec_lo, s9
	s_wait_loadcnt 0x3
	ds_store_b128 v51, v[0:3]
	s_wait_loadcnt 0x2
	ds_store_b128 v53, v[4:7]
	;; [unrolled: 2-line block ×4, first 2 shown]
	s_wait_dscnt 0x0
	s_barrier_signal -1
	s_barrier_wait -1
	global_inv scope:SCOPE_SE
	ds_load_b128 v[0:3], v47
	ds_load_b128 v[4:7], v46
	ds_load_b128 v[8:11], v47 offset:4608
	s_wait_dscnt 0x1
	;;#ASMSTART
	v_dot2_f32_f16 v18, v0, v4, v18
	;;#ASMEND
	;;#ASMSTART
	v_dot2_f32_f16 v18, v1, v5, v18
	;;#ASMEND
	;;#ASMSTART
	v_dot2_f32_f16 v18, v2, v6, v18
	;;#ASMEND
	;;#ASMSTART
	v_dot2_f32_f16 v18, v3, v7, v18
	;;#ASMEND
	s_wait_dscnt 0x0
	;;#ASMSTART
	v_dot2_f32_f16 v65, v8, v4, v65
	;;#ASMEND
	;;#ASMSTART
	v_dot2_f32_f16 v65, v9, v5, v65
	;;#ASMEND
	;;#ASMSTART
	v_dot2_f32_f16 v65, v10, v6, v65
	;;#ASMEND
	;;#ASMSTART
	v_dot2_f32_f16 v65, v11, v7, v65
	;;#ASMEND
	ds_load_b128 v[0:3], v47 offset:16
	ds_load_b128 v[4:7], v46 offset:16
	ds_load_b128 v[8:11], v47 offset:4624
	s_wait_dscnt 0x1
	;;#ASMSTART
	v_dot2_f32_f16 v18, v0, v4, v18
	;;#ASMEND
	;;#ASMSTART
	v_dot2_f32_f16 v18, v1, v5, v18
	;;#ASMEND
	;;#ASMSTART
	v_dot2_f32_f16 v18, v2, v6, v18
	;;#ASMEND
	;;#ASMSTART
	v_dot2_f32_f16 v18, v3, v7, v18
	;;#ASMEND
	s_wait_dscnt 0x0
	;;#ASMSTART
	v_dot2_f32_f16 v65, v8, v4, v65
	;;#ASMEND
	;;#ASMSTART
	v_dot2_f32_f16 v65, v9, v5, v65
	;;#ASMEND
	;;#ASMSTART
	v_dot2_f32_f16 v65, v10, v6, v65
	;;#ASMEND
	;;#ASMSTART
	v_dot2_f32_f16 v65, v11, v7, v65
	;;#ASMEND
	ds_load_b128 v[0:3], v47 offset:32
	ds_load_b128 v[4:7], v46 offset:32
	;; [unrolled: 29-line block ×7, first 2 shown]
	ds_load_b128 v[8:11], v47 offset:4720
	s_wait_dscnt 0x1
	;;#ASMSTART
	v_dot2_f32_f16 v18, v0, v4, v18
	;;#ASMEND
	;;#ASMSTART
	v_dot2_f32_f16 v18, v1, v5, v18
	;;#ASMEND
	;;#ASMSTART
	v_dot2_f32_f16 v18, v2, v6, v18
	;;#ASMEND
	;;#ASMSTART
	v_dot2_f32_f16 v18, v3, v7, v18
	;;#ASMEND
	s_wait_dscnt 0x0
	;;#ASMSTART
	v_dot2_f32_f16 v65, v8, v4, v65
	;;#ASMEND
	;;#ASMSTART
	v_dot2_f32_f16 v65, v9, v5, v65
	;;#ASMEND
	;; [unrolled: 3-line block ×4, first 2 shown]
	s_wait_loadcnt 0x0
	s_barrier_signal -1
	s_barrier_wait -1
	global_inv scope:SCOPE_SE
	s_clause 0x3
	global_load_b128 v[0:3], v[66:67], off offset:128
	global_load_b128 v[4:7], v[68:69], off offset:128
	;; [unrolled: 1-line block ×4, first 2 shown]
	v_mov_b32_e32 v66, 0
	s_wait_loadcnt 0x3
	ds_store_b128 v51, v[0:3]
	s_wait_loadcnt 0x2
	ds_store_b128 v53, v[4:7]
	;; [unrolled: 2-line block ×4, first 2 shown]
	s_wait_dscnt 0x0
	s_barrier_signal -1
	s_barrier_wait -1
	global_inv scope:SCOPE_SE
	ds_load_b128 v[0:3], v47
	ds_load_b128 v[4:7], v46 offset:128
	ds_load_b128 v[8:11], v47 offset:4608
	s_wait_dscnt 0x1
	;;#ASMSTART
	v_dot2_f32_f16 v18, v0, v4, v18
	;;#ASMEND
	;;#ASMSTART
	v_dot2_f32_f16 v18, v1, v5, v18
	;;#ASMEND
	;;#ASMSTART
	v_dot2_f32_f16 v18, v2, v6, v18
	;;#ASMEND
	;;#ASMSTART
	v_dot2_f32_f16 v18, v3, v7, v18
	;;#ASMEND
	s_wait_dscnt 0x0
	;;#ASMSTART
	v_dot2_f32_f16 v65, v8, v4, v65
	;;#ASMEND
	;;#ASMSTART
	v_dot2_f32_f16 v65, v9, v5, v65
	;;#ASMEND
	;;#ASMSTART
	v_dot2_f32_f16 v65, v10, v6, v65
	;;#ASMEND
	;;#ASMSTART
	v_dot2_f32_f16 v65, v11, v7, v65
	;;#ASMEND
	ds_load_b128 v[0:3], v47 offset:16
	ds_load_b128 v[4:7], v46 offset:144
	ds_load_b128 v[8:11], v47 offset:4624
	s_wait_dscnt 0x1
	;;#ASMSTART
	v_dot2_f32_f16 v18, v0, v4, v18
	;;#ASMEND
	;;#ASMSTART
	v_dot2_f32_f16 v18, v1, v5, v18
	;;#ASMEND
	;;#ASMSTART
	v_dot2_f32_f16 v18, v2, v6, v18
	;;#ASMEND
	;;#ASMSTART
	v_dot2_f32_f16 v18, v3, v7, v18
	;;#ASMEND
	s_wait_dscnt 0x0
	;;#ASMSTART
	v_dot2_f32_f16 v65, v8, v4, v65
	;;#ASMEND
	;;#ASMSTART
	v_dot2_f32_f16 v65, v9, v5, v65
	;;#ASMEND
	;;#ASMSTART
	v_dot2_f32_f16 v65, v10, v6, v65
	;;#ASMEND
	;;#ASMSTART
	v_dot2_f32_f16 v65, v11, v7, v65
	;;#ASMEND
	ds_load_b128 v[0:3], v47 offset:32
	;; [unrolled: 29-line block ×7, first 2 shown]
	ds_load_b128 v[6:9], v46 offset:240
	ds_load_b128 v[10:13], v47 offset:4720
	v_add_nc_u32_e32 v0, s20, v19
	s_wait_dscnt 0x1
	;;#ASMSTART
	v_dot2_f32_f16 v18, v2, v6, v18
	;;#ASMEND
	s_delay_alu instid0(VALU_DEP_1)
	v_ashrrev_i32_e32 v1, 31, v0
	;;#ASMSTART
	v_dot2_f32_f16 v18, v3, v7, v18
	;;#ASMEND
	;;#ASMSTART
	v_dot2_f32_f16 v18, v4, v8, v18
	;;#ASMEND
	;; [unrolled: 3-line block ×3, first 2 shown]
	s_wait_dscnt 0x0
	;;#ASMSTART
	v_dot2_f32_f16 v65, v10, v6, v65
	;;#ASMEND
	;;#ASMSTART
	v_dot2_f32_f16 v65, v11, v7, v65
	;;#ASMEND
	;; [unrolled: 3-line block ×4, first 2 shown]
	s_wait_alu 0xfffe
	s_cbranch_vccnz .LBB65_10
; %bb.9:                                ;   in Loop: Header=BB65_8 Depth=1
	v_lshlrev_b64_e32 v[2:3], 1, v[0:1]
	s_delay_alu instid0(VALU_DEP_1) | instskip(SKIP_1) | instid1(VALU_DEP_2)
	v_add_co_u32 v2, vcc_lo, s34, v2
	s_wait_alu 0xfffd
	v_add_co_ci_u32_e64 v3, null, s35, v3, vcc_lo
	global_load_u16 v2, v[2:3], off
	s_wait_loadcnt 0x0
	v_cvt_f32_f16_e32 v2, v2
	s_delay_alu instid0(VALU_DEP_1)
	v_mul_f32_e32 v66, v42, v2
.LBB65_10:                              ;   in Loop: Header=BB65_8 Depth=1
	s_and_not1_b32 vcc_lo, exec_lo, s9
	s_wait_alu 0xfffe
	s_cbranch_vccnz .LBB65_12
; %bb.11:                               ;   in Loop: Header=BB65_8 Depth=1
	v_lshlrev_b64_e32 v[0:1], 1, v[0:1]
	s_delay_alu instid0(VALU_DEP_1) | instskip(SKIP_1) | instid1(VALU_DEP_2)
	v_add_co_u32 v0, vcc_lo, s34, v0
	s_wait_alu 0xfffd
	v_add_co_ci_u32_e64 v1, null, s35, v1, vcc_lo
	global_load_u16 v0, v[0:1], off offset:64
	s_wait_loadcnt 0x0
	v_cvt_f32_f16_e32 v0, v0
	s_delay_alu instid0(VALU_DEP_1)
	v_mul_f32_e32 v67, v42, v0
	s_branch .LBB65_13
.LBB65_12:                              ;   in Loop: Header=BB65_8 Depth=1
	v_mov_b32_e32 v67, 0
.LBB65_13:                              ;   in Loop: Header=BB65_8 Depth=1
	s_mul_u64 s[26:27], s[20:21], s[10:11]
	s_wait_loadcnt 0x0
	s_wait_alu 0xfffe
	s_lshl_b64 s[26:27], s[26:27], 2
	s_barrier_signal -1
	s_wait_alu 0xfffe
	s_add_nc_u64 s[26:27], s[14:15], s[26:27]
	s_barrier_wait -1
	s_wait_alu 0xfffe
	v_add_co_u32 v0, vcc_lo, s26, v28
	s_wait_alu 0xfffd
	v_add_co_ci_u32_e64 v1, null, s27, v29, vcc_lo
	v_add_co_u32 v2, vcc_lo, s26, v30
	s_wait_alu 0xfffd
	v_add_co_ci_u32_e64 v3, null, s27, v31, vcc_lo
	;; [unrolled: 3-line block ×8, first 2 shown]
	global_inv scope:SCOPE_SE
	s_clause 0x3
	global_load_b128 v[0:3], v[0:1], off
	global_load_b128 v[4:7], v[4:5], off
	global_load_b128 v[8:11], v[8:9], off
	global_load_b128 v[12:15], v[12:13], off
	v_dual_add_f32 v66, v18, v66 :: v_dual_add_f32 v65, v65, v67
	v_xor_b32_e32 v18, 16, v62
	s_or_b32 s26, s20, 32
	v_add_nc_u32_e32 v69, 0x800, v38
	s_delay_alu instid0(VALU_DEP_3) | instskip(NEXT) | instid1(VALU_DEP_3)
	v_dual_add_f32 v67, 0x40051340, v66 :: v_dual_add_f32 v68, 0x40051340, v65
	v_cmp_gt_i32_e32 vcc_lo, 32, v18
	s_wait_alu 0xfffe
	s_ashr_i32 s27, s26, 31
	s_wait_alu 0xfffe
	s_mul_u64 s[26:27], s[26:27], s[10:11]
	v_max3_num_f32 v67, v64, v67, v68
	s_wait_alu 0xfffd
	v_cndmask_b32_e32 v18, v62, v18, vcc_lo
	v_xor_b32_e32 v68, 8, v62
	s_wait_alu 0xfffe
	s_lshl_b64 s[26:27], s[26:27], 2
	s_wait_alu 0xfffe
	s_add_nc_u64 s[26:27], s[14:15], s[26:27]
	v_lshlrev_b32_e32 v18, 2, v18
	v_cmp_gt_i32_e32 vcc_lo, 32, v68
	ds_bpermute_b32 v18, v18, v67
	s_wait_alu 0xfffd
	v_cndmask_b32_e32 v68, v62, v68, vcc_lo
	s_delay_alu instid0(VALU_DEP_1) | instskip(SKIP_2) | instid1(VALU_DEP_1)
	v_lshlrev_b32_e32 v68, 2, v68
	s_wait_dscnt 0x0
	v_max_num_f32_e32 v18, v18, v18
	v_max_num_f32_e32 v18, v67, v18
	ds_bpermute_b32 v67, v68, v18
	v_xor_b32_e32 v68, 4, v62
	s_delay_alu instid0(VALU_DEP_1) | instskip(SKIP_3) | instid1(VALU_DEP_1)
	v_cmp_gt_i32_e32 vcc_lo, 32, v68
	s_wait_alu 0xfffd
	v_cndmask_b32_e32 v68, v62, v68, vcc_lo
	s_wait_dscnt 0x0
	v_dual_max_num_f32 v67, v67, v67 :: v_dual_lshlrev_b32 v68, 2, v68
	s_delay_alu instid0(VALU_DEP_1) | instskip(SKIP_2) | instid1(VALU_DEP_1)
	v_max_num_f32_e32 v18, v18, v67
	ds_bpermute_b32 v67, v68, v18
	v_xor_b32_e32 v68, 2, v62
	v_cmp_gt_i32_e32 vcc_lo, 32, v68
	s_wait_alu 0xfffd
	v_cndmask_b32_e32 v68, v62, v68, vcc_lo
	s_wait_dscnt 0x0
	s_delay_alu instid0(VALU_DEP_1) | instskip(NEXT) | instid1(VALU_DEP_1)
	v_dual_max_num_f32 v67, v67, v67 :: v_dual_lshlrev_b32 v68, 2, v68
	v_max_num_f32_e32 v18, v18, v67
	ds_bpermute_b32 v67, v68, v18
	v_xor_b32_e32 v68, 1, v62
	s_delay_alu instid0(VALU_DEP_1)
	v_cmp_gt_i32_e32 vcc_lo, 32, v68
	s_wait_alu 0xfffd
	v_cndmask_b32_e32 v68, v62, v68, vcc_lo
	s_wait_alu 0xfffe
	v_add_co_u32 v76, vcc_lo, s26, v28
	s_wait_alu 0xfffd
	v_add_co_ci_u32_e64 v77, null, s27, v29, vcc_lo
	s_wait_dscnt 0x0
	v_dual_max_num_f32 v67, v67, v67 :: v_dual_lshlrev_b32 v68, 2, v68
	s_delay_alu instid0(VALU_DEP_1) | instskip(SKIP_3) | instid1(VALU_DEP_1)
	v_max_num_f32_e32 v18, v18, v67
	ds_bpermute_b32 v67, v68, v18
	s_wait_dscnt 0x0
	v_max_num_f32_e32 v67, v67, v67
	v_max_num_f32_e32 v18, v18, v67
	s_delay_alu instid0(VALU_DEP_1) | instskip(SKIP_2) | instid1(VALU_DEP_2)
	v_sub_f32_e32 v67, v66, v18
	v_sub_f32_e32 v68, v65, v18
	v_add_nc_u32_e32 v65, 0x1800, v38
	v_dual_mul_f32 v70, 0x3fb8aa3b, v67 :: v_dual_mul_f32 v71, 0x3fb8aa3b, v68
	s_delay_alu instid0(VALU_DEP_1) | instskip(SKIP_1) | instid1(VALU_DEP_3)
	v_fma_f32 v72, 0x3fb8aa3b, v67, -v70
	v_rndne_f32_e32 v73, v70
	v_fma_f32 v74, 0x3fb8aa3b, v68, -v71
	v_rndne_f32_e32 v75, v71
	s_delay_alu instid0(VALU_DEP_4) | instskip(NEXT) | instid1(VALU_DEP_4)
	v_fmac_f32_e32 v72, 0x32a5705f, v67
	v_sub_f32_e32 v70, v70, v73
	s_delay_alu instid0(VALU_DEP_3) | instskip(SKIP_2) | instid1(VALU_DEP_4)
	v_dual_fmac_f32 v74, 0x32a5705f, v68 :: v_dual_sub_f32 v71, v71, v75
	v_cvt_i32_f32_e32 v73, v73
	v_cvt_i32_f32_e32 v75, v75
	v_add_f32_e32 v70, v70, v72
	v_add_co_u32 v72, vcc_lo, s26, v30
	v_add_f32_e32 v71, v71, v74
	s_wait_alu 0xfffd
	v_add_co_ci_u32_e64 v74, null, s27, v31, vcc_lo
	v_exp_f32_e32 v70, v70
	v_add_co_u32 v78, vcc_lo, s26, v32
	v_exp_f32_e32 v71, v71
	s_wait_alu 0xfffd
	v_add_co_ci_u32_e64 v79, null, s27, v33, vcc_lo
	v_add_co_u32 v80, vcc_lo, s26, v34
	s_wait_alu 0xfffd
	v_add_co_ci_u32_e64 v81, null, s27, v35, vcc_lo
	v_add_co_u32 v138, vcc_lo, v76, v61
	s_delay_alu instid0(TRANS32_DEP_2)
	v_ldexp_f32 v70, v70, v73
	s_wait_alu 0xfffd
	v_add_co_ci_u32_e64 v139, null, 0, v77, vcc_lo
	v_cmp_ngt_f32_e32 vcc_lo, 0xc2ce8ed0, v67
	v_ldexp_f32 v71, v71, v75
	s_wait_alu 0xfffd
	v_cndmask_b32_e32 v70, 0, v70, vcc_lo
	v_cmp_ngt_f32_e32 vcc_lo, 0xc2ce8ed0, v68
	s_wait_alu 0xfffd
	v_cndmask_b32_e32 v71, 0, v71, vcc_lo
	v_add_co_u32 v142, vcc_lo, v72, v61
	s_wait_alu 0xfffd
	v_add_co_ci_u32_e64 v143, null, 0, v74, vcc_lo
	v_cmp_nlt_f32_e32 vcc_lo, 0x42b17218, v67
	s_wait_alu 0xfffd
	v_cndmask_b32_e32 v67, 0x7f800000, v70, vcc_lo
	v_cmp_nlt_f32_e32 vcc_lo, 0x42b17218, v68
	s_delay_alu instid0(VALU_DEP_2)
	v_cvt_f16_f32_e32 v70, v67
	s_wait_alu 0xfffd
	v_cndmask_b32_e32 v68, 0x7f800000, v71, vcc_lo
	v_add_co_u32 v146, vcc_lo, v78, v61
	s_wait_alu 0xfffd
	v_add_co_ci_u32_e64 v147, null, 0, v79, vcc_lo
	s_delay_alu instid0(VALU_DEP_3)
	v_cvt_f16_f32_e32 v71, v68
	v_add_co_u32 v150, vcc_lo, v80, v61
	s_wait_alu 0xfffd
	v_add_co_ci_u32_e64 v151, null, 0, v81, vcc_lo
	ds_store_b16 v56, v70
	ds_store_b16 v56, v71 offset:64
	s_wait_loadcnt 0x3
	ds_store_b128 v52, v[0:3]
	s_wait_loadcnt 0x2
	ds_store_b128 v57, v[4:7]
	;; [unrolled: 2-line block ×4, first 2 shown]
	v_sub_f32_e32 v0, v64, v18
	s_wait_dscnt 0x0
	s_barrier_signal -1
	s_barrier_wait -1
	global_inv scope:SCOPE_SE
	v_mul_f32_e32 v13, 0x3fb8aa3b, v0
	v_cmp_ngt_f32_e32 vcc_lo, 0xc2ce8ed0, v0
	s_delay_alu instid0(VALU_DEP_2) | instskip(SKIP_1) | instid1(VALU_DEP_1)
	v_fma_f32 v14, 0x3fb8aa3b, v0, -v13
	v_rndne_f32_e32 v15, v13
	v_dual_fmac_f32 v14, 0x32a5705f, v0 :: v_dual_sub_f32 v13, v13, v15
	s_delay_alu instid0(VALU_DEP_1) | instskip(SKIP_1) | instid1(VALU_DEP_2)
	v_add_f32_e32 v13, v13, v14
	v_cvt_i32_f32_e32 v14, v15
	v_exp_f32_e32 v13, v13
	s_delay_alu instid0(TRANS32_DEP_1) | instskip(SKIP_1) | instid1(VALU_DEP_1)
	v_ldexp_f32 v13, v13, v14
	s_wait_alu 0xfffd
	v_cndmask_b32_e32 v13, 0, v13, vcc_lo
	v_cmp_nlt_f32_e32 vcc_lo, 0x42b17218, v0
	s_wait_alu 0xfffd
	s_delay_alu instid0(VALU_DEP_2)
	v_cndmask_b32_e32 v0, 0x7f800000, v13, vcc_lo
	v_add_nc_u32_e32 v66, 0x1000, v38
	ds_load_2addr_b64 v[1:4], v38 offset1:32
	ds_load_b128 v[5:8], v50
	ds_load_b128 v[9:12], v50 offset:16
	ds_load_b128 v[70:73], v50 offset:32
	;; [unrolled: 1-line block ×3, first 2 shown]
	ds_load_2addr_b64 v[78:81], v38 offset0:64 offset1:96
	ds_load_2addr_b64 v[82:85], v38 offset0:128 offset1:160
	ds_load_2addr_b64 v[86:89], v38 offset0:192 offset1:224
	ds_load_2addr_b64 v[90:93], v69 offset1:32
	ds_load_2addr_b64 v[94:97], v69 offset0:64 offset1:96
	ds_load_2addr_b64 v[98:101], v69 offset0:128 offset1:160
	ds_load_2addr_b64 v[102:105], v69 offset0:192 offset1:224
	ds_load_2addr_b64 v[106:109], v66 offset1:32
	;; [unrolled: 4-line block ×3, first 2 shown]
	ds_load_2addr_b64 v[126:129], v65 offset0:64 offset1:96
	ds_load_2addr_b64 v[130:133], v65 offset0:128 offset1:160
	;; [unrolled: 1-line block ×3, first 2 shown]
	s_wait_loadcnt_dscnt 0x0
	s_barrier_signal -1
	s_barrier_wait -1
	global_inv scope:SCOPE_SE
	s_clause 0x3
	global_load_b128 v[138:141], v[138:139], off
	global_load_b128 v[142:145], v[142:143], off
	;; [unrolled: 1-line block ×4, first 2 shown]
	v_cvt_f16_f32_e32 v13, v0
	v_and_b32_e32 v14, 0xffff, v5
	v_lshrrev_b32_e32 v5, 16, v5
	v_and_b32_e32 v15, 0xffff, v6
	v_lshrrev_b32_e32 v6, 16, v6
	v_and_b32_e32 v13, 0xffff, v13
	v_mul_u32_u24_e32 v14, 0x10001, v14
	v_mul_u32_u24_e32 v5, 0x10001, v5
	s_wait_loadcnt 0x3
	ds_store_b128 v52, v[138:141]
	s_wait_loadcnt 0x2
	ds_store_b128 v57, v[142:145]
	;; [unrolled: 2-line block ×4, first 2 shown]
	v_mul_u32_u24_e32 v13, 0x10001, v13
	v_pk_mul_f16 v1, v1, v14
	v_pk_mul_f16 v2, v2, v14
	v_mul_u32_u24_e32 v14, 0x10001, v15
	v_mul_u32_u24_e32 v6, 0x10001, v6
	s_wait_dscnt 0x0
	v_pk_fma_f16 v1, v39, v13, v1
	v_pk_fma_f16 v2, v41, v13, v2
	s_barrier_signal -1
	s_barrier_wait -1
	global_inv scope:SCOPE_SE
	v_pk_fma_f16 v1, v3, v5, v1
	v_pk_fma_f16 v2, v4, v5, v2
	v_and_b32_e32 v3, 0xffff, v7
	v_lshrrev_b32_e32 v4, 16, v7
	v_and_b32_e32 v5, 0xffff, v8
	v_pk_fma_f16 v1, v78, v14, v1
	v_pk_fma_f16 v2, v79, v14, v2
	v_mul_u32_u24_e32 v3, 0x10001, v3
	v_mul_u32_u24_e32 v4, 0x10001, v4
	v_mul_u32_u24_e32 v5, 0x10001, v5
	v_pk_fma_f16 v1, v80, v6, v1
	v_pk_fma_f16 v2, v81, v6, v2
	v_lshrrev_b32_e32 v6, 16, v8
	v_and_b32_e32 v7, 0xffff, v76
	v_lshrrev_b32_e32 v8, 16, v76
	v_pk_fma_f16 v1, v82, v3, v1
	v_pk_fma_f16 v2, v83, v3, v2
	v_and_b32_e32 v3, 0xffff, v9
	v_mul_u32_u24_e32 v6, 0x10001, v6
	v_lshrrev_b32_e32 v14, 16, v77
	v_pk_fma_f16 v1, v84, v4, v1
	v_pk_fma_f16 v2, v85, v4, v2
	v_lshrrev_b32_e32 v4, 16, v9
	v_mul_u32_u24_e32 v3, 0x10001, v3
	v_mul_u32_u24_e32 v9, 0x10001, v7
	v_pk_fma_f16 v1, v86, v5, v1
	v_pk_fma_f16 v2, v87, v5, v2
	v_and_b32_e32 v5, 0xffff, v10
	v_mul_u32_u24_e32 v4, 0x10001, v4
	s_delay_alu instid0(VALU_DEP_4) | instskip(NEXT) | instid1(VALU_DEP_4)
	v_pk_fma_f16 v1, v88, v6, v1
	v_pk_fma_f16 v2, v89, v6, v2
	v_lshrrev_b32_e32 v6, 16, v10
	v_mul_u32_u24_e32 v5, 0x10001, v5
	s_delay_alu instid0(VALU_DEP_4) | instskip(NEXT) | instid1(VALU_DEP_4)
	v_pk_fma_f16 v1, v90, v3, v1
	v_pk_fma_f16 v2, v91, v3, v2
	v_and_b32_e32 v3, 0xffff, v11
	v_mul_u32_u24_e32 v6, 0x10001, v6
	s_delay_alu instid0(VALU_DEP_4) | instskip(NEXT) | instid1(VALU_DEP_4)
	v_pk_fma_f16 v1, v92, v4, v1
	v_pk_fma_f16 v2, v93, v4, v2
	v_lshrrev_b32_e32 v4, 16, v11
	v_mul_u32_u24_e32 v3, 0x10001, v3
	v_mul_u32_u24_e32 v11, 0x10001, v8
	v_pk_fma_f16 v1, v94, v5, v1
	v_pk_fma_f16 v2, v95, v5, v2
	v_and_b32_e32 v5, 0xffff, v12
	v_mul_u32_u24_e32 v4, 0x10001, v4
	s_delay_alu instid0(VALU_DEP_4) | instskip(NEXT) | instid1(VALU_DEP_4)
	v_pk_fma_f16 v1, v96, v6, v1
	v_pk_fma_f16 v2, v97, v6, v2
	v_lshrrev_b32_e32 v6, 16, v12
	v_mul_u32_u24_e32 v5, 0x10001, v5
	s_delay_alu instid0(VALU_DEP_4) | instskip(NEXT) | instid1(VALU_DEP_4)
	v_pk_fma_f16 v1, v98, v3, v1
	v_pk_fma_f16 v2, v99, v3, v2
	v_and_b32_e32 v3, 0xffff, v70
	v_mul_u32_u24_e32 v6, 0x10001, v6
	s_delay_alu instid0(VALU_DEP_4) | instskip(NEXT) | instid1(VALU_DEP_4)
	v_pk_fma_f16 v1, v100, v4, v1
	v_pk_fma_f16 v2, v101, v4, v2
	v_lshrrev_b32_e32 v4, 16, v70
	v_mul_u32_u24_e32 v3, 0x10001, v3
	s_delay_alu instid0(VALU_DEP_4) | instskip(NEXT) | instid1(VALU_DEP_4)
	v_pk_fma_f16 v1, v102, v5, v1
	v_pk_fma_f16 v2, v103, v5, v2
	v_and_b32_e32 v5, 0xffff, v71
	v_mul_u32_u24_e32 v4, 0x10001, v4
	s_delay_alu instid0(VALU_DEP_4) | instskip(NEXT) | instid1(VALU_DEP_4)
	v_pk_fma_f16 v1, v104, v6, v1
	v_pk_fma_f16 v2, v105, v6, v2
	v_lshrrev_b32_e32 v6, 16, v71
	v_mul_u32_u24_e32 v5, 0x10001, v5
	s_delay_alu instid0(VALU_DEP_4) | instskip(NEXT) | instid1(VALU_DEP_4)
	v_pk_fma_f16 v1, v106, v3, v1
	v_pk_fma_f16 v2, v107, v3, v2
	v_and_b32_e32 v3, 0xffff, v72
	v_mul_u32_u24_e32 v6, 0x10001, v6
	s_delay_alu instid0(VALU_DEP_4) | instskip(NEXT) | instid1(VALU_DEP_4)
	v_pk_fma_f16 v1, v108, v4, v1
	v_pk_fma_f16 v2, v109, v4, v2
	v_lshrrev_b32_e32 v4, 16, v72
	v_mul_u32_u24_e32 v3, 0x10001, v3
	s_delay_alu instid0(VALU_DEP_4) | instskip(NEXT) | instid1(VALU_DEP_4)
	v_pk_fma_f16 v1, v110, v5, v1
	v_pk_fma_f16 v2, v111, v5, v2
	v_and_b32_e32 v5, 0xffff, v73
	v_mul_u32_u24_e32 v4, 0x10001, v4
	s_delay_alu instid0(VALU_DEP_4) | instskip(NEXT) | instid1(VALU_DEP_4)
	v_pk_fma_f16 v1, v112, v6, v1
	v_pk_fma_f16 v2, v113, v6, v2
	v_lshrrev_b32_e32 v6, 16, v73
	v_mul_u32_u24_e32 v5, 0x10001, v5
	s_delay_alu instid0(VALU_DEP_4) | instskip(NEXT) | instid1(VALU_DEP_4)
	v_pk_fma_f16 v1, v114, v3, v1
	v_pk_fma_f16 v2, v115, v3, v2
	v_and_b32_e32 v3, 0xffff, v74
	v_mul_u32_u24_e32 v6, 0x10001, v6
	s_delay_alu instid0(VALU_DEP_4) | instskip(NEXT) | instid1(VALU_DEP_4)
	v_pk_fma_f16 v1, v116, v4, v1
	v_pk_fma_f16 v2, v117, v4, v2
	v_lshrrev_b32_e32 v4, 16, v74
	v_mul_u32_u24_e32 v3, 0x10001, v3
	s_delay_alu instid0(VALU_DEP_4) | instskip(NEXT) | instid1(VALU_DEP_4)
	v_pk_fma_f16 v1, v118, v5, v1
	v_pk_fma_f16 v2, v119, v5, v2
	v_and_b32_e32 v5, 0xffff, v75
	v_mul_u32_u24_e32 v4, 0x10001, v4
	s_delay_alu instid0(VALU_DEP_4) | instskip(NEXT) | instid1(VALU_DEP_4)
	v_pk_fma_f16 v1, v120, v6, v1
	v_pk_fma_f16 v2, v121, v6, v2
	v_lshrrev_b32_e32 v6, 16, v75
	v_mul_u32_u24_e32 v5, 0x10001, v5
	s_delay_alu instid0(VALU_DEP_4) | instskip(NEXT) | instid1(VALU_DEP_4)
	v_pk_fma_f16 v1, v122, v3, v1
	v_pk_fma_f16 v2, v123, v3, v2
	s_delay_alu instid0(VALU_DEP_4) | instskip(NEXT) | instid1(VALU_DEP_3)
	v_mul_u32_u24_e32 v6, 0x10001, v6
	v_pk_fma_f16 v1, v124, v4, v1
	s_delay_alu instid0(VALU_DEP_3) | instskip(NEXT) | instid1(VALU_DEP_2)
	v_pk_fma_f16 v7, v125, v4, v2
	v_pk_fma_f16 v10, v126, v5, v1
	ds_load_b128 v[1:4], v50 offset:64
	v_pk_fma_f16 v5, v127, v5, v7
	v_pk_fma_f16 v7, v128, v6, v10
	v_and_b32_e32 v10, 0xffff, v77
	s_delay_alu instid0(VALU_DEP_3) | instskip(NEXT) | instid1(VALU_DEP_3)
	v_pk_fma_f16 v12, v129, v6, v5
	v_pk_fma_f16 v13, v130, v9, v7
	ds_load_2addr_b64 v[5:8], v38 offset1:32
	v_pk_fma_f16 v9, v131, v9, v12
	v_mul_u32_u24_e32 v15, 0x10001, v10
	v_pk_fma_f16 v10, v132, v11, v13
	v_mul_u32_u24_e32 v13, 0x10001, v14
	s_delay_alu instid0(VALU_DEP_4) | instskip(NEXT) | instid1(VALU_DEP_3)
	v_pk_fma_f16 v14, v133, v11, v9
	v_pk_fma_f16 v39, v134, v15, v10
	s_wait_dscnt 0x1
	v_and_b32_e32 v41, 0xffff, v1
	s_delay_alu instid0(VALU_DEP_3)
	v_pk_fma_f16 v14, v135, v15, v14
	ds_load_2addr_b64 v[9:12], v38 offset0:64 offset1:96
	ds_load_b128 v[70:73], v50 offset:80
	v_lshrrev_b32_e32 v1, 16, v1
	v_pk_fma_f16 v15, v136, v13, v39
	v_mul_u32_u24_e32 v39, 0x10001, v41
	v_pk_fma_f16 v13, v137, v13, v14
	ds_load_2addr_b64 v[74:77], v38 offset0:128 offset1:160
	v_and_b32_e32 v14, 0xffff, v2
	v_mul_u32_u24_e32 v1, 0x10001, v1
	s_wait_dscnt 0x3
	v_pk_fma_f16 v5, v5, v39, v15
	v_pk_fma_f16 v6, v6, v39, v13
	v_lshrrev_b32_e32 v2, 16, v2
	v_mul_u32_u24_e32 v13, 0x10001, v14
	v_and_b32_e32 v15, 0xffff, v3
	v_pk_fma_f16 v14, v7, v1, v5
	v_pk_fma_f16 v1, v8, v1, v6
	ds_load_2addr_b64 v[5:8], v38 offset0:192 offset1:224
	v_mul_u32_u24_e32 v2, 0x10001, v2
	v_lshrrev_b32_e32 v3, 16, v3
	ds_load_2addr_b64 v[78:81], v65 offset1:32
	s_wait_dscnt 0x4
	v_pk_fma_f16 v9, v9, v13, v14
	v_pk_fma_f16 v1, v10, v13, v1
	v_mul_u32_u24_e32 v13, 0x10001, v15
	v_mul_u32_u24_e32 v3, 0x10001, v3
	s_wait_dscnt 0x3
	v_and_b32_e32 v41, 0xffff, v70
	v_pk_fma_f16 v14, v11, v2, v9
	v_pk_fma_f16 v1, v12, v2, v1
	ds_load_2addr_b64 v[9:12], v69 offset1:32
	v_and_b32_e32 v2, 0xffff, v4
	s_wait_dscnt 0x3
	v_pk_fma_f16 v14, v74, v13, v14
	v_pk_fma_f16 v1, v75, v13, v1
	v_lshrrev_b32_e32 v13, 16, v4
	v_mul_u32_u24_e32 v15, 0x10001, v2
	s_delay_alu instid0(VALU_DEP_4) | instskip(NEXT) | instid1(VALU_DEP_4)
	v_pk_fma_f16 v14, v76, v3, v14
	v_pk_fma_f16 v39, v77, v3, v1
	ds_load_2addr_b64 v[1:4], v69 offset0:64 offset1:96
	v_mul_u32_u24_e32 v13, 0x10001, v13
	ds_load_b128 v[74:77], v50 offset:96
	s_wait_dscnt 0x4
	v_pk_fma_f16 v5, v5, v15, v14
	v_pk_fma_f16 v6, v6, v15, v39
	v_lshrrev_b32_e32 v14, 16, v70
	v_mul_u32_u24_e32 v15, 0x10001, v41
	v_and_b32_e32 v41, 0xffff, v71
	v_pk_fma_f16 v39, v7, v13, v5
	v_pk_fma_f16 v13, v8, v13, v6
	ds_load_2addr_b64 v[5:8], v69 offset0:128 offset1:160
	v_mul_u32_u24_e32 v14, 0x10001, v14
	s_wait_dscnt 0x3
	v_pk_fma_f16 v9, v9, v15, v39
	v_pk_fma_f16 v10, v10, v15, v13
	v_lshrrev_b32_e32 v13, 16, v71
	v_mul_u32_u24_e32 v15, 0x10001, v41
	v_and_b32_e32 v41, 0xffff, v72
	v_pk_fma_f16 v39, v11, v14, v9
	v_pk_fma_f16 v14, v12, v14, v10
	ds_load_2addr_b64 v[9:12], v69 offset0:192 offset1:224
	v_mul_u32_u24_e32 v13, 0x10001, v13
	s_wait_dscnt 0x3
	v_pk_fma_f16 v1, v1, v15, v39
	v_pk_fma_f16 v2, v2, v15, v14
	v_lshrrev_b32_e32 v14, 16, v72
	v_mul_u32_u24_e32 v15, 0x10001, v41
	v_and_b32_e32 v41, 0xffff, v73
	v_pk_fma_f16 v39, v3, v13, v1
	v_pk_fma_f16 v13, v4, v13, v2
	ds_load_2addr_b64 v[1:4], v66 offset1:32
	v_mul_u32_u24_e32 v14, 0x10001, v14
	ds_load_2addr_b64 v[69:72], v66 offset0:64 offset1:96
	s_wait_dscnt 0x3
	v_pk_fma_f16 v5, v5, v15, v39
	v_pk_fma_f16 v6, v6, v15, v13
	v_lshrrev_b32_e32 v13, 16, v73
	v_mul_u32_u24_e32 v15, 0x10001, v41
	s_delay_alu instid0(VALU_DEP_4) | instskip(NEXT) | instid1(VALU_DEP_4)
	v_pk_fma_f16 v39, v7, v14, v5
	v_pk_fma_f16 v14, v8, v14, v6
	ds_load_b128 v[5:8], v50 offset:112
	v_and_b32_e32 v41, 0xffff, v74
	v_mul_u32_u24_e32 v13, 0x10001, v13
	s_wait_dscnt 0x3
	v_pk_fma_f16 v9, v9, v15, v39
	v_pk_fma_f16 v10, v10, v15, v14
	v_lshrrev_b32_e32 v14, 16, v74
	v_mul_u32_u24_e32 v15, 0x10001, v41
	v_and_b32_e32 v41, 0xffff, v75
	v_pk_fma_f16 v39, v11, v13, v9
	v_pk_fma_f16 v13, v12, v13, v10
	ds_load_2addr_b64 v[9:12], v66 offset0:128 offset1:160
	v_mul_u32_u24_e32 v14, 0x10001, v14
	s_wait_dscnt 0x3
	v_pk_fma_f16 v1, v1, v15, v39
	v_pk_fma_f16 v2, v2, v15, v13
	v_lshrrev_b32_e32 v13, 16, v75
	v_mul_u32_u24_e32 v15, 0x10001, v41
	v_and_b32_e32 v41, 0xffff, v76
	v_pk_fma_f16 v39, v3, v14, v1
	v_pk_fma_f16 v14, v4, v14, v2
	ds_load_2addr_b64 v[1:4], v66 offset0:192 offset1:224
	v_mul_u32_u24_e32 v13, 0x10001, v13
	v_mul_u32_u24_e32 v41, 0x10001, v41
	s_wait_dscnt 0x3
	v_pk_fma_f16 v39, v69, v15, v39
	v_pk_fma_f16 v14, v70, v15, v14
	v_lshrrev_b32_e32 v15, 16, v76
	ds_load_2addr_b64 v[73:76], v65 offset0:128 offset1:160
	v_pk_fma_f16 v39, v71, v13, v39
	v_pk_fma_f16 v13, v72, v13, v14
	v_and_b32_e32 v14, 0xffff, v77
	v_mul_u32_u24_e32 v15, 0x10001, v15
	ds_load_2addr_b64 v[69:72], v65 offset0:64 offset1:96
	s_wait_dscnt 0x3
	v_pk_fma_f16 v9, v9, v41, v39
	v_pk_fma_f16 v10, v10, v41, v13
	v_lshrrev_b32_e32 v13, 16, v77
	v_mul_u32_u24_e32 v14, 0x10001, v14
	v_and_b32_e32 v41, 0xffff, v5
	v_pk_fma_f16 v39, v11, v15, v9
	v_pk_fma_f16 v15, v12, v15, v10
	v_mul_u32_u24_e32 v13, 0x10001, v13
	v_lshrrev_b32_e32 v5, 16, v5
	ds_load_2addr_b64 v[9:12], v65 offset0:192 offset1:224
	s_wait_dscnt 0x3
	v_pk_fma_f16 v1, v1, v14, v39
	v_pk_fma_f16 v2, v2, v14, v15
	v_mul_u32_u24_e32 v14, 0x10001, v41
	s_wait_loadcnt_dscnt 0x0
	s_barrier_signal -1
	v_pk_fma_f16 v1, v3, v13, v1
	v_pk_fma_f16 v2, v4, v13, v2
	v_and_b32_e32 v3, 0xffff, v6
	v_mul_u32_u24_e32 v4, 0x10001, v5
	v_lshrrev_b32_e32 v5, 16, v6
	v_pk_fma_f16 v1, v78, v14, v1
	v_pk_fma_f16 v2, v79, v14, v2
	v_mul_u32_u24_e32 v3, 0x10001, v3
	s_barrier_wait -1
	v_mul_u32_u24_e32 v5, 0x10001, v5
	v_pk_fma_f16 v1, v80, v4, v1
	v_pk_fma_f16 v2, v81, v4, v2
	v_and_b32_e32 v4, 0xffff, v7
	global_inv scope:SCOPE_SE
	s_load_b32 s21, s[24:25], 0x4
	v_pk_fma_f16 v1, v69, v3, v1
	v_pk_fma_f16 v2, v70, v3, v2
	v_lshrrev_b32_e32 v3, 16, v7
	v_mul_u32_u24_e32 v4, 0x10001, v4
	s_delay_alu instid0(VALU_DEP_4) | instskip(NEXT) | instid1(VALU_DEP_4)
	v_pk_fma_f16 v1, v71, v5, v1
	v_pk_fma_f16 v2, v72, v5, v2
	v_and_b32_e32 v5, 0xffff, v8
	v_mul_u32_u24_e32 v3, 0x10001, v3
	s_delay_alu instid0(VALU_DEP_4) | instskip(NEXT) | instid1(VALU_DEP_4)
	v_pk_fma_f16 v1, v73, v4, v1
	v_pk_fma_f16 v2, v74, v4, v2
	v_lshrrev_b32_e32 v4, 16, v8
	v_mul_u32_u24_e32 v5, 0x10001, v5
	s_delay_alu instid0(VALU_DEP_4) | instskip(NEXT) | instid1(VALU_DEP_4)
	v_pk_fma_f16 v1, v75, v3, v1
	v_pk_fma_f16 v2, v76, v3, v2
	v_add_f32_e32 v3, v67, v68
	v_mul_u32_u24_e32 v4, 0x10001, v4
	s_wait_kmcnt 0x0
	s_lshl_b32 s21, s21, 6
	v_pk_fma_f16 v1, v9, v5, v1
	v_pk_fma_f16 v2, v10, v5, v2
	v_fmac_f32_e32 v3, v63, v0
	s_wait_alu 0xfffe
	s_add_co_i32 s20, s21, s20
	v_pk_fma_f16 v39, v11, v4, v1
	v_pk_fma_f16 v41, v12, v4, v2
	s_wait_alu 0xfffe
	s_cmp_lt_i32 s20, s3
	s_cbranch_scc0 .LBB65_16
; %bb.14:                               ;   in Loop: Header=BB65_8 Depth=1
	v_dual_mov_b32 v64, v18 :: v_dual_mov_b32 v63, v3
	s_branch .LBB65_8
.LBB65_15:
	v_dual_mov_b32 v41, 0 :: v_dual_mov_b32 v18, 0xfeffffff
	v_mov_b32_e32 v39, 0
.LBB65_16:
	s_cmp_gt_i32 s2, s20
	s_cbranch_scc1 .LBB65_19
; %bb.17:
	v_mbcnt_lo_u32_b32 v1, -1, 0
	v_mov_b32_e32 v0, 32
	s_delay_alu instid0(VALU_DEP_2)
	v_xor_b32_e32 v5, 16, v1
	v_xor_b32_e32 v4, 8, v1
	;; [unrolled: 1-line block ×5, first 2 shown]
	s_cbranch_execz .LBB65_20
; %bb.18:
	v_mov_b32_e32 v37, v1
	s_branch .LBB65_30
.LBB65_19:
                                        ; implicit-def: $vgpr1
                                        ; implicit-def: $vgpr0
                                        ; implicit-def: $vgpr5
                                        ; implicit-def: $vgpr4
                                        ; implicit-def: $vgpr6
                                        ; implicit-def: $vgpr7
                                        ; implicit-def: $vgpr8
.LBB65_20:
	v_lshl_add_u32 v13, v40, 2, v49
	s_ashr_i32 s21, s20, 31
	s_ashr_i32 s5, s4, 31
	s_sub_co_i32 s9, s2, s20
	s_wait_alu 0xfffe
	s_mul_u64 s[26:27], s[20:21], s[4:5]
	v_mul_lo_u32 v5, s4, v13
	s_lshl_b32 s4, s4, 4
	s_wait_alu 0xfffe
	s_lshl_b64 s[2:3], s[26:27], 2
	s_mov_b32 s36, 0
	s_add_nc_u64 s[6:7], s[6:7], s[2:3]
	s_mov_b32 s37, s36
	s_mov_b32 s38, s36
	v_lshlrev_b32_e32 v14, 2, v48
	v_ashrrev_i32_e32 v6, 31, v5
	v_add_nc_u32_e32 v10, s4, v5
	v_cmp_gt_i32_e64 s2, s9, v13
	s_mov_b64 s[24:25], src_private_base
	s_cmp_lg_u64 s[34:35], 0
	v_lshlrev_b64_e32 v[0:1], 2, v[5:6]
	v_ashrrev_i32_e32 v11, 31, v10
	v_add_nc_u32_e32 v15, 32, v13
	s_delay_alu instid0(VALU_DEP_3) | instskip(NEXT) | instid1(VALU_DEP_3)
	v_add_co_u32 v0, vcc_lo, s6, v0
	v_lshlrev_b64_e32 v[11:12], 2, v[10:11]
	s_wait_alu 0xfffd
	v_add_co_ci_u32_e64 v1, null, s7, v1, vcc_lo
	s_delay_alu instid0(VALU_DEP_3) | instskip(SKIP_2) | instid1(VALU_DEP_3)
	v_add_co_u32 v23, vcc_lo, v0, v14
	v_add_nc_u32_e32 v10, s4, v10
	s_wait_alu 0xfffd
	v_add_co_ci_u32_e64 v24, null, 0, v1, vcc_lo
	v_add_co_u32 v5, vcc_lo, s6, v11
	s_wait_alu 0xfffd
	v_add_co_ci_u32_e64 v11, null, s7, v12, vcc_lo
	v_add_nc_u32_e32 v12, 16, v13
	v_dual_mov_b32 v0, s36 :: v_dual_mov_b32 v1, s37
	v_add_co_u32 v25, vcc_lo, v5, v14
	s_wait_alu 0xfffd
	v_add_co_ci_u32_e64 v26, null, 0, v11, vcc_lo
	v_cmp_gt_i32_e32 vcc_lo, s9, v12
	v_mov_b32_e32 v4, 0
	v_mov_b32_e32 v2, s38
	s_wait_alu 0xfffe
	v_cndmask_b32_e64 v7, s25, v24, s2
	v_cndmask_b32_e64 v6, 0, v23, s2
	s_wait_alu 0xfffd
	v_cndmask_b32_e32 v11, 0, v25, vcc_lo
	s_clause 0x1
	scratch_store_b32 off, v4, off
	scratch_store_b96 off, v[0:2], off offset:4
	v_mad_u32_u24 v5, 0x90, v13, v14
	v_cndmask_b32_e32 v12, s25, v26, vcc_lo
	flat_load_b128 v[6:9], v[6:7]
	s_clause 0x1
	scratch_store_b32 off, v4, off
	scratch_store_b96 off, v[0:2], off offset:4
	v_add_co_u32 v23, s5, 0x80, v23
	s_wait_alu 0xf1ff
	v_add_co_ci_u32_e64 v24, null, 0, v24, s5
	s_delay_alu instid0(VALU_DEP_2) | instskip(NEXT) | instid1(VALU_DEP_2)
	v_cndmask_b32_e64 v23, 0, v23, s2
	v_cndmask_b32_e64 v24, s25, v24, s2
	s_wait_loadcnt_dscnt 0x0
	ds_store_b128 v5, v[6:9]
	flat_load_b128 v[6:9], v[11:12]
	v_ashrrev_i32_e32 v11, 31, v10
	s_clause 0x1
	scratch_store_b32 off, v4, off
	scratch_store_b96 off, v[0:2], off offset:4
	v_lshlrev_b64_e32 v[11:12], 2, v[10:11]
	v_add_nc_u32_e32 v10, s4, v10
	s_delay_alu instid0(VALU_DEP_2) | instskip(SKIP_1) | instid1(VALU_DEP_3)
	v_add_co_u32 v11, s3, s6, v11
	s_wait_alu 0xf1ff
	v_add_co_ci_u32_e64 v12, null, s7, v12, s3
	s_delay_alu instid0(VALU_DEP_2) | instskip(SKIP_1) | instid1(VALU_DEP_2)
	v_add_co_u32 v27, s3, v11, v14
	s_wait_alu 0xf1ff
	v_add_co_ci_u32_e64 v28, null, 0, v12, s3
	v_cmp_gt_i32_e64 s3, s9, v15
	s_wait_alu 0xf1ff
	s_delay_alu instid0(VALU_DEP_1)
	v_cndmask_b32_e64 v12, s25, v28, s3
	v_cndmask_b32_e64 v11, 0, v27, s3
	s_wait_loadcnt_dscnt 0x0
	ds_store_b128 v5, v[6:9] offset:2304
	flat_load_b128 v[6:9], v[11:12]
	v_ashrrev_i32_e32 v11, 31, v10
	v_add_nc_u32_e32 v12, 48, v13
	s_clause 0x1
	scratch_store_b32 off, v4, off
	scratch_store_b96 off, v[0:2], off offset:4
	v_lshlrev_b64_e32 v[10:11], 2, v[10:11]
	s_delay_alu instid0(VALU_DEP_1) | instskip(SKIP_1) | instid1(VALU_DEP_2)
	v_add_co_u32 v10, s4, s6, v10
	s_wait_alu 0xf1ff
	v_add_co_ci_u32_e64 v11, null, s7, v11, s4
	s_delay_alu instid0(VALU_DEP_2) | instskip(SKIP_1) | instid1(VALU_DEP_2)
	v_add_co_u32 v29, s4, v10, v14
	s_wait_alu 0xf1ff
	v_add_co_ci_u32_e64 v30, null, 0, v11, s4
	v_cmp_gt_i32_e64 s4, s9, v12
	s_wait_alu 0xf1ff
	s_delay_alu instid0(VALU_DEP_1)
	v_cndmask_b32_e64 v11, s25, v30, s4
	v_cndmask_b32_e64 v10, 0, v29, s4
	s_wait_loadcnt_dscnt 0x0
	ds_store_b128 v5, v[6:9] offset:4608
	flat_load_b128 v[6:9], v[10:11]
	v_dual_mov_b32 v11, 0 :: v_dual_mov_b32 v10, 0
	s_wait_loadcnt_dscnt 0x0
	ds_store_b128 v5, v[6:9] offset:6912
	s_wait_storecnt_dscnt 0x0
	s_barrier_signal -1
	s_barrier_wait -1
	global_inv scope:SCOPE_SE
	ds_load_b128 v[6:9], v47
	ds_load_b128 v[12:15], v46
	ds_load_b128 v[19:22], v47 offset:4608
	s_wait_dscnt 0x1
	;;#ASMSTART
	v_dot2_f32_f16 v11, v6, v12, v11
	;;#ASMEND
	;;#ASMSTART
	v_dot2_f32_f16 v11, v7, v13, v11
	;;#ASMEND
	;;#ASMSTART
	v_dot2_f32_f16 v11, v8, v14, v11
	;;#ASMEND
	;;#ASMSTART
	v_dot2_f32_f16 v11, v9, v15, v11
	;;#ASMEND
	s_wait_dscnt 0x0
	;;#ASMSTART
	v_dot2_f32_f16 v10, v19, v12, v10
	;;#ASMEND
	;;#ASMSTART
	v_dot2_f32_f16 v10, v20, v13, v10
	;;#ASMEND
	;;#ASMSTART
	v_dot2_f32_f16 v10, v21, v14, v10
	;;#ASMEND
	;;#ASMSTART
	v_dot2_f32_f16 v10, v22, v15, v10
	;;#ASMEND
	ds_load_b128 v[6:9], v47 offset:16
	ds_load_b128 v[12:15], v46 offset:16
	ds_load_b128 v[19:22], v47 offset:4624
	s_wait_dscnt 0x1
	;;#ASMSTART
	v_dot2_f32_f16 v11, v6, v12, v11
	;;#ASMEND
	;;#ASMSTART
	v_dot2_f32_f16 v11, v7, v13, v11
	;;#ASMEND
	;;#ASMSTART
	v_dot2_f32_f16 v11, v8, v14, v11
	;;#ASMEND
	;;#ASMSTART
	v_dot2_f32_f16 v11, v9, v15, v11
	;;#ASMEND
	s_wait_dscnt 0x0
	;;#ASMSTART
	v_dot2_f32_f16 v10, v19, v12, v10
	;;#ASMEND
	;;#ASMSTART
	v_dot2_f32_f16 v10, v20, v13, v10
	;;#ASMEND
	;;#ASMSTART
	v_dot2_f32_f16 v10, v21, v14, v10
	;;#ASMEND
	;;#ASMSTART
	v_dot2_f32_f16 v10, v22, v15, v10
	;;#ASMEND
	ds_load_b128 v[6:9], v47 offset:32
	ds_load_b128 v[12:15], v46 offset:32
	;; [unrolled: 29-line block ×7, first 2 shown]
	ds_load_b128 v[19:22], v47 offset:4720
	s_wait_dscnt 0x1
	;;#ASMSTART
	v_dot2_f32_f16 v11, v6, v12, v11
	;;#ASMEND
	;;#ASMSTART
	v_dot2_f32_f16 v11, v7, v13, v11
	;;#ASMEND
	;; [unrolled: 3-line block ×4, first 2 shown]
	s_wait_dscnt 0x0
	;;#ASMSTART
	v_dot2_f32_f16 v10, v19, v12, v10
	;;#ASMEND
	;;#ASMSTART
	v_dot2_f32_f16 v10, v20, v13, v10
	;;#ASMEND
	;; [unrolled: 3-line block ×4, first 2 shown]
	s_wait_loadcnt 0x0
	s_barrier_signal -1
	s_barrier_wait -1
	global_inv scope:SCOPE_SE
	s_clause 0x1
	scratch_store_b32 off, v4, off
	scratch_store_b96 off, v[0:2], off offset:4
	flat_load_b128 v[6:9], v[23:24]
	v_add_co_u32 v12, s2, 0x80, v25
	s_wait_alu 0xf1ff
	v_add_co_ci_u32_e64 v13, null, 0, v26, s2
	s_clause 0x1
	scratch_store_b32 off, v4, off
	scratch_store_b96 off, v[0:2], off offset:4
	v_cndmask_b32_e32 v12, 0, v12, vcc_lo
	s_mov_b32 s2, exec_lo
	v_cndmask_b32_e32 v13, s25, v13, vcc_lo
	s_wait_loadcnt_dscnt 0x0
	ds_store_b128 v5, v[6:9]
	flat_load_b128 v[6:9], v[12:13]
	v_add_co_u32 v12, vcc_lo, 0x80, v27
	s_wait_alu 0xfffd
	v_add_co_ci_u32_e64 v13, null, 0, v28, vcc_lo
	s_clause 0x1
	scratch_store_b32 off, v4, off
	scratch_store_b96 off, v[0:2], off offset:4
	v_cndmask_b32_e64 v12, 0, v12, s3
	v_cndmask_b32_e64 v13, s25, v13, s3
	s_cselect_b32 s3, -1, 0
	s_wait_loadcnt_dscnt 0x0
	ds_store_b128 v5, v[6:9] offset:2304
	flat_load_b128 v[6:9], v[12:13]
	v_add_co_u32 v12, vcc_lo, 0x80, v29
	s_wait_alu 0xfffd
	v_add_co_ci_u32_e64 v13, null, 0, v30, vcc_lo
	s_clause 0x1
	scratch_store_b32 off, v4, off
	scratch_store_b96 off, v[0:2], off offset:4
	v_cndmask_b32_e64 v12, 0, v12, s4
	v_mad_co_u64_u32 v[0:1], null, v45, s33, s[20:21]
	v_cndmask_b32_e64 v13, s25, v13, s4
	v_mov_b32_e32 v2, v18
	s_wait_alu 0xfffe
	v_cndmask_b32_e64 v1, 0, 1, s3
	s_wait_loadcnt_dscnt 0x0
	ds_store_b128 v5, v[6:9] offset:4608
	flat_load_b128 v[6:9], v[12:13]
	s_wait_loadcnt_dscnt 0x0
	ds_store_b128 v5, v[6:9] offset:6912
	s_wait_storecnt_dscnt 0x0
	s_barrier_signal -1
	s_barrier_wait -1
	global_inv scope:SCOPE_SE
	ds_load_b128 v[5:8], v47
	ds_load_b128 v[12:15], v46 offset:128
	ds_load_b128 v[19:22], v47 offset:4608
	s_wait_dscnt 0x1
	;;#ASMSTART
	v_dot2_f32_f16 v11, v5, v12, v11
	;;#ASMEND
	;;#ASMSTART
	v_dot2_f32_f16 v11, v6, v13, v11
	;;#ASMEND
	;;#ASMSTART
	v_dot2_f32_f16 v11, v7, v14, v11
	;;#ASMEND
	;;#ASMSTART
	v_dot2_f32_f16 v11, v8, v15, v11
	;;#ASMEND
	s_wait_dscnt 0x0
	;;#ASMSTART
	v_dot2_f32_f16 v10, v19, v12, v10
	;;#ASMEND
	;;#ASMSTART
	v_dot2_f32_f16 v10, v20, v13, v10
	;;#ASMEND
	;;#ASMSTART
	v_dot2_f32_f16 v10, v21, v14, v10
	;;#ASMEND
	;;#ASMSTART
	v_dot2_f32_f16 v10, v22, v15, v10
	;;#ASMEND
	ds_load_b128 v[5:8], v47 offset:16
	ds_load_b128 v[12:15], v46 offset:144
	ds_load_b128 v[19:22], v47 offset:4624
	s_wait_dscnt 0x1
	;;#ASMSTART
	v_dot2_f32_f16 v11, v5, v12, v11
	;;#ASMEND
	;;#ASMSTART
	v_dot2_f32_f16 v11, v6, v13, v11
	;;#ASMEND
	;;#ASMSTART
	v_dot2_f32_f16 v11, v7, v14, v11
	;;#ASMEND
	;;#ASMSTART
	v_dot2_f32_f16 v11, v8, v15, v11
	;;#ASMEND
	s_wait_dscnt 0x0
	;;#ASMSTART
	v_dot2_f32_f16 v10, v19, v12, v10
	;;#ASMEND
	;;#ASMSTART
	v_dot2_f32_f16 v10, v20, v13, v10
	;;#ASMEND
	;;#ASMSTART
	v_dot2_f32_f16 v10, v21, v14, v10
	;;#ASMEND
	;;#ASMSTART
	v_dot2_f32_f16 v10, v22, v15, v10
	;;#ASMEND
	ds_load_b128 v[5:8], v47 offset:32
	;; [unrolled: 29-line block ×7, first 2 shown]
	ds_load_b128 v[12:15], v46 offset:240
	ds_load_b128 v[19:22], v47 offset:4720
	s_wait_dscnt 0x1
	;;#ASMSTART
	v_dot2_f32_f16 v11, v5, v12, v11
	;;#ASMEND
	;;#ASMSTART
	v_dot2_f32_f16 v11, v6, v13, v11
	;;#ASMEND
	;; [unrolled: 3-line block ×4, first 2 shown]
	s_wait_dscnt 0x0
	;;#ASMSTART
	v_dot2_f32_f16 v10, v19, v12, v10
	;;#ASMEND
	;;#ASMSTART
	v_dot2_f32_f16 v10, v20, v13, v10
	;;#ASMEND
	;; [unrolled: 3-line block ×4, first 2 shown]
	v_cmpx_gt_i32_e64 s9, v17
	s_cbranch_execz .LBB65_24
; %bb.21:
	s_and_not1_b32 vcc_lo, exec_lo, s3
	s_wait_alu 0xfffe
	s_cbranch_vccnz .LBB65_23
; %bb.22:
	v_add_nc_u32_e32 v4, v0, v17
	s_delay_alu instid0(VALU_DEP_1) | instskip(NEXT) | instid1(VALU_DEP_1)
	v_ashrrev_i32_e32 v5, 31, v4
	v_lshlrev_b64_e32 v[4:5], 1, v[4:5]
	s_delay_alu instid0(VALU_DEP_1) | instskip(SKIP_1) | instid1(VALU_DEP_2)
	v_add_co_u32 v4, vcc_lo, s34, v4
	s_wait_alu 0xfffd
	v_add_co_ci_u32_e64 v5, null, s35, v5, vcc_lo
	global_load_u16 v2, v[4:5], off
	s_wait_loadcnt 0x0
	v_cvt_f32_f16_e32 v2, v2
	s_delay_alu instid0(VALU_DEP_1)
	v_mul_f32_e32 v4, v42, v2
.LBB65_23:
	s_delay_alu instid0(VALU_DEP_1) | instskip(NEXT) | instid1(VALU_DEP_1)
	v_dual_add_f32 v11, v11, v4 :: v_dual_max_num_f32 v4, v18, v18
	v_add_f32_e32 v2, 0x40051340, v11
	s_delay_alu instid0(VALU_DEP_1)
	v_max_num_f32_e32 v2, v4, v2
.LBB65_24:
	s_or_b32 exec_lo, exec_lo, s2
	v_add_nc_u32_e32 v13, 32, v17
	s_mov_b32 s2, exec_lo
	s_delay_alu instid0(VALU_DEP_1)
	v_cmpx_gt_i32_e64 s9, v13
	s_cbranch_execz .LBB65_29
; %bb.25:
	v_cmp_ne_u32_e32 vcc_lo, 1, v1
	s_cbranch_vccnz .LBB65_27
; %bb.26:
	v_ashrrev_i32_e32 v1, 31, v0
	v_add_co_u32 v0, vcc_lo, v0, v17
	s_wait_alu 0xfffd
	s_delay_alu instid0(VALU_DEP_2) | instskip(NEXT) | instid1(VALU_DEP_1)
	v_add_co_ci_u32_e64 v1, null, 0, v1, vcc_lo
	v_lshlrev_b64_e32 v[0:1], 1, v[0:1]
	s_delay_alu instid0(VALU_DEP_1) | instskip(SKIP_1) | instid1(VALU_DEP_2)
	v_add_co_u32 v0, vcc_lo, s34, v0
	s_wait_alu 0xfffd
	v_add_co_ci_u32_e64 v1, null, s35, v1, vcc_lo
	global_load_u16 v0, v[0:1], off offset:64
	s_wait_loadcnt 0x0
	v_cvt_f32_f16_e32 v0, v0
	s_delay_alu instid0(VALU_DEP_1)
	v_mul_f32_e32 v0, v42, v0
	s_branch .LBB65_28
.LBB65_27:
	v_mov_b32_e32 v0, 0
.LBB65_28:
	s_delay_alu instid0(VALU_DEP_1) | instskip(SKIP_1) | instid1(VALU_DEP_2)
	v_add_f32_e32 v10, v10, v0
	v_max_num_f32_e32 v1, v2, v2
	v_add_f32_e32 v0, 0x40051340, v10
	s_delay_alu instid0(VALU_DEP_1)
	v_max_num_f32_e32 v2, v1, v0
.LBB65_29:
	s_wait_alu 0xfffe
	s_or_b32 exec_lo, exec_lo, s2
	v_xor_b32_e32 v5, 16, v37
	v_xor_b32_e32 v4, 8, v37
	;; [unrolled: 1-line block ×5, first 2 shown]
	v_cmp_gt_i32_e32 vcc_lo, 32, v5
	s_mov_b32 s4, 0
	v_lshl_add_u32 v29, v40, 1, v43
	s_wait_alu 0xfffe
	s_mov_b32 s5, s4
	s_mov_b32 s6, s4
	s_wait_alu 0xfffd
	v_dual_cndmask_b32 v0, v37, v5 :: v_dual_max_num_f32 v1, v2, v2
	v_cmp_gt_i32_e32 vcc_lo, 32, v4
	s_mov_b64 s[2:3], src_private_base
	v_mul_lo_u32 v24, s10, v29
	s_delay_alu instid0(VALU_DEP_3)
	v_lshlrev_b32_e32 v0, 2, v0
	s_lshl_b32 s2, s10, 3
	s_ashr_i32 s11, s10, 31
	v_lshlrev_b32_e32 v12, 7, v40
	s_wait_alu 0xfffe
	s_mul_u64 s[24:25], s[20:21], s[10:11]
	ds_bpermute_b32 v0, v0, v2
	s_wait_alu 0xfffd
	v_cndmask_b32_e32 v2, v37, v4, vcc_lo
	v_cmp_gt_i32_e32 vcc_lo, 32, v6
	v_ashrrev_i32_e32 v25, 31, v24
	s_wait_loadcnt_dscnt 0x0
	s_barrier_signal -1
	v_lshlrev_b32_e32 v2, 2, v2
	s_barrier_wait -1
	v_lshlrev_b64_e32 v[25:26], 2, v[24:25]
	global_inv scope:SCOPE_SE
	v_add_nc_u32_e32 v40, 8, v29
	v_lshlrev_b32_e32 v21, 1, v17
	v_lshlrev_b32_e32 v15, 2, v44
	v_add_nc_u32_e32 v117, 16, v29
	v_add_nc_u32_e32 v119, 24, v29
	s_delay_alu instid0(VALU_DEP_4) | instskip(NEXT) | instid1(VALU_DEP_4)
	v_add3_u32 v21, 0x2800, v12, v21
	v_lshl_or_b32 v116, v29, 8, v15
	v_lshl_or_b32 v118, v40, 8, v15
	v_lshl_or_b32 v120, v117, 8, v15
	v_max_num_f32_e32 v0, v0, v0
	v_lshl_or_b32 v122, v119, 8, v15
	s_delay_alu instid0(VALU_DEP_2)
	v_max_num_f32_e32 v0, v1, v0
	ds_bpermute_b32 v1, v2, v0
	s_wait_alu 0xfffd
	v_cndmask_b32_e32 v2, v37, v6, vcc_lo
	v_cmp_gt_i32_e32 vcc_lo, 32, v7
	s_wait_dscnt 0x0
	s_delay_alu instid0(VALU_DEP_2) | instskip(NEXT) | instid1(VALU_DEP_1)
	v_dual_max_num_f32 v1, v1, v1 :: v_dual_lshlrev_b32 v2, 2, v2
	v_max_num_f32_e32 v0, v0, v1
	ds_bpermute_b32 v1, v2, v0
	s_wait_alu 0xfffd
	v_cndmask_b32_e32 v2, v37, v7, vcc_lo
	v_cmp_gt_i32_e32 vcc_lo, 32, v8
	s_wait_dscnt 0x0
	s_delay_alu instid0(VALU_DEP_2) | instskip(NEXT) | instid1(VALU_DEP_1)
	v_dual_max_num_f32 v1, v1, v1 :: v_dual_lshlrev_b32 v2, 2, v2
	v_max_num_f32_e32 v0, v0, v1
	ds_bpermute_b32 v1, v2, v0
	s_wait_alu 0xfffd
	v_cndmask_b32_e32 v2, v37, v8, vcc_lo
	s_wait_dscnt 0x0
	s_delay_alu instid0(VALU_DEP_1) | instskip(NEXT) | instid1(VALU_DEP_1)
	v_dual_max_num_f32 v1, v1, v1 :: v_dual_lshlrev_b32 v2, 2, v2
	v_max_num_f32_e32 v0, v0, v1
	ds_bpermute_b32 v1, v2, v0
	s_wait_dscnt 0x0
	v_max_num_f32_e32 v1, v1, v1
	s_delay_alu instid0(VALU_DEP_1) | instskip(NEXT) | instid1(VALU_DEP_1)
	v_max_num_f32_e32 v9, v0, v1
	v_sub_f32_e32 v11, v11, v9
	s_delay_alu instid0(VALU_DEP_1) | instskip(SKIP_1) | instid1(VALU_DEP_2)
	v_mul_f32_e32 v0, 0x3fb8aa3b, v11
	v_cmp_ngt_f32_e32 vcc_lo, 0xc2ce8ed0, v11
	v_fma_f32 v2, 0x3fb8aa3b, v11, -v0
	v_rndne_f32_e32 v14, v0
	s_delay_alu instid0(VALU_DEP_2) | instskip(NEXT) | instid1(VALU_DEP_2)
	v_fmac_f32_e32 v2, 0x32a5705f, v11
	v_sub_f32_e32 v0, v0, v14
	v_cvt_i32_f32_e32 v14, v14
	s_delay_alu instid0(VALU_DEP_2) | instskip(NEXT) | instid1(VALU_DEP_1)
	v_add_f32_e32 v0, v0, v2
	v_exp_f32_e32 v22, v0
	s_delay_alu instid0(TRANS32_DEP_1) | instskip(SKIP_1) | instid1(VALU_DEP_1)
	v_ldexp_f32 v14, v22, v14
	s_wait_alu 0xfffd
	v_cndmask_b32_e32 v14, 0, v14, vcc_lo
	v_sub_f32_e32 v10, v10, v9
	s_delay_alu instid0(VALU_DEP_1) | instskip(SKIP_1) | instid1(VALU_DEP_2)
	v_mul_f32_e32 v1, 0x3fb8aa3b, v10
	v_cmp_ngt_f32_e32 vcc_lo, 0xc2ce8ed0, v10
	v_fma_f32 v19, 0x3fb8aa3b, v10, -v1
	v_rndne_f32_e32 v20, v1
	s_delay_alu instid0(VALU_DEP_2) | instskip(NEXT) | instid1(VALU_DEP_2)
	v_fmac_f32_e32 v19, 0x32a5705f, v10
	v_sub_f32_e32 v1, v1, v20
	v_cvt_i32_f32_e32 v20, v20
	s_delay_alu instid0(VALU_DEP_2) | instskip(SKIP_1) | instid1(VALU_DEP_2)
	v_add_f32_e32 v1, v1, v19
	v_mov_b32_e32 v19, 0
	v_exp_f32_e32 v23, v1
	v_dual_mov_b32 v0, s4 :: v_dual_mov_b32 v1, s5
	v_mov_b32_e32 v2, s6
	s_wait_alu 0xfffe
	s_lshl_b64 s[4:5], s[24:25], 2
	s_clause 0x1
	scratch_store_b32 off, v19, off
	scratch_store_b96 off, v[0:2], off offset:4
	s_wait_alu 0xfffe
	s_add_nc_u64 s[4:5], s[14:15], s[4:5]
	v_ldexp_f32 v20, v23, v20
	s_wait_alu 0xfffd
	s_delay_alu instid0(VALU_DEP_1)
	v_cndmask_b32_e32 v20, 0, v20, vcc_lo
	s_wait_alu 0xfffe
	v_add_co_u32 v22, vcc_lo, s4, v25
	s_wait_alu 0xfffd
	v_add_co_ci_u32_e64 v23, null, s5, v26, vcc_lo
	v_cmp_nlt_f32_e32 vcc_lo, 0x42b17218, v11
	s_wait_alu 0xfffd
	v_cndmask_b32_e32 v11, 0x7f800000, v14, vcc_lo
	v_cmp_nlt_f32_e32 vcc_lo, 0x42b17218, v10
	s_wait_alu 0xfffd
	v_cndmask_b32_e32 v14, 0x7f800000, v20, vcc_lo
	v_add_co_u32 v20, vcc_lo, v22, v15
	s_wait_alu 0xfffd
	v_add_co_ci_u32_e64 v22, null, 0, v23, vcc_lo
	v_cmp_gt_u32_e32 vcc_lo, s9, v17
	s_wait_alu 0xfffd
	v_cndmask_b32_e32 v10, 0, v11, vcc_lo
	v_cmp_gt_u32_e32 vcc_lo, s9, v13
	s_wait_alu 0xfffd
	v_cndmask_b32_e32 v11, 0, v14, vcc_lo
	v_cmp_gt_i32_e32 vcc_lo, s9, v29
	s_delay_alu instid0(VALU_DEP_2)
	v_cvt_f16_f32_e32 v23, v11
	s_wait_alu 0xfffd
	v_cndmask_b32_e32 v14, s3, v22, vcc_lo
	v_cvt_f16_f32_e32 v22, v10
	v_cndmask_b32_e32 v13, 0, v20, vcc_lo
	ds_store_b16 v21, v22
	ds_store_b16 v21, v23 offset:64
	flat_load_b128 v[20:23], v[13:14]
	v_add_nc_u32_e32 v13, s2, v24
	s_clause 0x1
	scratch_store_b32 off, v19, off
	scratch_store_b96 off, v[0:2], off offset:4
	v_ashrrev_i32_e32 v14, 31, v13
	s_delay_alu instid0(VALU_DEP_1) | instskip(SKIP_1) | instid1(VALU_DEP_2)
	v_lshlrev_b64_e32 v[110:111], 2, v[13:14]
	v_add_nc_u32_e32 v13, s2, v13
	v_add_co_u32 v14, vcc_lo, s4, v110
	s_wait_alu 0xfffd
	s_delay_alu instid0(VALU_DEP_3) | instskip(NEXT) | instid1(VALU_DEP_2)
	v_add_co_ci_u32_e64 v24, null, s5, v111, vcc_lo
	v_add_co_u32 v14, vcc_lo, v14, v15
	s_wait_alu 0xfffd
	s_delay_alu instid0(VALU_DEP_2) | instskip(SKIP_2) | instid1(VALU_DEP_2)
	v_add_co_ci_u32_e64 v24, null, 0, v24, vcc_lo
	v_cmp_gt_i32_e32 vcc_lo, s9, v40
	s_wait_alu 0xfffd
	v_cndmask_b32_e32 v28, s3, v24, vcc_lo
	v_cndmask_b32_e32 v27, 0, v14, vcc_lo
	v_ashrrev_i32_e32 v14, 31, v13
	s_delay_alu instid0(VALU_DEP_1) | instskip(SKIP_2) | instid1(VALU_DEP_2)
	v_lshlrev_b64_e32 v[112:113], 2, v[13:14]
	v_add_nc_u32_e32 v13, s2, v13
	s_sub_co_i32 s2, s9, 32
	v_add_co_u32 v14, vcc_lo, s4, v112
	s_wait_alu 0xfffd
	s_delay_alu instid0(VALU_DEP_3) | instskip(NEXT) | instid1(VALU_DEP_2)
	v_add_co_ci_u32_e64 v24, null, s5, v113, vcc_lo
	v_add_co_u32 v14, vcc_lo, v14, v15
	s_wait_alu 0xfffd
	s_delay_alu instid0(VALU_DEP_2)
	v_add_co_ci_u32_e64 v24, null, 0, v24, vcc_lo
	v_cmp_gt_i32_e32 vcc_lo, s9, v117
	s_wait_loadcnt_dscnt 0x0
	ds_store_b128 v116, v[20:23]
	flat_load_b128 v[20:23], v[27:28]
	s_wait_alu 0xfffd
	v_cndmask_b32_e32 v28, s3, v24, vcc_lo
	v_cndmask_b32_e32 v27, 0, v14, vcc_lo
	s_clause 0x1
	scratch_store_b32 off, v19, off
	scratch_store_b96 off, v[0:2], off offset:4
	v_ashrrev_i32_e32 v14, 31, v13
	s_delay_alu instid0(VALU_DEP_1) | instskip(NEXT) | instid1(VALU_DEP_1)
	v_lshlrev_b64_e32 v[114:115], 2, v[13:14]
	v_add_co_u32 v13, vcc_lo, s4, v114
	s_wait_alu 0xfffd
	s_delay_alu instid0(VALU_DEP_2)
	v_add_co_ci_u32_e64 v14, null, s5, v115, vcc_lo
	s_or_b32 s4, s20, 32
	v_add_co_u32 v13, vcc_lo, v13, v15
	s_wait_alu 0xfffd
	v_add_co_ci_u32_e64 v14, null, 0, v14, vcc_lo
	v_cmp_gt_i32_e32 vcc_lo, s9, v119
	s_wait_alu 0xfffe
	s_ashr_i32 s5, s4, 31
	s_wait_alu 0xfffe
	s_mul_u64 s[4:5], s[4:5], s[10:11]
	s_wait_alu 0xfffd
	v_cndmask_b32_e32 v14, s3, v14, vcc_lo
	v_cndmask_b32_e32 v13, 0, v13, vcc_lo
	s_wait_alu 0xfffe
	s_lshl_b64 s[4:5], s[4:5], 2
	v_add_f32_e32 v10, v10, v11
	s_wait_alu 0xfffe
	s_add_nc_u64 s[4:5], s[14:15], s[4:5]
	s_wait_loadcnt_dscnt 0x0
	ds_store_b128 v118, v[20:23]
	flat_load_b128 v[20:23], v[27:28]
	s_clause 0x1
	scratch_store_b32 off, v19, off
	scratch_store_b96 off, v[0:2], off offset:4
	s_wait_loadcnt_dscnt 0x0
	ds_store_b128 v120, v[20:23]
	flat_load_b128 v[20:23], v[13:14]
	s_wait_alu 0xfffe
	v_add_co_u32 v13, vcc_lo, s4, v25
	s_wait_alu 0xfffd
	v_add_co_ci_u32_e64 v14, null, s5, v26, vcc_lo
	s_delay_alu instid0(VALU_DEP_2) | instskip(SKIP_1) | instid1(VALU_DEP_2)
	v_add_co_u32 v24, vcc_lo, v13, v15
	s_wait_alu 0xfffd
	v_add_co_ci_u32_e64 v25, null, 0, v14, vcc_lo
	v_cmp_gt_i32_e32 vcc_lo, s2, v29
	v_add_nc_u32_e32 v121, 0x800, v38
	v_add_nc_u32_e32 v14, 0x1000, v38
	;; [unrolled: 1-line block ×3, first 2 shown]
	s_wait_alu 0xfffd
	v_cndmask_b32_e32 v107, s3, v25, vcc_lo
	v_cndmask_b32_e32 v106, 0, v24, vcc_lo
	v_add_co_u32 v110, vcc_lo, s4, v110
	s_wait_alu 0xfffd
	v_add_co_ci_u32_e64 v111, null, s5, v111, vcc_lo
	s_delay_alu instid0(VALU_DEP_2) | instskip(SKIP_1) | instid1(VALU_DEP_2)
	v_add_co_u32 v110, vcc_lo, v110, v15
	s_wait_alu 0xfffd
	v_add_co_ci_u32_e64 v111, null, 0, v111, vcc_lo
	v_cmp_gt_i32_e32 vcc_lo, s2, v40
	s_wait_alu 0xfffd
	s_delay_alu instid0(VALU_DEP_2)
	v_cndmask_b32_e32 v111, s3, v111, vcc_lo
	v_cndmask_b32_e32 v110, 0, v110, vcc_lo
	v_add_co_u32 v40, vcc_lo, s4, v112
	s_wait_loadcnt_dscnt 0x0
	ds_store_b128 v122, v[20:23]
	s_wait_storecnt_dscnt 0x0
	s_barrier_signal -1
	s_barrier_wait -1
	global_inv scope:SCOPE_SE
	ds_load_2addr_b64 v[20:23], v38 offset1:32
	ds_load_b128 v[24:27], v12 offset:10240
	ds_load_b128 v[28:31], v12 offset:10256
	;; [unrolled: 1-line block ×4, first 2 shown]
	ds_load_2addr_b64 v[46:49], v38 offset0:64 offset1:96
	ds_load_2addr_b64 v[50:53], v38 offset0:128 offset1:160
	ds_load_2addr_b64 v[54:57], v38 offset0:192 offset1:224
	ds_load_2addr_b64 v[58:61], v121 offset1:32
	ds_load_2addr_b64 v[62:65], v121 offset0:64 offset1:96
	ds_load_2addr_b64 v[66:69], v121 offset0:128 offset1:160
	ds_load_2addr_b64 v[70:73], v121 offset0:192 offset1:224
	ds_load_2addr_b64 v[74:77], v14 offset1:32
	;; [unrolled: 4-line block ×3, first 2 shown]
	ds_load_2addr_b64 v[94:97], v13 offset0:64 offset1:96
	ds_load_2addr_b64 v[98:101], v13 offset0:128 offset1:160
	;; [unrolled: 1-line block ×3, first 2 shown]
	s_wait_loadcnt_dscnt 0x0
	s_barrier_signal -1
	s_barrier_wait -1
	global_inv scope:SCOPE_SE
	s_clause 0x1
	scratch_store_b32 off, v19, off
	scratch_store_b96 off, v[0:2], off offset:4
	flat_load_b128 v[106:109], v[106:107]
	s_clause 0x1
	scratch_store_b32 off, v19, off
	scratch_store_b96 off, v[0:2], off offset:4
	s_wait_loadcnt_dscnt 0x0
	ds_store_b128 v116, v[106:109]
	flat_load_b128 v[106:109], v[110:111]
	s_wait_alu 0xfffd
	v_add_co_ci_u32_e64 v110, null, s5, v113, vcc_lo
	v_add_co_u32 v40, vcc_lo, v40, v15
	s_clause 0x1
	scratch_store_b32 off, v19, off
	scratch_store_b96 off, v[0:2], off offset:4
	s_wait_alu 0xfffd
	v_add_co_ci_u32_e64 v110, null, 0, v110, vcc_lo
	v_cmp_gt_i32_e32 vcc_lo, s2, v117
	s_wait_alu 0xfffd
	s_delay_alu instid0(VALU_DEP_2)
	v_cndmask_b32_e32 v111, s3, v110, vcc_lo
	v_cndmask_b32_e32 v110, 0, v40, vcc_lo
	v_add_co_u32 v40, vcc_lo, s4, v114
	s_wait_loadcnt_dscnt 0x0
	ds_store_b128 v118, v[106:109]
	flat_load_b128 v[106:109], v[110:111]
	s_wait_alu 0xfffd
	v_add_co_ci_u32_e64 v110, null, s5, v115, vcc_lo
	s_clause 0x1
	scratch_store_b32 off, v19, off
	scratch_store_b96 off, v[0:2], off offset:4
	v_sub_f32_e32 v0, v18, v9
	v_add_co_u32 v15, vcc_lo, v40, v15
	s_wait_alu 0xfffd
	v_add_co_ci_u32_e64 v40, null, 0, v110, vcc_lo
	v_cmp_gt_i32_e32 vcc_lo, s2, v119
	s_wait_alu 0xfffd
	v_dual_mul_f32 v1, 0x3fb8aa3b, v0 :: v_dual_cndmask_b32 v110, 0, v15
	s_delay_alu instid0(VALU_DEP_1) | instskip(SKIP_3) | instid1(VALU_DEP_3)
	v_fma_f32 v2, 0x3fb8aa3b, v0, -v1
	v_rndne_f32_e32 v15, v1
	v_cndmask_b32_e32 v111, s3, v40, vcc_lo
	v_cmp_ngt_f32_e32 vcc_lo, 0xc2ce8ed0, v0
	v_dual_fmac_f32 v2, 0x32a5705f, v0 :: v_dual_sub_f32 v1, v1, v15
	s_delay_alu instid0(VALU_DEP_1) | instskip(SKIP_2) | instid1(VALU_DEP_3)
	v_add_f32_e32 v1, v1, v2
	v_cvt_i32_f32_e32 v2, v15
	v_lshrrev_b32_e32 v15, 16, v24
	v_exp_f32_e32 v1, v1
	s_delay_alu instid0(VALU_DEP_1) | instskip(NEXT) | instid1(TRANS32_DEP_1)
	v_mul_u32_u24_e32 v15, 0x10001, v15
	v_ldexp_f32 v1, v1, v2
	s_wait_alu 0xfffd
	s_delay_alu instid0(VALU_DEP_1) | instskip(SKIP_1) | instid1(VALU_DEP_2)
	v_dual_cndmask_b32 v1, 0, v1 :: v_dual_and_b32 v2, 0xffff, v24
	v_cmp_nlt_f32_e32 vcc_lo, 0x42b17218, v0
	v_mul_u32_u24_e32 v2, 0x10001, v2
	s_wait_alu 0xfffd
	s_delay_alu instid0(VALU_DEP_3) | instskip(SKIP_1) | instid1(VALU_DEP_3)
	v_cndmask_b32_e32 v0, 0x7f800000, v1, vcc_lo
	v_and_b32_e32 v19, 0xffff, v25
	v_pk_mul_f16 v18, v20, v2
	v_pk_mul_f16 v2, v21, v2
	v_lshrrev_b32_e32 v20, 16, v25
	v_cvt_f16_f32_e32 v1, v0
	v_fmac_f32_e32 v10, v3, v0
	v_mov_b32_e32 v0, 32
	v_mul_u32_u24_e32 v19, 0x10001, v19
	v_mul_u32_u24_e32 v20, 0x10001, v20
	v_and_b32_e32 v1, 0xffff, v1
	v_and_b32_e32 v21, 0xffff, v44
	v_mov_b32_e32 v3, v10
	s_delay_alu instid0(VALU_DEP_3) | instskip(NEXT) | instid1(VALU_DEP_1)
	v_mul_u32_u24_e32 v1, 0x10001, v1
	v_pk_fma_f16 v18, v39, v1, v18
	v_pk_fma_f16 v1, v41, v1, v2
	s_delay_alu instid0(VALU_DEP_2) | instskip(NEXT) | instid1(VALU_DEP_2)
	v_pk_fma_f16 v2, v22, v15, v18
	v_pk_fma_f16 v1, v23, v15, v1
	v_and_b32_e32 v18, 0xffff, v26
	v_lshrrev_b32_e32 v15, 16, v26
	v_mul_u32_u24_e32 v26, 0x10001, v21
	v_pk_fma_f16 v2, v46, v19, v2
	v_pk_fma_f16 v1, v47, v19, v1
	v_mul_u32_u24_e32 v18, 0x10001, v18
	v_and_b32_e32 v19, 0xffff, v27
	v_mul_u32_u24_e32 v15, 0x10001, v15
	v_pk_fma_f16 v2, v48, v20, v2
	v_pk_fma_f16 v1, v49, v20, v1
	v_lshrrev_b32_e32 v20, 16, v27
	v_mul_u32_u24_e32 v19, 0x10001, v19
	v_lshrrev_b32_e32 v23, 16, v44
	v_pk_fma_f16 v2, v50, v18, v2
	v_pk_fma_f16 v1, v51, v18, v1
	v_and_b32_e32 v18, 0xffff, v28
	v_mul_u32_u24_e32 v20, 0x10001, v20
	v_mul_u32_u24_e32 v27, 0x10001, v23
	v_pk_fma_f16 v2, v52, v15, v2
	v_pk_fma_f16 v1, v53, v15, v1
	v_lshrrev_b32_e32 v15, 16, v28
	v_mul_u32_u24_e32 v18, 0x10001, v18
	v_lshrrev_b32_e32 v28, 16, v45
	v_pk_fma_f16 v2, v54, v19, v2
	v_pk_fma_f16 v1, v55, v19, v1
	v_and_b32_e32 v19, 0xffff, v29
	v_mul_u32_u24_e32 v15, 0x10001, v15
	s_delay_alu instid0(VALU_DEP_4) | instskip(NEXT) | instid1(VALU_DEP_4)
	v_pk_fma_f16 v2, v56, v20, v2
	v_pk_fma_f16 v1, v57, v20, v1
	v_lshrrev_b32_e32 v20, 16, v29
	v_mul_u32_u24_e32 v19, 0x10001, v19
	s_delay_alu instid0(VALU_DEP_4) | instskip(NEXT) | instid1(VALU_DEP_4)
	v_pk_fma_f16 v2, v58, v18, v2
	v_pk_fma_f16 v1, v59, v18, v1
	v_and_b32_e32 v18, 0xffff, v30
	v_mul_u32_u24_e32 v20, 0x10001, v20
	s_delay_alu instid0(VALU_DEP_4) | instskip(NEXT) | instid1(VALU_DEP_4)
	v_pk_fma_f16 v2, v60, v15, v2
	v_pk_fma_f16 v1, v61, v15, v1
	v_lshrrev_b32_e32 v15, 16, v30
	v_mul_u32_u24_e32 v18, 0x10001, v18
	s_delay_alu instid0(VALU_DEP_4) | instskip(NEXT) | instid1(VALU_DEP_4)
	;; [unrolled: 10-line block ×5, first 2 shown]
	v_pk_fma_f16 v2, v74, v18, v2
	v_pk_fma_f16 v1, v75, v18, v1
	v_and_b32_e32 v18, 0xffff, v34
	v_mul_u32_u24_e32 v20, 0x10001, v20
	s_delay_alu instid0(VALU_DEP_4) | instskip(NEXT) | instid1(VALU_DEP_4)
	v_pk_fma_f16 v2, v76, v15, v2
	v_pk_fma_f16 v1, v77, v15, v1
	v_lshrrev_b32_e32 v15, 16, v34
	v_mul_u32_u24_e32 v18, 0x10001, v18
	v_mul_u32_u24_e32 v34, 0x10001, v28
	v_pk_fma_f16 v2, v78, v19, v2
	v_pk_fma_f16 v1, v79, v19, v1
	v_and_b32_e32 v19, 0xffff, v35
	v_mul_u32_u24_e32 v15, 0x10001, v15
	s_delay_alu instid0(VALU_DEP_4) | instskip(NEXT) | instid1(VALU_DEP_4)
	v_pk_fma_f16 v2, v80, v20, v2
	v_pk_fma_f16 v1, v81, v20, v1
	v_lshrrev_b32_e32 v20, 16, v35
	v_mul_u32_u24_e32 v19, 0x10001, v19
	s_delay_alu instid0(VALU_DEP_4) | instskip(NEXT) | instid1(VALU_DEP_4)
	v_pk_fma_f16 v2, v82, v18, v2
	v_pk_fma_f16 v1, v83, v18, v1
	v_and_b32_e32 v18, 0xffff, v42
	v_mul_u32_u24_e32 v20, 0x10001, v20
	s_delay_alu instid0(VALU_DEP_4) | instskip(NEXT) | instid1(VALU_DEP_4)
	v_pk_fma_f16 v2, v84, v15, v2
	v_pk_fma_f16 v1, v85, v15, v1
	v_lshrrev_b32_e32 v15, 16, v42
	v_mul_u32_u24_e32 v18, 0x10001, v18
	s_delay_alu instid0(VALU_DEP_4) | instskip(NEXT) | instid1(VALU_DEP_4)
	;; [unrolled: 10-line block ×3, first 2 shown]
	v_pk_fma_f16 v2, v90, v18, v2
	v_pk_fma_f16 v1, v91, v18, v1
	s_delay_alu instid0(VALU_DEP_4) | instskip(NEXT) | instid1(VALU_DEP_3)
	v_mul_u32_u24_e32 v24, 0x10001, v20
	v_pk_fma_f16 v2, v92, v15, v2
	s_delay_alu instid0(VALU_DEP_3) | instskip(SKIP_1) | instid1(VALU_DEP_3)
	v_pk_fma_f16 v1, v93, v15, v1
	v_and_b32_e32 v15, 0xffff, v45
	v_pk_fma_f16 v2, v94, v22, v2
	s_delay_alu instid0(VALU_DEP_3) | instskip(NEXT) | instid1(VALU_DEP_3)
	v_pk_fma_f16 v1, v95, v22, v1
	v_mul_u32_u24_e32 v15, 0x10001, v15
	s_delay_alu instid0(VALU_DEP_3) | instskip(NEXT) | instid1(VALU_DEP_3)
	v_pk_fma_f16 v2, v96, v24, v2
	v_pk_fma_f16 v1, v97, v24, v1
	s_delay_alu instid0(VALU_DEP_2) | instskip(NEXT) | instid1(VALU_DEP_2)
	v_pk_fma_f16 v2, v98, v26, v2
	v_pk_fma_f16 v1, v99, v26, v1
	s_delay_alu instid0(VALU_DEP_2) | instskip(NEXT) | instid1(VALU_DEP_2)
	;; [unrolled: 3-line block ×4, first 2 shown]
	v_pk_fma_f16 v2, v104, v34, v2
	v_pk_fma_f16 v1, v105, v34, v1
	s_wait_loadcnt_dscnt 0x0
	ds_store_b128 v120, v[106:109]
	flat_load_b128 v[106:109], v[110:111]
	s_wait_loadcnt_dscnt 0x0
	ds_store_b128 v122, v[106:109]
	s_wait_storecnt_dscnt 0x0
	s_barrier_signal -1
	s_barrier_wait -1
	global_inv scope:SCOPE_SE
	ds_load_b128 v[18:21], v12 offset:10304
	ds_load_2addr_b64 v[22:25], v38 offset1:32
	ds_load_b128 v[26:29], v12 offset:10320
	ds_load_2addr_b64 v[30:33], v38 offset0:64 offset1:96
	ds_load_2addr_b64 v[39:42], v38 offset0:128 offset1:160
	s_wait_dscnt 0x4
	v_and_b32_e32 v35, 0xffff, v18
	v_lshrrev_b32_e32 v15, 16, v18
	v_and_b32_e32 v34, 0xffff, v19
	s_delay_alu instid0(VALU_DEP_3) | instskip(NEXT) | instid1(VALU_DEP_3)
	v_mul_u32_u24_e32 v18, 0x10001, v35
	v_mul_u32_u24_e32 v15, 0x10001, v15
	s_wait_dscnt 0x2
	v_and_b32_e32 v35, 0xffff, v26
	v_lshrrev_b32_e32 v26, 16, v26
	v_pk_fma_f16 v2, v22, v18, v2
	v_pk_fma_f16 v1, v23, v18, v1
	v_lshrrev_b32_e32 v18, 16, v19
	v_mul_u32_u24_e32 v19, 0x10001, v34
	v_mul_u32_u24_e32 v26, 0x10001, v26
	v_pk_fma_f16 v2, v24, v15, v2
	v_pk_fma_f16 v1, v25, v15, v1
	ds_load_2addr_b64 v[22:25], v38 offset0:192 offset1:224
	v_and_b32_e32 v15, 0xffff, v20
	v_mul_u32_u24_e32 v18, 0x10001, v18
	s_wait_dscnt 0x2
	v_pk_fma_f16 v2, v30, v19, v2
	v_pk_fma_f16 v1, v31, v19, v1
	v_lshrrev_b32_e32 v19, 16, v20
	v_mul_u32_u24_e32 v15, 0x10001, v15
	s_delay_alu instid0(VALU_DEP_4) | instskip(NEXT) | instid1(VALU_DEP_4)
	v_pk_fma_f16 v2, v32, v18, v2
	v_pk_fma_f16 v1, v33, v18, v1
	ds_load_2addr_b64 v[30:33], v121 offset1:32
	v_and_b32_e32 v18, 0xffff, v21
	v_mul_u32_u24_e32 v19, 0x10001, v19
	s_wait_dscnt 0x2
	v_pk_fma_f16 v2, v39, v15, v2
	v_pk_fma_f16 v1, v40, v15, v1
	v_lshrrev_b32_e32 v15, 16, v21
	v_mul_u32_u24_e32 v34, 0x10001, v18
	s_delay_alu instid0(VALU_DEP_4) | instskip(NEXT) | instid1(VALU_DEP_4)
	v_pk_fma_f16 v2, v41, v19, v2
	v_pk_fma_f16 v1, v42, v19, v1
	ds_load_2addr_b64 v[18:21], v121 offset0:64 offset1:96
	v_mul_u32_u24_e32 v15, 0x10001, v15
	ds_load_b128 v[38:41], v12 offset:10336
	ds_load_b128 v[42:45], v12 offset:10352
	s_wait_dscnt 0x4
	v_pk_fma_f16 v2, v22, v34, v2
	v_pk_fma_f16 v1, v23, v34, v1
	v_mul_u32_u24_e32 v34, 0x10001, v35
	v_lshrrev_b32_e32 v12, 16, v29
	s_delay_alu instid0(VALU_DEP_4) | instskip(NEXT) | instid1(VALU_DEP_4)
	v_pk_fma_f16 v2, v24, v15, v2
	v_pk_fma_f16 v1, v25, v15, v1
	ds_load_2addr_b64 v[22:25], v121 offset0:128 offset1:160
	v_and_b32_e32 v15, 0xffff, v27
	v_lshrrev_b32_e32 v27, 16, v27
	s_wait_dscnt 0x4
	v_pk_fma_f16 v2, v30, v34, v2
	v_pk_fma_f16 v1, v31, v34, v1
	v_mul_u32_u24_e32 v12, 0x10001, v12
	v_mul_u32_u24_e32 v15, 0x10001, v15
	;; [unrolled: 1-line block ×3, first 2 shown]
	v_pk_fma_f16 v2, v32, v26, v2
	v_pk_fma_f16 v1, v33, v26, v1
	ds_load_2addr_b64 v[30:33], v121 offset0:192 offset1:224
	v_and_b32_e32 v26, 0xffff, v28
	s_wait_dscnt 0x4
	v_pk_fma_f16 v2, v18, v15, v2
	v_pk_fma_f16 v1, v19, v15, v1
	v_lshrrev_b32_e32 v15, 16, v28
	v_mul_u32_u24_e32 v26, 0x10001, v26
	s_delay_alu instid0(VALU_DEP_4) | instskip(NEXT) | instid1(VALU_DEP_4)
	v_pk_fma_f16 v2, v20, v27, v2
	v_pk_fma_f16 v1, v21, v27, v1
	ds_load_2addr_b64 v[18:21], v14 offset1:32
	v_and_b32_e32 v27, 0xffff, v29
	v_mul_u32_u24_e32 v15, 0x10001, v15
	s_wait_dscnt 0x2
	v_pk_fma_f16 v2, v22, v26, v2
	v_pk_fma_f16 v1, v23, v26, v1
	v_mul_u32_u24_e32 v26, 0x10001, v27
	s_delay_alu instid0(VALU_DEP_3) | instskip(NEXT) | instid1(VALU_DEP_3)
	v_pk_fma_f16 v2, v24, v15, v2
	v_pk_fma_f16 v1, v25, v15, v1
	ds_load_2addr_b64 v[22:25], v14 offset0:64 offset1:96
	v_and_b32_e32 v15, 0xffff, v38
	s_wait_dscnt 0x2
	v_pk_fma_f16 v2, v30, v26, v2
	v_pk_fma_f16 v1, v31, v26, v1
	v_lshrrev_b32_e32 v30, 16, v38
	v_mul_u32_u24_e32 v15, 0x10001, v15
	ds_load_2addr_b64 v[26:29], v14 offset0:128 offset1:160
	v_pk_fma_f16 v2, v32, v12, v2
	v_pk_fma_f16 v1, v33, v12, v1
	v_and_b32_e32 v12, 0xffff, v39
	v_mul_u32_u24_e32 v30, 0x10001, v30
	s_wait_dscnt 0x2
	v_pk_fma_f16 v2, v18, v15, v2
	v_pk_fma_f16 v1, v19, v15, v1
	v_lshrrev_b32_e32 v15, 16, v39
	v_mul_u32_u24_e32 v12, 0x10001, v12
	s_delay_alu instid0(VALU_DEP_4) | instskip(NEXT) | instid1(VALU_DEP_4)
	v_pk_fma_f16 v2, v20, v30, v2
	v_pk_fma_f16 v1, v21, v30, v1
	ds_load_2addr_b64 v[18:21], v14 offset0:192 offset1:224
	v_and_b32_e32 v14, 0xffff, v40
	v_mul_u32_u24_e32 v15, 0x10001, v15
	s_wait_dscnt 0x2
	v_pk_fma_f16 v2, v22, v12, v2
	v_pk_fma_f16 v1, v23, v12, v1
	v_lshrrev_b32_e32 v12, 16, v40
	v_mul_u32_u24_e32 v14, 0x10001, v14
	s_delay_alu instid0(VALU_DEP_4) | instskip(NEXT) | instid1(VALU_DEP_4)
	v_pk_fma_f16 v2, v24, v15, v2
	v_pk_fma_f16 v1, v25, v15, v1
	ds_load_2addr_b64 v[22:25], v13 offset1:32
	v_and_b32_e32 v15, 0xffff, v41
	v_mul_u32_u24_e32 v12, 0x10001, v12
	s_wait_dscnt 0x2
	v_pk_fma_f16 v2, v26, v14, v2
	v_pk_fma_f16 v1, v27, v14, v1
	v_lshrrev_b32_e32 v14, 16, v41
	v_mul_u32_u24_e32 v15, 0x10001, v15
	s_delay_alu instid0(VALU_DEP_4) | instskip(NEXT) | instid1(VALU_DEP_4)
	v_pk_fma_f16 v2, v28, v12, v2
	v_pk_fma_f16 v1, v29, v12, v1
	ds_load_2addr_b64 v[26:29], v13 offset0:64 offset1:96
	v_and_b32_e32 v12, 0xffff, v42
	v_mul_u32_u24_e32 v14, 0x10001, v14
	s_wait_dscnt 0x2
	v_pk_fma_f16 v2, v18, v15, v2
	v_pk_fma_f16 v1, v19, v15, v1
	v_lshrrev_b32_e32 v15, 16, v42
	v_mul_u32_u24_e32 v12, 0x10001, v12
	s_delay_alu instid0(VALU_DEP_4) | instskip(NEXT) | instid1(VALU_DEP_4)
	v_pk_fma_f16 v2, v20, v14, v2
	v_pk_fma_f16 v1, v21, v14, v1
	ds_load_2addr_b64 v[18:21], v13 offset0:128 offset1:160
	;; [unrolled: 11-line block ×3, first 2 shown]
	v_and_b32_e32 v24, 0xffff, v44
	v_mul_u32_u24_e32 v22, 0x10001, v22
	s_wait_dscnt 0x2
	v_pk_fma_f16 v2, v26, v23, v2
	v_pk_fma_f16 v1, v27, v23, v1
	v_lshrrev_b32_e32 v23, 16, v44
	v_mul_u32_u24_e32 v24, 0x10001, v24
	s_wait_loadcnt_dscnt 0x0
	v_pk_fma_f16 v2, v28, v22, v2
	v_pk_fma_f16 v1, v29, v22, v1
	v_and_b32_e32 v22, 0xffff, v45
	v_mul_u32_u24_e32 v23, 0x10001, v23
	s_barrier_signal -1
	v_pk_fma_f16 v2, v18, v24, v2
	v_pk_fma_f16 v1, v19, v24, v1
	v_lshrrev_b32_e32 v18, 16, v45
	v_mul_u32_u24_e32 v19, 0x10001, v22
	s_barrier_wait -1
	v_pk_fma_f16 v2, v20, v23, v2
	v_pk_fma_f16 v1, v21, v23, v1
	v_mul_u32_u24_e32 v11, 0x10001, v18
	v_mov_b32_e32 v18, v9
	global_inv scope:SCOPE_SE
	v_pk_fma_f16 v2, v12, v19, v2
	v_pk_fma_f16 v1, v13, v19, v1
	s_delay_alu instid0(VALU_DEP_2) | instskip(NEXT) | instid1(VALU_DEP_2)
	v_pk_fma_f16 v39, v14, v11, v2
	v_pk_fma_f16 v41, v15, v11, v1
.LBB65_30:
	v_cmp_lt_i32_e32 vcc_lo, v5, v0
	s_cmp_eq_u64 s[12:13], 0
	s_cselect_b32 s2, -1, 0
	s_cmp_lg_u32 s8, 0
	s_wait_alu 0xfffd
	v_cndmask_b32_e32 v1, v37, v5, vcc_lo
	v_cmp_lt_i32_e32 vcc_lo, v4, v0
	s_cselect_b32 s3, -1, 0
	s_wait_alu 0xfffe
	s_or_b32 s2, s3, s2
	s_wait_alu 0xfffd
	v_cndmask_b32_e32 v2, v37, v4, vcc_lo
	v_cmp_lt_i32_e32 vcc_lo, v6, v0
	s_delay_alu instid0(VALU_DEP_2)
	v_lshlrev_b32_e32 v2, 2, v2
	v_lshlrev_b32_e32 v1, 2, v1
	ds_bpermute_b32 v1, v1, v3
	s_wait_dscnt 0x0
	v_add_f32_e32 v1, v3, v1
	s_wait_alu 0xfffd
	v_cndmask_b32_e32 v3, v37, v6, vcc_lo
	v_cmp_lt_i32_e32 vcc_lo, v7, v0
	ds_bpermute_b32 v2, v2, v1
	v_lshlrev_b32_e32 v3, 2, v3
	s_wait_dscnt 0x0
	v_add_f32_e32 v1, v1, v2
	ds_bpermute_b32 v2, v3, v1
	s_wait_alu 0xfffd
	v_cndmask_b32_e32 v3, v37, v7, vcc_lo
	v_cmp_lt_i32_e32 vcc_lo, v8, v0
	s_wait_alu 0xfffd
	s_delay_alu instid0(VALU_DEP_2) | instskip(SKIP_3) | instid1(VALU_DEP_1)
	v_dual_cndmask_b32 v0, v37, v8 :: v_dual_lshlrev_b32 v3, 2, v3
	s_wait_alu 0xfffe
	s_and_b32 vcc_lo, exec_lo, s2
	s_wait_dscnt 0x0
	v_dual_add_f32 v1, v1, v2 :: v_dual_lshlrev_b32 v0, 2, v0
	ds_bpermute_b32 v2, v3, v1
	s_wait_dscnt 0x0
	v_add_f32_e32 v1, v1, v2
	ds_bpermute_b32 v0, v0, v1
	s_wait_dscnt 0x0
	v_add_f32_e32 v19, v1, v0
	s_wait_alu 0xfffe
	s_cbranch_vccnz .LBB65_32
; %bb.31:
	v_dual_mov_b32 v0, 0 :: v_dual_max_num_f32 v1, v18, v18
	s_lshl_b64 s[2:3], s[30:31], 2
	s_wait_alu 0xfffe
	s_add_nc_u64 s[2:3], s[12:13], s[2:3]
	global_load_b32 v0, v0, s[2:3]
	s_wait_loadcnt 0x0
	v_max_num_f32_e32 v2, v0, v0
	s_delay_alu instid0(VALU_DEP_1) | instskip(NEXT) | instid1(VALU_DEP_1)
	v_max_num_f32_e32 v1, v1, v2
	v_sub_f32_e32 v0, v0, v1
	s_delay_alu instid0(VALU_DEP_1) | instskip(SKIP_2) | instid1(VALU_DEP_3)
	v_mul_f32_e32 v6, 0x3fb8aa3b, v0
	v_sub_f32_e32 v2, v18, v1
	v_mov_b32_e32 v18, v1
	v_rndne_f32_e32 v8, v6
	s_delay_alu instid0(VALU_DEP_3) | instskip(NEXT) | instid1(VALU_DEP_1)
	v_mul_f32_e32 v3, 0x3fb8aa3b, v2
	v_fma_f32 v4, 0x3fb8aa3b, v2, -v3
	v_rndne_f32_e32 v5, v3
	s_delay_alu instid0(VALU_DEP_1) | instskip(SKIP_1) | instid1(VALU_DEP_2)
	v_dual_fmac_f32 v4, 0x32a5705f, v2 :: v_dual_sub_f32 v3, v3, v5
	v_cvt_i32_f32_e32 v5, v5
	v_add_f32_e32 v3, v3, v4
	v_cmp_ngt_f32_e32 vcc_lo, 0xc2ce8ed0, v2
	v_sub_f32_e32 v4, v6, v8
	s_delay_alu instid0(VALU_DEP_3) | instskip(NEXT) | instid1(TRANS32_DEP_1)
	v_exp_f32_e32 v3, v3
	v_ldexp_f32 v3, v3, v5
	v_cvt_i32_f32_e32 v5, v8
	s_wait_alu 0xfffd
	s_delay_alu instid0(VALU_DEP_2) | instskip(SKIP_2) | instid1(VALU_DEP_2)
	v_cndmask_b32_e32 v3, 0, v3, vcc_lo
	v_fma_f32 v7, 0x3fb8aa3b, v0, -v6
	v_cmp_nlt_f32_e32 vcc_lo, 0x42b17218, v2
	v_fmac_f32_e32 v7, 0x32a5705f, v0
	s_wait_alu 0xfffd
	v_cndmask_b32_e32 v2, 0x7f800000, v3, vcc_lo
	v_cmp_ngt_f32_e32 vcc_lo, 0xc2ce8ed0, v0
	s_delay_alu instid0(VALU_DEP_3) | instskip(NEXT) | instid1(VALU_DEP_1)
	v_add_f32_e32 v4, v4, v7
	v_exp_f32_e32 v4, v4
	s_delay_alu instid0(TRANS32_DEP_1) | instskip(SKIP_1) | instid1(VALU_DEP_1)
	v_ldexp_f32 v4, v4, v5
	s_wait_alu 0xfffd
	v_cndmask_b32_e32 v3, 0, v4, vcc_lo
	v_cmp_nlt_f32_e32 vcc_lo, 0x42b17218, v0
	s_wait_alu 0xfffd
	s_delay_alu instid0(VALU_DEP_2) | instskip(NEXT) | instid1(VALU_DEP_1)
	v_cndmask_b32_e32 v0, 0x7f800000, v3, vcc_lo
	v_fmac_f32_e32 v0, v19, v2
	s_delay_alu instid0(VALU_DEP_1) | instskip(SKIP_1) | instid1(VALU_DEP_1)
	v_mov_b32_e32 v19, v0
	v_cvt_f16_f32_e32 v4, v2
	v_and_b32_e32 v3, 0xffff, v4
	s_delay_alu instid0(VALU_DEP_1) | instskip(NEXT) | instid1(VALU_DEP_1)
	v_mul_u32_u24_e32 v2, 0x10001, v3
	v_pk_mul_f16 v39, v39, v2
	v_pk_mul_f16 v41, v41, v2
.LBB65_32:
	s_mov_b32 s2, exec_lo
	v_cmpx_gt_i32_e64 s22, v16
	s_cbranch_execz .LBB65_35
; %bb.33:
	v_div_scale_f32 v3, null, v19, v19, 1.0
	s_load_b32 s1, s[0:1], 0xd4
	v_div_scale_f32 v5, vcc_lo, 1.0, v19, 1.0
	v_rcp_f32_e32 v4, v3
	v_cvt_f32_f16_e32 v7, v41
	v_cmp_eq_u32_e64 s0, 0, v17
	s_delay_alu instid0(TRANS32_DEP_1) | instskip(NEXT) | instid1(VALU_DEP_1)
	v_fma_f32 v0, -v3, v4, 1.0
	v_fmac_f32_e32 v4, v0, v4
	v_mad_co_u64_u32 v[0:1], null, s28, s22, v[16:17]
	s_wait_kmcnt 0x0
	s_cmp_lg_u32 s1, 1
	s_delay_alu instid0(VALU_DEP_2) | instskip(NEXT) | instid1(VALU_DEP_2)
	v_mul_f32_e32 v6, v5, v4
	v_mad_co_u64_u32 v[0:1], null, v0, s23, s[30:31]
	s_delay_alu instid0(VALU_DEP_2) | instskip(NEXT) | instid1(VALU_DEP_1)
	v_fma_f32 v2, -v3, v6, v5
	v_fmac_f32_e32 v6, v2, v4
	s_delay_alu instid0(VALU_DEP_3) | instskip(SKIP_2) | instid1(VALU_DEP_3)
	v_mad_co_u64_u32 v[0:1], null, s1, v0, s[8:9]
	v_mov_b32_e32 v2, 0
	s_cselect_b32 s1, -1, 0
	v_fma_f32 v1, -v3, v6, v5
	v_lshrrev_b32_e32 v5, 16, v39
	v_cvt_f32_f16_e32 v3, v39
	s_wait_alu 0xfffe
	s_and_b32 s0, s0, s1
	s_wait_alu 0xfffd
	v_div_fmas_f32 v4, v1, v4, v6
	v_lshl_add_u32 v1, v0, 7, v36
	v_lshrrev_b32_e32 v6, 16, v41
	v_cvt_f32_f16_e32 v8, v5
	s_delay_alu instid0(VALU_DEP_4) | instskip(NEXT) | instid1(VALU_DEP_4)
	v_div_fixup_f32 v4, v4, v19, 1.0
	v_lshlrev_b64_e32 v[1:2], 2, v[1:2]
	s_delay_alu instid0(VALU_DEP_4) | instskip(NEXT) | instid1(VALU_DEP_3)
	v_cvt_f32_f16_e32 v9, v6
	v_cndmask_b32_e64 v4, v4, 1.0, s1
	s_delay_alu instid0(VALU_DEP_3) | instskip(SKIP_1) | instid1(VALU_DEP_4)
	v_add_co_u32 v5, vcc_lo, s16, v1
	s_wait_alu 0xfffd
	v_add_co_ci_u32_e64 v6, null, s17, v2, vcc_lo
	s_delay_alu instid0(VALU_DEP_3)
	v_mul_f32_e32 v1, v4, v3
	v_mul_f32_e32 v2, v4, v8
	;; [unrolled: 1-line block ×4, first 2 shown]
	global_store_b128 v[5:6], v[1:4], off
	s_wait_alu 0xfffe
	s_and_b32 exec_lo, exec_lo, s0
	s_cbranch_execz .LBB65_35
; %bb.34:
	v_ashrrev_i32_e32 v1, 31, v0
	s_delay_alu instid0(VALU_DEP_1) | instskip(NEXT) | instid1(VALU_DEP_1)
	v_lshlrev_b64_e32 v[0:1], 3, v[0:1]
	v_add_co_u32 v0, vcc_lo, s18, v0
	s_wait_alu 0xfffd
	s_delay_alu instid0(VALU_DEP_2)
	v_add_co_ci_u32_e64 v1, null, s19, v1, vcc_lo
	global_store_b64 v[0:1], v[18:19], off
.LBB65_35:
	s_nop 0
	s_sendmsg sendmsg(MSG_DEALLOC_VGPRS)
	s_endpgm
	.section	.rodata,"a",@progbits
	.p2align	6, 0x0
	.amdhsa_kernel _ZL15flash_attn_tileILi128ELi128ELi4ELi1ELb0EEvPKcS1_S1_S1_S1_PKiPfP15HIP_vector_typeIfLj2EEffffjfiS5_IjLj3EEiiiiiiiiiiiliiliiiiil
		.amdhsa_group_segment_fixed_size 10752
		.amdhsa_private_segment_fixed_size 32
		.amdhsa_kernarg_size 464
		.amdhsa_user_sgpr_count 2
		.amdhsa_user_sgpr_dispatch_ptr 0
		.amdhsa_user_sgpr_queue_ptr 0
		.amdhsa_user_sgpr_kernarg_segment_ptr 1
		.amdhsa_user_sgpr_dispatch_id 0
		.amdhsa_user_sgpr_private_segment_size 0
		.amdhsa_wavefront_size32 1
		.amdhsa_uses_dynamic_stack 0
		.amdhsa_enable_private_segment 1
		.amdhsa_system_sgpr_workgroup_id_x 1
		.amdhsa_system_sgpr_workgroup_id_y 1
		.amdhsa_system_sgpr_workgroup_id_z 1
		.amdhsa_system_sgpr_workgroup_info 0
		.amdhsa_system_vgpr_workitem_id 1
		.amdhsa_next_free_vgpr 154
		.amdhsa_next_free_sgpr 47
		.amdhsa_reserve_vcc 1
		.amdhsa_float_round_mode_32 0
		.amdhsa_float_round_mode_16_64 0
		.amdhsa_float_denorm_mode_32 3
		.amdhsa_float_denorm_mode_16_64 3
		.amdhsa_fp16_overflow 0
		.amdhsa_workgroup_processor_mode 1
		.amdhsa_memory_ordered 1
		.amdhsa_forward_progress 1
		.amdhsa_inst_pref_size 120
		.amdhsa_round_robin_scheduling 0
		.amdhsa_exception_fp_ieee_invalid_op 0
		.amdhsa_exception_fp_denorm_src 0
		.amdhsa_exception_fp_ieee_div_zero 0
		.amdhsa_exception_fp_ieee_overflow 0
		.amdhsa_exception_fp_ieee_underflow 0
		.amdhsa_exception_fp_ieee_inexact 0
		.amdhsa_exception_int_div_zero 0
	.end_amdhsa_kernel
	.section	.text._ZL15flash_attn_tileILi128ELi128ELi4ELi1ELb0EEvPKcS1_S1_S1_S1_PKiPfP15HIP_vector_typeIfLj2EEffffjfiS5_IjLj3EEiiiiiiiiiiiliiliiiiil,"axG",@progbits,_ZL15flash_attn_tileILi128ELi128ELi4ELi1ELb0EEvPKcS1_S1_S1_S1_PKiPfP15HIP_vector_typeIfLj2EEffffjfiS5_IjLj3EEiiiiiiiiiiiliiliiiiil,comdat
.Lfunc_end65:
	.size	_ZL15flash_attn_tileILi128ELi128ELi4ELi1ELb0EEvPKcS1_S1_S1_S1_PKiPfP15HIP_vector_typeIfLj2EEffffjfiS5_IjLj3EEiiiiiiiiiiiliiliiiiil, .Lfunc_end65-_ZL15flash_attn_tileILi128ELi128ELi4ELi1ELb0EEvPKcS1_S1_S1_S1_PKiPfP15HIP_vector_typeIfLj2EEffffjfiS5_IjLj3EEiiiiiiiiiiiliiliiiiil
                                        ; -- End function
	.set _ZL15flash_attn_tileILi128ELi128ELi4ELi1ELb0EEvPKcS1_S1_S1_S1_PKiPfP15HIP_vector_typeIfLj2EEffffjfiS5_IjLj3EEiiiiiiiiiiiliiliiiiil.num_vgpr, 154
	.set _ZL15flash_attn_tileILi128ELi128ELi4ELi1ELb0EEvPKcS1_S1_S1_S1_PKiPfP15HIP_vector_typeIfLj2EEffffjfiS5_IjLj3EEiiiiiiiiiiiliiliiiiil.num_agpr, 0
	.set _ZL15flash_attn_tileILi128ELi128ELi4ELi1ELb0EEvPKcS1_S1_S1_S1_PKiPfP15HIP_vector_typeIfLj2EEffffjfiS5_IjLj3EEiiiiiiiiiiiliiliiiiil.numbered_sgpr, 47
	.set _ZL15flash_attn_tileILi128ELi128ELi4ELi1ELb0EEvPKcS1_S1_S1_S1_PKiPfP15HIP_vector_typeIfLj2EEffffjfiS5_IjLj3EEiiiiiiiiiiiliiliiiiil.num_named_barrier, 0
	.set _ZL15flash_attn_tileILi128ELi128ELi4ELi1ELb0EEvPKcS1_S1_S1_S1_PKiPfP15HIP_vector_typeIfLj2EEffffjfiS5_IjLj3EEiiiiiiiiiiiliiliiiiil.private_seg_size, 32
	.set _ZL15flash_attn_tileILi128ELi128ELi4ELi1ELb0EEvPKcS1_S1_S1_S1_PKiPfP15HIP_vector_typeIfLj2EEffffjfiS5_IjLj3EEiiiiiiiiiiiliiliiiiil.uses_vcc, 1
	.set _ZL15flash_attn_tileILi128ELi128ELi4ELi1ELb0EEvPKcS1_S1_S1_S1_PKiPfP15HIP_vector_typeIfLj2EEffffjfiS5_IjLj3EEiiiiiiiiiiiliiliiiiil.uses_flat_scratch, 1
	.set _ZL15flash_attn_tileILi128ELi128ELi4ELi1ELb0EEvPKcS1_S1_S1_S1_PKiPfP15HIP_vector_typeIfLj2EEffffjfiS5_IjLj3EEiiiiiiiiiiiliiliiiiil.has_dyn_sized_stack, 0
	.set _ZL15flash_attn_tileILi128ELi128ELi4ELi1ELb0EEvPKcS1_S1_S1_S1_PKiPfP15HIP_vector_typeIfLj2EEffffjfiS5_IjLj3EEiiiiiiiiiiiliiliiiiil.has_recursion, 0
	.set _ZL15flash_attn_tileILi128ELi128ELi4ELi1ELb0EEvPKcS1_S1_S1_S1_PKiPfP15HIP_vector_typeIfLj2EEffffjfiS5_IjLj3EEiiiiiiiiiiiliiliiiiil.has_indirect_call, 0
	.section	.AMDGPU.csdata,"",@progbits
; Kernel info:
; codeLenInByte = 15324
; TotalNumSgprs: 49
; NumVgprs: 154
; ScratchSize: 32
; MemoryBound: 0
; FloatMode: 240
; IeeeMode: 1
; LDSByteSize: 10752 bytes/workgroup (compile time only)
; SGPRBlocks: 0
; VGPRBlocks: 19
; NumSGPRsForWavesPerEU: 49
; NumVGPRsForWavesPerEU: 154
; Occupancy: 9
; WaveLimiterHint : 1
; COMPUTE_PGM_RSRC2:SCRATCH_EN: 1
; COMPUTE_PGM_RSRC2:USER_SGPR: 2
; COMPUTE_PGM_RSRC2:TRAP_HANDLER: 0
; COMPUTE_PGM_RSRC2:TGID_X_EN: 1
; COMPUTE_PGM_RSRC2:TGID_Y_EN: 1
; COMPUTE_PGM_RSRC2:TGID_Z_EN: 1
; COMPUTE_PGM_RSRC2:TIDIG_COMP_CNT: 1
	.section	.text._ZL33flash_attn_stream_k_fixup_uniformILi128ELi4ELi1EEvPfPK15HIP_vector_typeIfLj2EEiiiiiiS1_IjLj3EES5_S5_,"axG",@progbits,_ZL33flash_attn_stream_k_fixup_uniformILi128ELi4ELi1EEvPfPK15HIP_vector_typeIfLj2EEiiiiiiS1_IjLj3EES5_S5_,comdat
	.globl	_ZL33flash_attn_stream_k_fixup_uniformILi128ELi4ELi1EEvPfPK15HIP_vector_typeIfLj2EEiiiiiiS1_IjLj3EES5_S5_ ; -- Begin function _ZL33flash_attn_stream_k_fixup_uniformILi128ELi4ELi1EEvPfPK15HIP_vector_typeIfLj2EEiiiiiiS1_IjLj3EES5_S5_
	.p2align	8
	.type	_ZL33flash_attn_stream_k_fixup_uniformILi128ELi4ELi1EEvPfPK15HIP_vector_typeIfLj2EEiiiiiiS1_IjLj3EES5_S5_,@function
_ZL33flash_attn_stream_k_fixup_uniformILi128ELi4ELi1EEvPfPK15HIP_vector_typeIfLj2EEiiiiiiS1_IjLj3EES5_S5_: ; @_ZL33flash_attn_stream_k_fixup_uniformILi128ELi4ELi1EEvPfPK15HIP_vector_typeIfLj2EEiiiiiiS1_IjLj3EES5_S5_
; %bb.0:
	s_clause 0x1
	s_load_b256 s[4:11], s[0:1], 0x1c
	s_load_b128 s[12:15], s[0:1], 0x3c
	s_wait_kmcnt 0x0
	s_mul_hi_u32 s2, s7, ttmp9
	s_delay_alu instid0(SALU_CYCLE_1) | instskip(NEXT) | instid1(SALU_CYCLE_1)
	s_add_co_i32 s2, ttmp9, s2
	s_lshr_b32 s2, s2, s8
	s_delay_alu instid0(SALU_CYCLE_1) | instskip(SKIP_2) | instid1(SALU_CYCLE_1)
	s_mul_i32 s3, s2, s9
	s_load_b64 s[8:9], s[0:1], 0x10
	s_sub_co_i32 s7, ttmp9, s3
	s_mul_hi_u32 s3, s7, s10
	s_delay_alu instid0(SALU_CYCLE_1) | instskip(NEXT) | instid1(SALU_CYCLE_1)
	s_add_co_i32 s3, s7, s3
	s_lshr_b32 s3, s3, s11
	s_delay_alu instid0(SALU_CYCLE_1) | instskip(NEXT) | instid1(SALU_CYCLE_1)
	s_mul_i32 s10, s3, s12
	s_sub_co_i32 s7, s7, s10
	s_delay_alu instid0(SALU_CYCLE_1) | instskip(NEXT) | instid1(SALU_CYCLE_1)
	s_mul_hi_u32 s10, s7, s13
	s_add_co_i32 s10, s7, s10
	s_delay_alu instid0(SALU_CYCLE_1) | instskip(NEXT) | instid1(SALU_CYCLE_1)
	s_lshr_b32 s11, s10, s14
	s_mul_i32 s10, s11, s15
	s_delay_alu instid0(SALU_CYCLE_1) | instskip(SKIP_2) | instid1(SALU_CYCLE_1)
	s_sub_co_i32 s12, s7, s10
	s_and_b32 s7, ttmp7, 0xffff
	s_lshl_b32 s10, s12, 2
	s_add_co_i32 s13, s10, s7
	s_lshr_b32 s10, ttmp7, 16
	s_wait_kmcnt 0x0
	s_cmp_lt_i32 s13, s8
	s_cselect_b32 s13, -1, 0
	s_add_co_i32 s14, s11, s10
	s_delay_alu instid0(SALU_CYCLE_1) | instskip(SKIP_1) | instid1(SALU_CYCLE_1)
	s_cmp_lt_i32 s14, s5
	s_cselect_b32 s14, -1, 0
	s_and_b32 s13, s13, s14
	s_delay_alu instid0(SALU_CYCLE_1)
	s_and_not1_b32 vcc_lo, exec_lo, s13
	s_cbranch_vccnz .LBB66_6
; %bb.1:
	s_mul_i32 s2, s2, s8
	s_mul_i32 s5, s3, s5
	s_add_co_i32 s2, s2, s7
	s_delay_alu instid0(SALU_CYCLE_1) | instskip(NEXT) | instid1(SALU_CYCLE_1)
	s_mul_i32 s2, s2, s9
	s_add_co_i32 s8, s2, s10
	s_load_b128 s[0:3], s[0:1], 0x0
	s_add_co_i32 s5, s8, s5
	s_mul_i32 s8, s9, s12
	s_add_co_i32 s5, s5, s11
	s_lshl_b32 s8, s8, 9
	s_lshl_b32 s5, s5, 7
	s_add_co_i32 s9, s7, s10
	s_add_co_i32 s8, s8, s5
	s_delay_alu instid0(SALU_CYCLE_1) | instskip(SKIP_3) | instid1(SALU_CYCLE_1)
	v_or_b32_e32 v1, s8, v0
	s_mul_i32 s8, s6, ttmp9
	s_wait_alu 0xfffe
	s_add_co_i32 s5, s8, s6
	s_add_co_i32 s7, s5, -2
	v_ashrrev_i32_e32 v2, 31, v1
	s_delay_alu instid0(VALU_DEP_1) | instskip(SKIP_1) | instid1(VALU_DEP_1)
	v_lshlrev_b64_e32 v[1:2], 2, v[1:2]
	s_wait_kmcnt 0x0
	v_add_co_u32 v1, vcc_lo, s0, v1
	s_delay_alu instid0(VALU_DEP_1)
	v_add_co_ci_u32_e64 v2, null, s1, v2, vcc_lo
	s_lshl_b32 s0, s5, 2
	s_wait_alu 0xfffe
	s_add_co_i32 s0, s9, s0
	global_load_b32 v5, v[1:2], off
	s_wait_alu 0xfffe
	s_add_co_i32 s0, s0, -4
	s_wait_alu 0xfffe
	s_ashr_i32 s1, s0, 31
	s_wait_alu 0xfffe
	s_lshl_b64 s[0:1], s[0:1], 3
	s_cmp_lt_i32 s7, s8
	s_wait_alu 0xfffe
	s_add_nc_u64 s[0:1], s[2:3], s[0:1]
	s_load_b32 s10, s[0:1], 0x4
	s_cbranch_scc1 .LBB66_4
; %bb.2:
	s_load_b32 s0, s[0:1], 0x0
	s_add_co_i32 s7, ttmp9, 1
	s_wait_kmcnt 0x0
	v_mov_b32_e32 v6, s10
	s_mul_i32 s1, s6, s7
	s_lshl_b32 s7, s9, 7
	s_wait_alu 0xfffe
	s_lshl_b32 s11, s1, 9
	s_lshl_b32 s6, s4, 4
	s_wait_alu 0xfffe
	s_add_co_i32 s11, s7, s11
	s_lshl_b32 s1, s1, 2
	s_wait_alu 0xfffe
	v_or_b32_e32 v0, s11, v0
	s_ashr_i32 s7, s6, 31
	s_add_co_i32 s1, s9, s1
	s_lshl_b32 s4, s4, 2
	s_lshl_b64 s[6:7], s[6:7], 2
	v_add_nc_u32_e32 v3, 0xfffffc00, v0
	s_wait_alu 0xfffe
	s_add_co_i32 s4, s1, s4
	s_add_nc_u64 s[6:7], s[2:3], s[6:7]
	s_add_co_i32 s1, s5, -1
	s_add_co_i32 s4, s4, -8
.LBB66_3:                               ; =>This Inner Loop Header: Depth=1
	v_ashrrev_i32_e32 v4, 31, v3
	s_ashr_i32 s5, s4, 31
	v_mov_b32_e32 v10, v6
	s_lshl_b64 s[10:11], s[4:5], 3
	s_wait_loadcnt 0x0
	v_mov_b32_e32 v9, v5
	v_lshlrev_b64_e32 v[7:8], 2, v[3:4]
	s_wait_alu 0xfffe
	s_add_nc_u64 s[10:11], s[2:3], s[10:11]
	v_max_num_f32_e64 v4, s0, s0
	s_load_b64 s[10:11], s[10:11], 0x0
	v_add_nc_u32_e32 v3, 0xfffffe00, v3
	v_add_co_u32 v7, vcc_lo, s6, v7
	s_wait_alu 0xfffd
	v_add_co_ci_u32_e64 v8, null, s7, v8, vcc_lo
	v_readfirstlane_b32 s5, v4
	global_load_b32 v0, v[7:8], off
	s_wait_kmcnt 0x0
	v_max_num_f32_e64 v4, s10, s10
	s_delay_alu instid0(VALU_DEP_1) | instskip(SKIP_1) | instid1(SALU_CYCLE_3)
	v_readfirstlane_b32 s9, v4
	s_max_num_f32 s5, s5, s9
	s_sub_f32 s0, s0, s5
	s_sub_f32 s9, s10, s5
	s_wait_alu 0xfffe
	s_delay_alu instid0(SALU_CYCLE_1) | instskip(NEXT) | instid1(SALU_CYCLE_1)
	s_mul_f32 s10, s0, 0x3fb8aa3b
	s_mul_f32 s12, s9, 0x3fb8aa3b
	s_wait_alu 0xfffe
	s_delay_alu instid0(SALU_CYCLE_1)
	s_xor_b32 s13, s10, 0x80000000
	s_rndne_f32 s14, s10
	s_fmamk_f32 s13, s0, 0x3fb8aa3b, s13
	s_cmp_nlt_f32 s0, 0xc2ce8ed0
	s_rndne_f32 s15, s12
	s_wait_alu 0xfffe
	s_sub_f32 s10, s10, s14
	s_fmamk_f32 s13, s0, 0x32a5705f, s13
	s_cvt_i32_f32 s14, s14
	s_cselect_b32 vcc_lo, -1, 0
	s_cmp_ngt_f32 s0, 0x42b17218
	s_wait_alu 0xfffe
	s_add_f32 s10, s10, s13
	s_sub_f32 s13, s12, s15
	s_wait_alu 0xfffe
	s_delay_alu instid0(SALU_CYCLE_1) | instskip(SKIP_1) | instid1(TRANS32_DEP_1)
	v_s_exp_f32 s10, s10
	s_wait_alu 0xf1ff
	v_ldexp_f32 v4, s10, s14
	s_cvt_i32_f32 s10, s15
	s_delay_alu instid0(VALU_DEP_1) | instskip(SKIP_3) | instid1(VALU_DEP_1)
	v_cndmask_b32_e32 v4, 0, v4, vcc_lo
	s_cselect_b32 vcc_lo, -1, 0
	s_cmp_ge_f32 s0, 0xc1a00000
	s_wait_alu 0xfffe
	v_cndmask_b32_e32 v4, 0x7f800000, v4, vcc_lo
	s_cselect_b32 vcc_lo, -1, 0
	s_xor_b32 s0, s12, 0x80000000
	s_cmp_nlt_f32 s9, 0xc2ce8ed0
	s_wait_alu 0xfffe
	s_fmamk_f32 s0, s9, 0x3fb8aa3b, s0
	s_wait_alu 0xfffe
	s_delay_alu instid0(SALU_CYCLE_2) | instskip(SKIP_1) | instid1(SALU_CYCLE_2)
	s_fmamk_f32 s0, s9, 0x32a5705f, s0
	s_wait_alu 0xfffe
	s_add_f32 s0, s13, s0
	s_wait_alu 0xfffe
	s_delay_alu instid0(SALU_CYCLE_2) | instskip(SKIP_1) | instid1(TRANS32_DEP_1)
	v_s_exp_f32 s0, s0
	s_wait_alu 0xf1ff
	v_ldexp_f32 v7, s0, s10
	s_cselect_b32 s0, -1, 0
	s_cmp_ngt_f32 s9, 0x42b17218
	s_wait_alu 0xfffe
	s_delay_alu instid0(VALU_DEP_1) | instskip(SKIP_3) | instid1(VALU_DEP_1)
	v_cndmask_b32_e64 v7, 0, v7, s0
	s_cselect_b32 s0, -1, 0
	s_cmp_ge_f32 s9, 0xc1a00000
	s_wait_alu 0xfffe
	v_cndmask_b32_e64 v7, 0x7f800000, v7, s0
	s_cselect_b32 s0, -1, 0
	s_add_co_i32 s1, s1, -1
	s_add_co_i32 s4, s4, -4
	s_wait_alu 0xfffe
	s_cmp_le_i32 s1, s8
	v_cndmask_b32_e64 v7, 0, v7, s0
	s_mov_b32 s0, s5
	s_wait_loadcnt 0x0
	s_delay_alu instid0(VALU_DEP_1) | instskip(NEXT) | instid1(VALU_DEP_1)
	v_dual_mul_f32 v5, v0, v7 :: v_dual_cndmask_b32 v4, 0, v4
	v_dual_mul_f32 v8, s11, v7 :: v_dual_fmac_f32 v5, v9, v4
	s_delay_alu instid0(VALU_DEP_1) | instskip(NEXT) | instid1(VALU_DEP_1)
	v_mov_b32_e32 v6, v8
	v_fmac_f32_e32 v6, v10, v4
	s_cbranch_scc0 .LBB66_3
	s_branch .LBB66_5
.LBB66_4:
	s_wait_kmcnt 0x0
	v_mov_b32_e32 v6, s10
.LBB66_5:
	s_wait_loadcnt 0x0
	s_delay_alu instid0(VALU_DEP_1) | instskip(NEXT) | instid1(VALU_DEP_1)
	v_div_scale_f32 v0, null, v6, v6, v5
	v_rcp_f32_e32 v3, v0
	s_delay_alu instid0(TRANS32_DEP_1) | instskip(NEXT) | instid1(VALU_DEP_1)
	v_fma_f32 v4, -v0, v3, 1.0
	v_fmac_f32_e32 v3, v4, v3
	v_div_scale_f32 v4, vcc_lo, v5, v6, v5
	s_delay_alu instid0(VALU_DEP_1) | instskip(NEXT) | instid1(VALU_DEP_1)
	v_mul_f32_e32 v7, v4, v3
	v_fma_f32 v8, -v0, v7, v4
	s_delay_alu instid0(VALU_DEP_1) | instskip(NEXT) | instid1(VALU_DEP_1)
	v_fmac_f32_e32 v7, v8, v3
	v_fma_f32 v0, -v0, v7, v4
	s_wait_alu 0xfffd
	s_delay_alu instid0(VALU_DEP_1) | instskip(NEXT) | instid1(VALU_DEP_1)
	v_div_fmas_f32 v0, v0, v3, v7
	v_div_fixup_f32 v0, v0, v6, v5
	global_store_b32 v[1:2], v0, off
.LBB66_6:
	s_endpgm
	.section	.rodata,"a",@progbits
	.p2align	6, 0x0
	.amdhsa_kernel _ZL33flash_attn_stream_k_fixup_uniformILi128ELi4ELi1EEvPfPK15HIP_vector_typeIfLj2EEiiiiiiS1_IjLj3EES5_S5_
		.amdhsa_group_segment_fixed_size 0
		.amdhsa_private_segment_fixed_size 0
		.amdhsa_kernarg_size 76
		.amdhsa_user_sgpr_count 2
		.amdhsa_user_sgpr_dispatch_ptr 0
		.amdhsa_user_sgpr_queue_ptr 0
		.amdhsa_user_sgpr_kernarg_segment_ptr 1
		.amdhsa_user_sgpr_dispatch_id 0
		.amdhsa_user_sgpr_private_segment_size 0
		.amdhsa_wavefront_size32 1
		.amdhsa_uses_dynamic_stack 0
		.amdhsa_enable_private_segment 0
		.amdhsa_system_sgpr_workgroup_id_x 1
		.amdhsa_system_sgpr_workgroup_id_y 1
		.amdhsa_system_sgpr_workgroup_id_z 1
		.amdhsa_system_sgpr_workgroup_info 0
		.amdhsa_system_vgpr_workitem_id 0
		.amdhsa_next_free_vgpr 11
		.amdhsa_next_free_sgpr 16
		.amdhsa_reserve_vcc 1
		.amdhsa_float_round_mode_32 0
		.amdhsa_float_round_mode_16_64 0
		.amdhsa_float_denorm_mode_32 3
		.amdhsa_float_denorm_mode_16_64 3
		.amdhsa_fp16_overflow 0
		.amdhsa_workgroup_processor_mode 1
		.amdhsa_memory_ordered 1
		.amdhsa_forward_progress 1
		.amdhsa_inst_pref_size 9
		.amdhsa_round_robin_scheduling 0
		.amdhsa_exception_fp_ieee_invalid_op 0
		.amdhsa_exception_fp_denorm_src 0
		.amdhsa_exception_fp_ieee_div_zero 0
		.amdhsa_exception_fp_ieee_overflow 0
		.amdhsa_exception_fp_ieee_underflow 0
		.amdhsa_exception_fp_ieee_inexact 0
		.amdhsa_exception_int_div_zero 0
	.end_amdhsa_kernel
	.section	.text._ZL33flash_attn_stream_k_fixup_uniformILi128ELi4ELi1EEvPfPK15HIP_vector_typeIfLj2EEiiiiiiS1_IjLj3EES5_S5_,"axG",@progbits,_ZL33flash_attn_stream_k_fixup_uniformILi128ELi4ELi1EEvPfPK15HIP_vector_typeIfLj2EEiiiiiiS1_IjLj3EES5_S5_,comdat
.Lfunc_end66:
	.size	_ZL33flash_attn_stream_k_fixup_uniformILi128ELi4ELi1EEvPfPK15HIP_vector_typeIfLj2EEiiiiiiS1_IjLj3EES5_S5_, .Lfunc_end66-_ZL33flash_attn_stream_k_fixup_uniformILi128ELi4ELi1EEvPfPK15HIP_vector_typeIfLj2EEiiiiiiS1_IjLj3EES5_S5_
                                        ; -- End function
	.set _ZL33flash_attn_stream_k_fixup_uniformILi128ELi4ELi1EEvPfPK15HIP_vector_typeIfLj2EEiiiiiiS1_IjLj3EES5_S5_.num_vgpr, 11
	.set _ZL33flash_attn_stream_k_fixup_uniformILi128ELi4ELi1EEvPfPK15HIP_vector_typeIfLj2EEiiiiiiS1_IjLj3EES5_S5_.num_agpr, 0
	.set _ZL33flash_attn_stream_k_fixup_uniformILi128ELi4ELi1EEvPfPK15HIP_vector_typeIfLj2EEiiiiiiS1_IjLj3EES5_S5_.numbered_sgpr, 16
	.set _ZL33flash_attn_stream_k_fixup_uniformILi128ELi4ELi1EEvPfPK15HIP_vector_typeIfLj2EEiiiiiiS1_IjLj3EES5_S5_.num_named_barrier, 0
	.set _ZL33flash_attn_stream_k_fixup_uniformILi128ELi4ELi1EEvPfPK15HIP_vector_typeIfLj2EEiiiiiiS1_IjLj3EES5_S5_.private_seg_size, 0
	.set _ZL33flash_attn_stream_k_fixup_uniformILi128ELi4ELi1EEvPfPK15HIP_vector_typeIfLj2EEiiiiiiS1_IjLj3EES5_S5_.uses_vcc, 1
	.set _ZL33flash_attn_stream_k_fixup_uniformILi128ELi4ELi1EEvPfPK15HIP_vector_typeIfLj2EEiiiiiiS1_IjLj3EES5_S5_.uses_flat_scratch, 0
	.set _ZL33flash_attn_stream_k_fixup_uniformILi128ELi4ELi1EEvPfPK15HIP_vector_typeIfLj2EEiiiiiiS1_IjLj3EES5_S5_.has_dyn_sized_stack, 0
	.set _ZL33flash_attn_stream_k_fixup_uniformILi128ELi4ELi1EEvPfPK15HIP_vector_typeIfLj2EEiiiiiiS1_IjLj3EES5_S5_.has_recursion, 0
	.set _ZL33flash_attn_stream_k_fixup_uniformILi128ELi4ELi1EEvPfPK15HIP_vector_typeIfLj2EEiiiiiiS1_IjLj3EES5_S5_.has_indirect_call, 0
	.section	.AMDGPU.csdata,"",@progbits
; Kernel info:
; codeLenInByte = 1120
; TotalNumSgprs: 18
; NumVgprs: 11
; ScratchSize: 0
; MemoryBound: 0
; FloatMode: 240
; IeeeMode: 1
; LDSByteSize: 0 bytes/workgroup (compile time only)
; SGPRBlocks: 0
; VGPRBlocks: 1
; NumSGPRsForWavesPerEU: 18
; NumVGPRsForWavesPerEU: 11
; Occupancy: 16
; WaveLimiterHint : 0
; COMPUTE_PGM_RSRC2:SCRATCH_EN: 0
; COMPUTE_PGM_RSRC2:USER_SGPR: 2
; COMPUTE_PGM_RSRC2:TRAP_HANDLER: 0
; COMPUTE_PGM_RSRC2:TGID_X_EN: 1
; COMPUTE_PGM_RSRC2:TGID_Y_EN: 1
; COMPUTE_PGM_RSRC2:TGID_Z_EN: 1
; COMPUTE_PGM_RSRC2:TIDIG_COMP_CNT: 0
	.section	.text._ZL33flash_attn_stream_k_fixup_generalILi128ELi4ELi1EEvPfPK15HIP_vector_typeIfLj2EEiiiiS1_IjLj3EES5_S5_S5_,"axG",@progbits,_ZL33flash_attn_stream_k_fixup_generalILi128ELi4ELi1EEvPfPK15HIP_vector_typeIfLj2EEiiiiS1_IjLj3EES5_S5_S5_,comdat
	.globl	_ZL33flash_attn_stream_k_fixup_generalILi128ELi4ELi1EEvPfPK15HIP_vector_typeIfLj2EEiiiiS1_IjLj3EES5_S5_S5_ ; -- Begin function _ZL33flash_attn_stream_k_fixup_generalILi128ELi4ELi1EEvPfPK15HIP_vector_typeIfLj2EEiiiiS1_IjLj3EES5_S5_S5_
	.p2align	8
	.type	_ZL33flash_attn_stream_k_fixup_generalILi128ELi4ELi1EEvPfPK15HIP_vector_typeIfLj2EEiiiiS1_IjLj3EES5_S5_S5_,@function
_ZL33flash_attn_stream_k_fixup_generalILi128ELi4ELi1EEvPfPK15HIP_vector_typeIfLj2EEiiiiS1_IjLj3EES5_S5_S5_: ; @_ZL33flash_attn_stream_k_fixup_generalILi128ELi4ELi1EEvPfPK15HIP_vector_typeIfLj2EEiiiiS1_IjLj3EES5_S5_S5_
; %bb.0:
	s_clause 0x1
	s_load_b128 s[4:7], s[0:1], 0x10
	s_load_b32 s16, s[0:1], 0x50
	s_mov_b32 s2, ttmp9
	s_ashr_i32 s3, ttmp9, 31
	s_mov_b32 s17, 0
	s_delay_alu instid0(SALU_CYCLE_1) | instskip(SKIP_3) | instid1(SALU_CYCLE_1)
	s_mov_b32 s8, s17
	s_wait_kmcnt 0x0
	s_ashr_i32 s19, s7, 31
	s_mov_b32 s18, s7
	s_mul_u64 s[2:3], s[18:19], s[2:3]
	s_delay_alu instid0(SALU_CYCLE_1) | instskip(NEXT) | instid1(SALU_CYCLE_1)
	s_mov_b32 s9, s3
	s_cmp_lg_u64 s[8:9], 0
	s_cbranch_scc0 .LBB67_21
; %bb.1:
	s_add_nc_u64 s[8:9], s[16:17], 0
	s_mov_b32 s15, s17
	s_xor_b64 s[8:9], s[8:9], 0
	s_mov_b32 s23, s17
	s_cvt_f32_u32 s7, s8
	s_cvt_f32_u32 s10, s9
	s_sub_nc_u64 s[12:13], 0, s[8:9]
	s_delay_alu instid0(SALU_CYCLE_2) | instskip(NEXT) | instid1(SALU_CYCLE_3)
	s_fmamk_f32 s7, s10, 0x4f800000, s7
	v_s_rcp_f32 s7, s7
	s_delay_alu instid0(TRANS32_DEP_1) | instskip(SKIP_1) | instid1(SALU_CYCLE_2)
	s_mul_f32 s7, s7, 0x5f7ffffc
	s_wait_alu 0xfffe
	s_mul_f32 s10, s7, 0x2f800000
	s_delay_alu instid0(SALU_CYCLE_3) | instskip(NEXT) | instid1(SALU_CYCLE_3)
	s_trunc_f32 s10, s10
	s_fmamk_f32 s7, s10, 0xcf800000, s7
	s_cvt_u32_f32 s11, s10
	s_wait_alu 0xfffe
	s_delay_alu instid0(SALU_CYCLE_1) | instskip(NEXT) | instid1(SALU_CYCLE_3)
	s_cvt_u32_f32 s10, s7
	s_mul_u64 s[20:21], s[12:13], s[10:11]
	s_delay_alu instid0(SALU_CYCLE_1)
	s_mul_hi_u32 s25, s10, s21
	s_mul_i32 s24, s10, s21
	s_mul_hi_u32 s14, s10, s20
	s_mul_i32 s22, s11, s20
	s_add_nc_u64 s[14:15], s[14:15], s[24:25]
	s_mul_hi_u32 s7, s11, s20
	s_mul_hi_u32 s26, s11, s21
	s_add_co_u32 s14, s14, s22
	s_wait_alu 0xfffe
	s_add_co_ci_u32 s22, s15, s7
	s_mul_i32 s20, s11, s21
	s_add_co_ci_u32 s21, s26, 0
	s_delay_alu instid0(SALU_CYCLE_1)
	s_add_nc_u64 s[14:15], s[22:23], s[20:21]
	s_mov_b32 s21, s17
	s_add_co_u32 s10, s10, s14
	s_cselect_b32 s7, -1, 0
	s_wait_alu 0xfffe
	s_cmp_lg_u32 s7, 0
	s_add_co_ci_u32 s11, s11, s15
	s_mov_b32 s15, s17
	s_mul_u64 s[12:13], s[12:13], s[10:11]
	s_delay_alu instid0(SALU_CYCLE_1)
	s_mul_hi_u32 s23, s10, s13
	s_mul_i32 s22, s10, s13
	s_mul_hi_u32 s14, s10, s12
	s_mul_i32 s20, s11, s12
	s_add_nc_u64 s[14:15], s[14:15], s[22:23]
	s_mul_hi_u32 s7, s11, s12
	s_mul_hi_u32 s24, s11, s13
	s_mul_i32 s12, s11, s13
	s_add_co_u32 s13, s14, s20
	s_wait_alu 0xfffe
	s_add_co_ci_u32 s20, s15, s7
	s_add_co_ci_u32 s13, s24, 0
	s_mov_b32 s15, s17
	s_add_nc_u64 s[12:13], s[20:21], s[12:13]
	s_delay_alu instid0(SALU_CYCLE_1) | instskip(SKIP_1) | instid1(SALU_CYCLE_1)
	s_add_co_u32 s7, s10, s12
	s_cselect_b32 s10, -1, 0
	s_cmp_lg_u32 s10, 0
	s_add_co_ci_u32 s20, s11, s13
	s_ashr_i32 s10, s3, 31
	s_delay_alu instid0(SALU_CYCLE_1) | instskip(NEXT) | instid1(SALU_CYCLE_1)
	s_mov_b32 s11, s10
	s_add_nc_u64 s[12:13], s[2:3], s[10:11]
	s_delay_alu instid0(SALU_CYCLE_1) | instskip(NEXT) | instid1(SALU_CYCLE_1)
	s_xor_b64 s[12:13], s[12:13], s[10:11]
	s_mul_hi_u32 s23, s12, s20
	s_mul_i32 s22, s12, s20
	s_wait_alu 0xfffe
	s_mul_hi_u32 s14, s12, s7
	s_mul_hi_u32 s24, s13, s7
	s_mul_i32 s7, s13, s7
	s_add_nc_u64 s[14:15], s[14:15], s[22:23]
	s_mul_hi_u32 s3, s13, s20
	s_wait_alu 0xfffe
	s_add_co_u32 s7, s14, s7
	s_mul_i32 s22, s13, s20
	s_add_co_ci_u32 s20, s15, s24
	s_add_co_ci_u32 s23, s3, 0
	s_delay_alu instid0(SALU_CYCLE_1) | instskip(NEXT) | instid1(SALU_CYCLE_1)
	s_add_nc_u64 s[14:15], s[20:21], s[22:23]
	s_mul_u64 s[20:21], s[8:9], s[14:15]
	s_delay_alu instid0(SALU_CYCLE_1)
	s_sub_co_u32 s3, s12, s20
	s_cselect_b32 s7, -1, 0
	s_sub_co_i32 s12, s13, s21
	s_wait_alu 0xfffe
	s_cmp_lg_u32 s7, 0
	s_sub_co_ci_u32 s12, s12, s9
	s_sub_co_u32 s20, s3, s8
	s_cselect_b32 s22, -1, 0
	s_delay_alu instid0(SALU_CYCLE_1) | instskip(SKIP_2) | instid1(SALU_CYCLE_1)
	s_cmp_lg_u32 s22, 0
	s_add_nc_u64 s[22:23], s[14:15], 1
	s_sub_co_ci_u32 s12, s12, 0
	s_cmp_ge_u32 s12, s9
	s_cselect_b32 s24, -1, 0
	s_cmp_ge_u32 s20, s8
	s_cselect_b32 s20, -1, 0
	s_cmp_eq_u32 s12, s9
	s_cselect_b32 s12, s20, s24
	s_add_nc_u64 s[24:25], s[14:15], 2
	s_cmp_lg_u32 s12, 0
	s_cselect_b32 s12, s24, s22
	s_cselect_b32 s20, s25, s23
	s_cmp_lg_u32 s7, 0
	s_sub_co_ci_u32 s7, s13, s21
	s_wait_alu 0xfffe
	s_cmp_ge_u32 s7, s9
	s_cselect_b32 s13, -1, 0
	s_cmp_ge_u32 s3, s8
	s_cselect_b32 s3, -1, 0
	s_cmp_eq_u32 s7, s9
	s_cselect_b32 s3, s3, s13
	s_delay_alu instid0(SALU_CYCLE_1) | instskip(SKIP_4) | instid1(SALU_CYCLE_1)
	s_cmp_lg_u32 s3, 0
	s_mov_b32 s3, s17
	s_cselect_b32 s9, s20, s15
	s_cselect_b32 s8, s12, s14
	s_xor_b64 s[10:11], s[10:11], 0
	s_xor_b64 s[8:9], s[8:9], s[10:11]
	s_delay_alu instid0(SALU_CYCLE_1)
	s_sub_nc_u64 s[20:21], s[8:9], s[10:11]
	s_and_not1_b32 vcc_lo, exec_lo, s3
	s_cbranch_vccnz .LBB67_3
.LBB67_2:
	v_cvt_f32_u32_e32 v1, s16
	s_sub_co_i32 s7, 0, s16
	s_delay_alu instid0(VALU_DEP_1) | instskip(NEXT) | instid1(TRANS32_DEP_1)
	v_rcp_iflag_f32_e32 v1, v1
	v_mul_f32_e32 v1, 0x4f7ffffe, v1
	s_delay_alu instid0(VALU_DEP_1) | instskip(NEXT) | instid1(VALU_DEP_1)
	v_cvt_u32_f32_e32 v1, v1
	v_readfirstlane_b32 s3, v1
	s_wait_alu 0xfffe
	s_mul_i32 s7, s7, s3
	s_wait_alu 0xfffe
	s_mul_hi_u32 s7, s3, s7
	s_wait_alu 0xfffe
	s_add_co_i32 s3, s3, s7
	s_delay_alu instid0(SALU_CYCLE_1) | instskip(NEXT) | instid1(SALU_CYCLE_1)
	s_mul_hi_u32 s3, s2, s3
	s_mul_i32 s7, s3, s16
	s_wait_alu 0xfffe
	s_sub_co_i32 s2, s2, s7
	s_add_co_i32 s7, s3, 1
	s_sub_co_i32 s8, s2, s16
	s_cmp_ge_u32 s2, s16
	s_wait_alu 0xfffe
	s_cselect_b32 s3, s7, s3
	s_cselect_b32 s2, s8, s2
	s_add_co_i32 s7, s3, 1
	s_cmp_ge_u32 s2, s16
	s_wait_alu 0xfffe
	s_cselect_b32 s20, s7, s3
.LBB67_3:
	s_add_co_i32 s2, ttmp9, 1
	s_mov_b32 s8, 0
	s_ashr_i32 s3, s2, 31
	s_delay_alu instid0(SALU_CYCLE_1) | instskip(NEXT) | instid1(SALU_CYCLE_1)
	s_mul_u64 s[2:3], s[18:19], s[2:3]
	s_mov_b32 s9, s3
	s_delay_alu instid0(SALU_CYCLE_1)
	s_cmp_lg_u64 s[8:9], 0
	s_cbranch_scc0 .LBB67_22
; %bb.4:
	s_add_nc_u64 s[10:11], s[16:17], 0
	s_mov_b32 s23, s8
	s_xor_b64 s[10:11], s[10:11], 0
	s_mov_b32 s27, s8
	s_cvt_f32_u32 s7, s10
	s_cvt_f32_u32 s9, s11
	s_sub_nc_u64 s[14:15], 0, s[10:11]
	s_wait_alu 0xfffe
	s_delay_alu instid0(SALU_CYCLE_1) | instskip(SKIP_1) | instid1(SALU_CYCLE_2)
	s_fmamk_f32 s7, s9, 0x4f800000, s7
	s_wait_alu 0xfffe
	v_s_rcp_f32 s7, s7
	s_delay_alu instid0(TRANS32_DEP_1) | instskip(SKIP_1) | instid1(SALU_CYCLE_2)
	s_mul_f32 s7, s7, 0x5f7ffffc
	s_wait_alu 0xfffe
	s_mul_f32 s9, s7, 0x2f800000
	s_delay_alu instid0(SALU_CYCLE_3) | instskip(NEXT) | instid1(SALU_CYCLE_3)
	s_trunc_f32 s9, s9
	s_fmamk_f32 s7, s9, 0xcf800000, s7
	s_cvt_u32_f32 s13, s9
	s_wait_alu 0xfffe
	s_delay_alu instid0(SALU_CYCLE_1) | instskip(NEXT) | instid1(SALU_CYCLE_3)
	s_cvt_u32_f32 s12, s7
	s_mul_u64 s[24:25], s[14:15], s[12:13]
	s_delay_alu instid0(SALU_CYCLE_1)
	s_mul_hi_u32 s29, s12, s25
	s_mul_i32 s28, s12, s25
	s_mul_hi_u32 s22, s12, s24
	s_mul_i32 s9, s13, s24
	s_add_nc_u64 s[22:23], s[22:23], s[28:29]
	s_mul_hi_u32 s7, s13, s24
	s_mul_hi_u32 s21, s13, s25
	s_add_co_u32 s9, s22, s9
	s_wait_alu 0xfffe
	s_add_co_ci_u32 s26, s23, s7
	s_mul_i32 s24, s13, s25
	s_add_co_ci_u32 s25, s21, 0
	s_delay_alu instid0(SALU_CYCLE_1)
	s_add_nc_u64 s[22:23], s[26:27], s[24:25]
	s_mov_b32 s25, s8
	s_add_co_u32 s12, s12, s22
	s_cselect_b32 s7, -1, 0
	s_wait_alu 0xfffe
	s_cmp_lg_u32 s7, 0
	s_add_co_ci_u32 s13, s13, s23
	s_mov_b32 s23, s8
	s_mul_u64 s[14:15], s[14:15], s[12:13]
	s_delay_alu instid0(SALU_CYCLE_1)
	s_mul_hi_u32 s27, s12, s15
	s_mul_i32 s26, s12, s15
	s_mul_hi_u32 s22, s12, s14
	s_mul_i32 s9, s13, s14
	s_add_nc_u64 s[22:23], s[22:23], s[26:27]
	s_mul_hi_u32 s7, s13, s14
	s_mul_hi_u32 s21, s13, s15
	s_add_co_u32 s9, s22, s9
	s_wait_alu 0xfffe
	s_add_co_ci_u32 s24, s23, s7
	s_mul_i32 s14, s13, s15
	s_add_co_ci_u32 s15, s21, 0
	s_mov_b32 s23, s8
	s_add_nc_u64 s[14:15], s[24:25], s[14:15]
	s_delay_alu instid0(SALU_CYCLE_1) | instskip(SKIP_1) | instid1(SALU_CYCLE_1)
	s_add_co_u32 s7, s12, s14
	s_cselect_b32 s9, -1, 0
	s_cmp_lg_u32 s9, 0
	s_add_co_ci_u32 s9, s13, s15
	s_ashr_i32 s12, s3, 31
	s_delay_alu instid0(SALU_CYCLE_1) | instskip(NEXT) | instid1(SALU_CYCLE_1)
	s_mov_b32 s13, s12
	s_add_nc_u64 s[14:15], s[2:3], s[12:13]
	s_delay_alu instid0(SALU_CYCLE_1) | instskip(NEXT) | instid1(SALU_CYCLE_1)
	s_xor_b64 s[14:15], s[14:15], s[12:13]
	s_mul_hi_u32 s27, s14, s9
	s_mul_i32 s26, s14, s9
	s_wait_alu 0xfffe
	s_mul_hi_u32 s22, s14, s7
	s_mul_hi_u32 s21, s15, s7
	s_mul_i32 s7, s15, s7
	s_add_nc_u64 s[22:23], s[22:23], s[26:27]
	s_mul_hi_u32 s3, s15, s9
	s_wait_alu 0xfffe
	s_add_co_u32 s7, s22, s7
	s_add_co_ci_u32 s24, s23, s21
	s_mul_i32 s26, s15, s9
	s_add_co_ci_u32 s27, s3, 0
	s_delay_alu instid0(SALU_CYCLE_1) | instskip(NEXT) | instid1(SALU_CYCLE_1)
	s_add_nc_u64 s[22:23], s[24:25], s[26:27]
	s_mul_u64 s[24:25], s[10:11], s[22:23]
	s_add_nc_u64 s[26:27], s[22:23], 1
	s_sub_co_u32 s3, s14, s24
	s_cselect_b32 s7, -1, 0
	s_sub_co_i32 s9, s15, s25
	s_wait_alu 0xfffe
	s_cmp_lg_u32 s7, 0
	s_add_nc_u64 s[28:29], s[22:23], 2
	s_sub_co_ci_u32 s9, s9, s11
	s_sub_co_u32 s14, s3, s10
	s_cselect_b32 s21, -1, 0
	s_delay_alu instid0(SALU_CYCLE_1) | instskip(SKIP_1) | instid1(SALU_CYCLE_1)
	s_cmp_lg_u32 s21, 0
	s_sub_co_ci_u32 s9, s9, 0
	s_cmp_ge_u32 s9, s11
	s_cselect_b32 s21, -1, 0
	s_cmp_ge_u32 s14, s10
	s_cselect_b32 s14, -1, 0
	s_cmp_eq_u32 s9, s11
	s_cselect_b32 s9, s14, s21
	s_delay_alu instid0(SALU_CYCLE_1)
	s_cmp_lg_u32 s9, 0
	s_cselect_b32 s9, s28, s26
	s_cselect_b32 s14, s29, s27
	s_cmp_lg_u32 s7, 0
	s_sub_co_ci_u32 s7, s15, s25
	s_wait_alu 0xfffe
	s_cmp_ge_u32 s7, s11
	s_cselect_b32 s15, -1, 0
	s_cmp_ge_u32 s3, s10
	s_cselect_b32 s3, -1, 0
	s_cmp_eq_u32 s7, s11
	s_cselect_b32 s3, s3, s15
	s_delay_alu instid0(SALU_CYCLE_1) | instskip(SKIP_3) | instid1(SALU_CYCLE_1)
	s_cmp_lg_u32 s3, 0
	s_cselect_b32 s11, s14, s23
	s_cselect_b32 s10, s9, s22
	s_xor_b64 s[12:13], s[12:13], 0
	s_xor_b64 s[10:11], s[10:11], s[12:13]
	s_delay_alu instid0(SALU_CYCLE_1)
	s_sub_nc_u64 s[10:11], s[10:11], s[12:13]
	s_load_b96 s[12:14], s[0:1], 0x44
	s_and_not1_b32 vcc_lo, exec_lo, s8
	s_cbranch_vccnz .LBB67_6
.LBB67_5:
	v_cvt_f32_u32_e32 v1, s16
	s_sub_co_i32 s7, 0, s16
	s_delay_alu instid0(VALU_DEP_1) | instskip(NEXT) | instid1(TRANS32_DEP_1)
	v_rcp_iflag_f32_e32 v1, v1
	v_mul_f32_e32 v1, 0x4f7ffffe, v1
	s_delay_alu instid0(VALU_DEP_1) | instskip(NEXT) | instid1(VALU_DEP_1)
	v_cvt_u32_f32_e32 v1, v1
	v_readfirstlane_b32 s3, v1
	s_wait_alu 0xfffe
	s_mul_i32 s7, s7, s3
	s_wait_alu 0xfffe
	s_mul_hi_u32 s7, s3, s7
	s_wait_alu 0xfffe
	s_add_co_i32 s3, s3, s7
	s_delay_alu instid0(SALU_CYCLE_1) | instskip(NEXT) | instid1(SALU_CYCLE_1)
	s_mul_hi_u32 s3, s2, s3
	s_mul_i32 s7, s3, s16
	s_wait_alu 0xfffe
	s_sub_co_i32 s2, s2, s7
	s_add_co_i32 s7, s3, 1
	s_sub_co_i32 s8, s2, s16
	s_cmp_ge_u32 s2, s16
	s_wait_alu 0xfffe
	s_cselect_b32 s3, s7, s3
	s_cselect_b32 s2, s8, s2
	s_add_co_i32 s7, s3, 1
	s_cmp_ge_u32 s2, s16
	s_wait_alu 0xfffe
	s_cselect_b32 s10, s7, s3
.LBB67_6:
	s_mov_b32 s21, 0
	s_wait_kmcnt 0x0
	s_mov_b32 s22, s12
	s_mov_b32 s23, s21
	s_cmp_eq_u32 s20, s10
	s_mul_u64 s[2:3], s[20:21], s[22:23]
	s_cselect_b32 s7, -1, 0
	s_add_co_i32 s2, s3, s20
	s_mov_b32 s11, s21
	s_lshr_b32 s12, s2, s13
	s_mul_u64 s[2:3], s[10:11], s[22:23]
	s_mul_i32 s2, s12, s14
	s_delay_alu instid0(SALU_CYCLE_1) | instskip(SKIP_2) | instid1(SALU_CYCLE_1)
	s_cmp_eq_u32 s2, s20
	s_cselect_b32 s2, -1, 0
	s_add_co_i32 s3, s3, s10
	s_lshr_b32 s3, s3, s13
	s_delay_alu instid0(SALU_CYCLE_1)
	s_cmp_eq_u32 s12, s3
	s_mul_i32 s3, s3, s14
	s_cselect_b32 s8, -1, 0
	s_cmp_lg_u32 s3, s10
	s_cselect_b32 s3, -1, 0
	s_wait_alu 0xfffe
	s_or_b32 s2, s7, s2
	s_and_b32 s3, s8, s3
	s_delay_alu instid0(SALU_CYCLE_1) | instskip(NEXT) | instid1(SALU_CYCLE_1)
	s_or_b32 s2, s2, s3
	s_and_b32 vcc_lo, exec_lo, s2
	s_cbranch_vccnz .LBB67_24
; %bb.7:
	s_load_b256 s[24:31], s[0:1], 0x20
	s_mov_b32 s3, s21
	s_and_b32 s15, ttmp7, 0xffff
	s_wait_kmcnt 0x0
	s_mov_b32 s2, s24
	s_delay_alu instid0(SALU_CYCLE_1) | instskip(NEXT) | instid1(SALU_CYCLE_1)
	s_mul_u64 s[2:3], s[20:21], s[2:3]
	s_add_co_i32 s2, s3, s20
	s_delay_alu instid0(SALU_CYCLE_1) | instskip(SKIP_4) | instid1(SALU_CYCLE_1)
	s_lshr_b32 s3, s2, s25
	s_load_b32 s2, s[0:1], 0x40
	s_mul_i32 s7, s3, s26
	s_wait_alu 0xfffe
	s_sub_co_i32 s8, s20, s7
	s_mul_hi_u32 s7, s8, s27
	s_wait_alu 0xfffe
	s_add_co_i32 s7, s8, s7
	s_wait_alu 0xfffe
	s_lshr_b32 s7, s7, s28
	s_wait_alu 0xfffe
	s_mul_i32 s9, s7, s29
	s_delay_alu instid0(SALU_CYCLE_1) | instskip(NEXT) | instid1(SALU_CYCLE_1)
	s_sub_co_i32 s8, s8, s9
	s_mul_hi_u32 s9, s8, s30
	s_delay_alu instid0(SALU_CYCLE_1) | instskip(NEXT) | instid1(SALU_CYCLE_1)
	s_add_co_i32 s9, s8, s9
	s_lshr_b32 s24, s9, s31
	s_mov_b32 s9, s21
	s_wait_kmcnt 0x0
	s_mul_i32 s2, s24, s2
	s_delay_alu instid0(SALU_CYCLE_1) | instskip(NEXT) | instid1(SALU_CYCLE_1)
	s_sub_co_i32 s8, s8, s2
	s_mul_u64 s[10:11], s[8:9], s[22:23]
	s_delay_alu instid0(SALU_CYCLE_1) | instskip(NEXT) | instid1(SALU_CYCLE_1)
	s_add_co_i32 s2, s8, s11
	s_lshr_b32 s21, s2, s13
	s_delay_alu instid0(SALU_CYCLE_1) | instskip(NEXT) | instid1(SALU_CYCLE_1)
	s_lshl_b32 s2, s21, 2
	s_add_co_i32 s8, s2, s15
	s_lshr_b32 s2, ttmp7, 16
	s_cmp_lt_i32 s8, s4
	s_cselect_b32 s8, -1, 0
	s_add_co_i32 s9, s24, s2
	s_delay_alu instid0(SALU_CYCLE_1) | instskip(SKIP_1) | instid1(SALU_CYCLE_1)
	s_cmp_lt_i32 s9, s6
	s_cselect_b32 s9, -1, 0
	s_and_b32 s8, s8, s9
	s_delay_alu instid0(SALU_CYCLE_1)
	s_and_not1_b32 vcc_lo, exec_lo, s8
	s_cbranch_vccnz .LBB67_24
; %bb.8:
	s_mul_i32 s3, s3, s4
	s_mul_i32 s7, s7, s6
	s_add_co_i32 s3, s3, s15
	s_load_b128 s[8:11], s[0:1], 0x0
	s_mul_i32 s3, s3, s5
	s_mul_i32 s1, s5, s21
	s_add_co_i32 s3, s3, s2
	s_lshl_b32 s1, s1, 9
	s_add_co_i32 s0, s3, s7
	s_add_co_i32 s15, s15, s2
	;; [unrolled: 1-line block ×3, first 2 shown]
	v_cvt_f32_u32_e32 v4, s16
	s_lshl_b32 s0, s0, 7
	s_add_co_i32 s34, ttmp9, -1
	s_add_co_i32 s1, s1, s0
	s_delay_alu instid0(VALU_DEP_1)
	v_rcp_iflag_f32_e32 v4, v4
	v_or_b32_e32 v1, s1, v0
	s_add_nc_u64 s[0:1], s[16:17], 0
	v_lshl_or_b32 v0, s15, 7, v0
	s_wait_alu 0xfffe
	s_xor_b64 s[6:7], s[0:1], 0
	s_lshl_b32 s0, ttmp9, 2
	v_ashrrev_i32_e32 v2, 31, v1
	s_wait_alu 0xfffe
	s_cvt_f32_u32 s1, s6
	s_cvt_f32_u32 s2, s7
	s_add_co_i32 s0, s0, s15
	s_sub_nc_u64 s[30:31], 0, s[6:7]
	v_lshlrev_b64_e32 v[1:2], 2, v[1:2]
	s_wait_alu 0xfffe
	s_fmamk_f32 s2, s2, 0x4f800000, s1
	s_ashr_i32 s1, s0, 31
	s_wait_alu 0xfffe
	s_lshl_b64 s[0:1], s[0:1], 3
	v_s_rcp_f32 s2, s2
	s_wait_kmcnt 0x0
	v_add_co_u32 v1, vcc_lo, s8, v1
	s_delay_alu instid0(VALU_DEP_1)
	v_add_co_ci_u32_e64 v2, null, s9, v2, vcc_lo
	s_wait_alu 0xfffe
	s_add_nc_u64 s[0:1], s[10:11], s[0:1]
	s_mov_b32 s8, 0
	s_load_b64 s[26:27], s[0:1], 0x0
	global_load_b32 v3, v[1:2], off
	s_mul_f32 s2, s2, 0x5f7ffffc
	v_mul_f32_e32 v4, 0x4f7ffffe, v4
	s_lshl_b32 s0, s16, 4
	s_wait_alu 0xfffe
	s_mul_f32 s1, s2, 0x2f800000
	s_wait_alu 0xfffe
	s_delay_alu instid0(SALU_CYCLE_2)
	s_trunc_f32 s3, s1
	s_mov_b32 s1, s8
	s_wait_alu 0xfffe
	s_lshl_b64 s[0:1], s[0:1], 2
	s_fmamk_f32 s2, s3, 0xcf800000, s2
	s_cvt_u32_f32 s29, s3
	s_wait_alu 0xfffe
	s_add_nc_u64 s[24:25], s[10:11], s[0:1]
	s_cvt_u32_f32 s28, s2
	s_wait_kmcnt 0x0
	v_mov_b32_e32 v5, s27
	v_cvt_u32_f32_e32 v4, v4
.LBB67_9:                               ; =>This Inner Loop Header: Depth=1
	s_wait_alu 0xfffe
	s_ashr_i32 s35, s34, 31
	s_mov_b32 s2, -1
	s_wait_alu 0xfffe
	s_mul_u64 s[0:1], s[34:35], s[18:19]
                                        ; implicit-def: $sgpr38_sgpr39
	s_wait_alu 0xfffe
	s_mov_b32 s9, s1
	s_wait_alu 0xfffe
	s_cmp_lg_u64 s[8:9], 0
	s_cbranch_scc0 .LBB67_11
; %bb.10:                               ;   in Loop: Header=BB67_9 Depth=1
	s_mul_u64 s[2:3], s[30:31], s[28:29]
	s_mov_b32 s37, s8
	s_wait_alu 0xfffe
	s_mul_hi_u32 s5, s28, s3
	s_mul_i32 s4, s28, s3
	s_mul_hi_u32 s36, s28, s2
	s_mul_hi_u32 s9, s29, s2
	s_wait_alu 0xfffe
	s_add_nc_u64 s[4:5], s[36:37], s[4:5]
	s_mul_i32 s2, s29, s2
	s_mul_hi_u32 s17, s29, s3
	s_wait_alu 0xfffe
	s_add_co_u32 s2, s4, s2
	s_add_co_ci_u32 s2, s5, s9
	s_add_co_ci_u32 s5, s17, 0
	s_mul_i32 s4, s29, s3
	s_mov_b32 s3, s8
	s_mov_b32 s39, s8
	s_wait_alu 0xfffe
	s_add_nc_u64 s[2:3], s[2:3], s[4:5]
	s_wait_alu 0xfffe
	s_add_co_u32 s2, s28, s2
	s_cselect_b32 s4, -1, 0
	s_wait_alu 0xfffe
	s_cmp_lg_u32 s4, 0
	s_add_co_ci_u32 s3, s29, s3
	s_wait_alu 0xfffe
	s_mul_u64 s[4:5], s[30:31], s[2:3]
	s_wait_alu 0xfffe
	s_mul_hi_u32 s37, s2, s5
	s_mul_i32 s36, s2, s5
	s_mul_hi_u32 s38, s2, s4
	s_mul_hi_u32 s9, s3, s4
	s_mul_i32 s4, s3, s4
	s_wait_alu 0xfffe
	s_add_nc_u64 s[36:37], s[38:39], s[36:37]
	s_mul_hi_u32 s17, s3, s5
	s_wait_alu 0xfffe
	s_add_co_u32 s4, s36, s4
	s_add_co_ci_u32 s4, s37, s9
	s_add_co_ci_u32 s37, s17, 0
	s_mul_i32 s36, s3, s5
	s_mov_b32 s5, s8
	s_wait_alu 0xfffe
	s_add_nc_u64 s[4:5], s[4:5], s[36:37]
	s_mov_b32 s37, s8
	s_wait_alu 0xfffe
	s_add_co_u32 s9, s2, s4
	s_cselect_b32 s2, -1, 0
	s_wait_alu 0xfffe
	s_cmp_lg_u32 s2, 0
	s_add_co_ci_u32 s17, s3, s5
	s_ashr_i32 s2, s1, 31
	s_wait_alu 0xfffe
	s_mov_b32 s3, s2
	s_wait_alu 0xfffe
	s_add_nc_u64 s[4:5], s[0:1], s[2:3]
	s_wait_alu 0xfffe
	s_xor_b64 s[4:5], s[4:5], s[2:3]
	s_wait_alu 0xfffe
	s_mul_hi_u32 s39, s4, s17
	s_mul_i32 s38, s4, s17
	s_mul_hi_u32 s36, s4, s9
	s_mul_i32 s21, s5, s9
	s_wait_alu 0xfffe
	s_add_nc_u64 s[36:37], s[36:37], s[38:39]
	s_mul_hi_u32 s9, s5, s9
	s_mul_hi_u32 s1, s5, s17
	s_wait_alu 0xfffe
	s_add_co_u32 s21, s36, s21
	s_add_co_ci_u32 s36, s37, s9
	s_add_co_ci_u32 s39, s1, 0
	s_mul_i32 s38, s5, s17
	s_mov_b32 s37, s8
	s_wait_alu 0xfffe
	s_add_nc_u64 s[36:37], s[36:37], s[38:39]
	s_wait_alu 0xfffe
	s_mul_u64 s[38:39], s[6:7], s[36:37]
	s_add_nc_u64 s[40:41], s[36:37], 1
	s_sub_co_u32 s1, s4, s38
	s_cselect_b32 s4, -1, 0
	s_sub_co_i32 s9, s5, s39
	s_wait_alu 0xfffe
	s_cmp_lg_u32 s4, 0
	s_add_nc_u64 s[42:43], s[36:37], 2
	s_sub_co_ci_u32 s9, s9, s7
	s_sub_co_u32 s17, s1, s6
	s_cselect_b32 s21, -1, 0
	s_delay_alu instid0(SALU_CYCLE_1)
	s_cmp_lg_u32 s21, 0
	s_wait_alu 0xfffe
	s_sub_co_ci_u32 s9, s9, 0
	s_wait_alu 0xfffe
	s_cmp_ge_u32 s9, s7
	s_cselect_b32 s21, -1, 0
	s_cmp_ge_u32 s17, s6
	s_cselect_b32 s17, -1, 0
	s_cmp_eq_u32 s9, s7
	s_wait_alu 0xfffe
	s_cselect_b32 s9, s17, s21
	s_wait_alu 0xfffe
	s_cmp_lg_u32 s9, 0
	s_cselect_b32 s9, s42, s40
	s_cselect_b32 s17, s43, s41
	s_cmp_lg_u32 s4, 0
	s_sub_co_ci_u32 s4, s5, s39
	s_wait_alu 0xfffe
	s_cmp_ge_u32 s4, s7
	s_cselect_b32 s5, -1, 0
	s_cmp_ge_u32 s1, s6
	s_cselect_b32 s1, -1, 0
	s_cmp_eq_u32 s4, s7
	s_wait_alu 0xfffe
	s_cselect_b32 s1, s1, s5
	s_wait_alu 0xfffe
	s_cmp_lg_u32 s1, 0
	s_cselect_b32 s5, s17, s37
	s_cselect_b32 s4, s9, s36
	s_xor_b64 s[2:3], s[2:3], 0
	s_wait_alu 0xfffe
	s_xor_b64 s[4:5], s[4:5], s[2:3]
	s_wait_alu 0xfffe
	s_sub_nc_u64 s[38:39], s[4:5], s[2:3]
	s_mov_b32 s2, 0
.LBB67_11:                              ;   in Loop: Header=BB67_9 Depth=1
	s_wait_alu 0xfffe
	s_and_not1_b32 vcc_lo, exec_lo, s2
	s_wait_alu 0xfffe
	s_cbranch_vccnz .LBB67_13
; %bb.12:                               ;   in Loop: Header=BB67_9 Depth=1
	v_readfirstlane_b32 s1, v4
	s_sub_co_i32 s2, 0, s16
	s_wait_alu 0xfffe
	s_mul_i32 s2, s2, s1
	s_wait_alu 0xfffe
	s_mul_hi_u32 s2, s1, s2
	s_wait_alu 0xfffe
	s_add_co_i32 s1, s1, s2
	s_wait_alu 0xfffe
	s_mul_hi_u32 s1, s0, s1
	s_wait_alu 0xfffe
	s_mul_i32 s2, s1, s16
	s_wait_alu 0xfffe
	s_sub_co_i32 s0, s0, s2
	s_add_co_i32 s2, s1, 1
	s_wait_alu 0xfffe
	s_sub_co_i32 s3, s0, s16
	s_cmp_ge_u32 s0, s16
	s_cselect_b32 s1, s2, s1
	s_wait_alu 0xfffe
	s_cselect_b32 s0, s3, s0
	s_add_co_i32 s2, s1, 1
	s_wait_alu 0xfffe
	s_cmp_ge_u32 s0, s16
	s_cselect_b32 s38, s2, s1
.LBB67_13:                              ;   in Loop: Header=BB67_9 Depth=1
	v_readfirstlane_b32 s9, v0
	s_cmp_lg_u32 s20, s38
	s_mov_b32 s0, -1
                                        ; implicit-def: $sgpr21
                                        ; implicit-def: $vgpr6
                                        ; implicit-def: $vgpr7
                                        ; implicit-def: $sgpr17
                                        ; implicit-def: $sgpr27
	s_cbranch_scc1 .LBB67_16
; %bb.14:                               ;   in Loop: Header=BB67_9 Depth=1
	s_wait_alu 0xfffe
	s_and_not1_b32 vcc_lo, exec_lo, s0
	s_wait_alu 0xfffe
	s_cbranch_vccz .LBB67_19
.LBB67_15:                              ;   in Loop: Header=BB67_9 Depth=1
	s_and_not1_b32 vcc_lo, exec_lo, s21
	s_wait_alu 0xfffe
	s_cbranch_vccnz .LBB67_20
	s_branch .LBB67_23
.LBB67_16:                              ;   in Loop: Header=BB67_9 Depth=1
	s_add_co_i32 s0, s34, s16
	s_mov_b32 s1, s8
	s_wait_alu 0xfffe
	s_lshl_b32 s0, s0, 2
	v_max_num_f32_e64 v6, s26, s26
	s_wait_alu 0xfffe
	s_add_co_i32 s0, s0, s15
	s_mov_b32 s39, s8
	s_wait_alu 0xfffe
	s_lshl_b64 s[0:1], s[0:1], 3
	s_mul_u64 s[40:41], s[38:39], s[22:23]
	s_wait_alu 0xfffe
	s_add_nc_u64 s[0:1], s[10:11], s[0:1]
	s_mov_b32 s27, s20
	s_load_b64 s[36:37], s[0:1], 0x0
	v_readfirstlane_b32 s0, v6
	s_wait_kmcnt 0x0
	v_max_num_f32_e64 v7, s36, s36
	s_delay_alu instid0(VALU_DEP_1) | instskip(SKIP_2) | instid1(SALU_CYCLE_2)
	v_readfirstlane_b32 s1, v7
	s_max_num_f32 s9, s0, s1
	s_wait_alu 0xfffe
	s_sub_f32 s33, s26, s9
	s_sub_f32 s35, s36, s9
	s_wait_alu 0xfffe
	s_delay_alu instid0(SALU_CYCLE_1)
	s_cmp_nlt_f32 s33, 0xc2ce8ed0
	s_cselect_b32 s0, -1, 0
	s_cmp_ngt_f32 s33, 0x42b17218
	s_cselect_b32 s1, -1, 0
	s_cmp_ge_f32 s33, 0xc1a00000
	s_cselect_b32 s2, -1, 0
	s_cmp_nlt_f32 s35, 0xc2ce8ed0
	s_cselect_b32 s3, -1, 0
	s_cmp_ngt_f32 s35, 0x42b17218
	s_cselect_b32 s4, -1, 0
	s_cmp_ge_f32 s35, 0xc1a00000
	s_cselect_b32 s5, -1, 0
	s_add_co_i32 s17, s41, s38
	s_wait_alu 0xfffe
	s_lshr_b32 s17, s17, s13
	s_wait_alu 0xfffe
	s_mul_i32 s21, s17, s14
	s_delay_alu instid0(SALU_CYCLE_1)
	s_cmp_eq_u32 s21, s38
	s_cselect_b32 s21, -1, 0
	s_cmp_lt_u32 s17, s12
	s_cselect_b32 s17, -1, 0
	s_wait_alu 0xfffe
	s_or_b32 s17, s17, s21
	s_mov_b32 s21, -1
	s_wait_alu 0xfffe
	s_and_b32 vcc_lo, exec_lo, s17
	s_mov_b32 s17, s34
	s_wait_alu 0xfffe
	s_cbranch_vccnz .LBB67_18
; %bb.17:                               ;   in Loop: Header=BB67_9 Depth=1
	s_add_co_i32 s17, s34, -1
	s_mov_b32 s21, 0
	s_mov_b32 s27, s38
.LBB67_18:                              ;   in Loop: Header=BB67_9 Depth=1
	v_lshl_add_u32 v6, s34, 9, v0
	s_mul_f32 s36, s35, 0x3fb8aa3b
	s_mul_f32 s38, s33, 0x3fb8aa3b
	s_wait_alu 0xfffe
	s_delay_alu instid0(SALU_CYCLE_1)
	s_xor_b32 s39, s36, 0x80000000
	v_ashrrev_i32_e32 v7, 31, v6
	s_rndne_f32 s40, s36
	s_fmamk_f32 s39, s35, 0x3fb8aa3b, s39
	s_xor_b32 s41, s38, 0x80000000
	s_rndne_f32 s42, s38
	v_lshlrev_b64_e32 v[6:7], 2, v[6:7]
	s_sub_f32 s36, s36, s40
	s_fmamk_f32 s35, s35, 0x32a5705f, s39
	s_fmamk_f32 s39, s33, 0x3fb8aa3b, s41
	s_sub_f32 s38, s38, s42
	s_delay_alu instid0(VALU_DEP_1)
	v_add_co_u32 v6, vcc_lo, s24, v6
	s_wait_alu 0xfffd
	v_add_co_ci_u32_e64 v7, null, s25, v7, vcc_lo
	s_wait_alu 0xfffe
	s_add_f32 s35, s36, s35
	s_fmamk_f32 s33, s33, 0x32a5705f, s39
	s_cvt_i32_f32 s36, s40
	global_load_b32 v6, v[6:7], off
	s_wait_alu 0xfffe
	v_s_exp_f32 s35, s35
	s_add_f32 s33, s38, s33
	s_wait_alu 0xfffe
	s_delay_alu instid0(SALU_CYCLE_2) | instskip(NEXT) | instid1(TRANS32_DEP_2)
	v_s_exp_f32 s33, s33
	v_ldexp_f32 v7, s35, s36
	s_cvt_i32_f32 s35, s42
	s_wait_alu 0xf1fe
	s_delay_alu instid0(TRANS32_DEP_1) | instid1(SALU_CYCLE_2)
	v_ldexp_f32 v8, s33, s35
	s_delay_alu instid0(VALU_DEP_2) | instskip(NEXT) | instid1(VALU_DEP_2)
	v_cndmask_b32_e64 v7, 0, v7, s3
	v_cndmask_b32_e64 v8, 0, v8, s0
	s_delay_alu instid0(VALU_DEP_2) | instskip(NEXT) | instid1(VALU_DEP_2)
	v_cndmask_b32_e64 v7, 0x7f800000, v7, s4
	v_cndmask_b32_e64 v8, 0x7f800000, v8, s1
	s_delay_alu instid0(VALU_DEP_2) | instskip(NEXT) | instid1(VALU_DEP_2)
	v_cndmask_b32_e64 v7, 0, v7, s5
	v_cndmask_b32_e64 v8, 0, v8, s2
	s_wait_loadcnt 0x0
	s_delay_alu instid0(VALU_DEP_2) | instskip(SKIP_1) | instid1(VALU_DEP_1)
	v_mul_f32_e32 v6, v6, v7
	v_mul_f32_e32 v7, s37, v7
	v_fmac_f32_e32 v7, v5, v8
	s_delay_alu instid0(VALU_DEP_3)
	v_fmac_f32_e32 v6, v3, v8
	s_cbranch_execnz .LBB67_15
.LBB67_19:                              ;   in Loop: Header=BB67_9 Depth=1
	s_wait_loadcnt 0x0
	v_dual_mov_b32 v7, v5 :: v_dual_mov_b32 v6, v3
	s_add_co_i32 s17, s34, -1
	s_mov_b32 s27, s20
	s_mov_b32 s9, s26
	s_cbranch_execz .LBB67_23
.LBB67_20:                              ;   in Loop: Header=BB67_9 Depth=1
	v_mov_b32_e32 v5, v7
	s_wait_loadcnt 0x0
	v_mov_b32_e32 v3, v6
	s_wait_alu 0xfffe
	s_mov_b32 s20, s27
	s_mov_b32 s34, s17
	;; [unrolled: 1-line block ×3, first 2 shown]
	s_branch .LBB67_9
.LBB67_21:
                                        ; implicit-def: $sgpr20_sgpr21
	s_branch .LBB67_2
.LBB67_22:
                                        ; implicit-def: $sgpr10_sgpr11
	s_load_b96 s[12:14], s[0:1], 0x44
	s_branch .LBB67_5
.LBB67_23:
	v_div_scale_f32 v0, null, v7, v7, v6
	s_wait_loadcnt 0x0
	s_delay_alu instid0(VALU_DEP_1) | instskip(NEXT) | instid1(TRANS32_DEP_1)
	v_rcp_f32_e32 v3, v0
	v_fma_f32 v4, -v0, v3, 1.0
	s_delay_alu instid0(VALU_DEP_1) | instskip(SKIP_1) | instid1(VALU_DEP_1)
	v_fmac_f32_e32 v3, v4, v3
	v_div_scale_f32 v4, vcc_lo, v6, v7, v6
	v_mul_f32_e32 v5, v4, v3
	s_delay_alu instid0(VALU_DEP_1) | instskip(NEXT) | instid1(VALU_DEP_1)
	v_fma_f32 v8, -v0, v5, v4
	v_fmac_f32_e32 v5, v8, v3
	s_delay_alu instid0(VALU_DEP_1) | instskip(SKIP_1) | instid1(VALU_DEP_1)
	v_fma_f32 v0, -v0, v5, v4
	s_wait_alu 0xfffd
	v_div_fmas_f32 v0, v0, v3, v5
	s_delay_alu instid0(VALU_DEP_1)
	v_div_fixup_f32 v0, v0, v7, v6
	global_store_b32 v[1:2], v0, off
.LBB67_24:
	s_endpgm
	.section	.rodata,"a",@progbits
	.p2align	6, 0x0
	.amdhsa_kernel _ZL33flash_attn_stream_k_fixup_generalILi128ELi4ELi1EEvPfPK15HIP_vector_typeIfLj2EEiiiiS1_IjLj3EES5_S5_S5_
		.amdhsa_group_segment_fixed_size 0
		.amdhsa_private_segment_fixed_size 0
		.amdhsa_kernarg_size 336
		.amdhsa_user_sgpr_count 2
		.amdhsa_user_sgpr_dispatch_ptr 0
		.amdhsa_user_sgpr_queue_ptr 0
		.amdhsa_user_sgpr_kernarg_segment_ptr 1
		.amdhsa_user_sgpr_dispatch_id 0
		.amdhsa_user_sgpr_private_segment_size 0
		.amdhsa_wavefront_size32 1
		.amdhsa_uses_dynamic_stack 0
		.amdhsa_enable_private_segment 0
		.amdhsa_system_sgpr_workgroup_id_x 1
		.amdhsa_system_sgpr_workgroup_id_y 1
		.amdhsa_system_sgpr_workgroup_id_z 1
		.amdhsa_system_sgpr_workgroup_info 0
		.amdhsa_system_vgpr_workitem_id 0
		.amdhsa_next_free_vgpr 9
		.amdhsa_next_free_sgpr 44
		.amdhsa_reserve_vcc 1
		.amdhsa_float_round_mode_32 0
		.amdhsa_float_round_mode_16_64 0
		.amdhsa_float_denorm_mode_32 3
		.amdhsa_float_denorm_mode_16_64 3
		.amdhsa_fp16_overflow 0
		.amdhsa_workgroup_processor_mode 1
		.amdhsa_memory_ordered 1
		.amdhsa_forward_progress 1
		.amdhsa_inst_pref_size 28
		.amdhsa_round_robin_scheduling 0
		.amdhsa_exception_fp_ieee_invalid_op 0
		.amdhsa_exception_fp_denorm_src 0
		.amdhsa_exception_fp_ieee_div_zero 0
		.amdhsa_exception_fp_ieee_overflow 0
		.amdhsa_exception_fp_ieee_underflow 0
		.amdhsa_exception_fp_ieee_inexact 0
		.amdhsa_exception_int_div_zero 0
	.end_amdhsa_kernel
	.section	.text._ZL33flash_attn_stream_k_fixup_generalILi128ELi4ELi1EEvPfPK15HIP_vector_typeIfLj2EEiiiiS1_IjLj3EES5_S5_S5_,"axG",@progbits,_ZL33flash_attn_stream_k_fixup_generalILi128ELi4ELi1EEvPfPK15HIP_vector_typeIfLj2EEiiiiS1_IjLj3EES5_S5_S5_,comdat
.Lfunc_end67:
	.size	_ZL33flash_attn_stream_k_fixup_generalILi128ELi4ELi1EEvPfPK15HIP_vector_typeIfLj2EEiiiiS1_IjLj3EES5_S5_S5_, .Lfunc_end67-_ZL33flash_attn_stream_k_fixup_generalILi128ELi4ELi1EEvPfPK15HIP_vector_typeIfLj2EEiiiiS1_IjLj3EES5_S5_S5_
                                        ; -- End function
	.set _ZL33flash_attn_stream_k_fixup_generalILi128ELi4ELi1EEvPfPK15HIP_vector_typeIfLj2EEiiiiS1_IjLj3EES5_S5_S5_.num_vgpr, 9
	.set _ZL33flash_attn_stream_k_fixup_generalILi128ELi4ELi1EEvPfPK15HIP_vector_typeIfLj2EEiiiiS1_IjLj3EES5_S5_S5_.num_agpr, 0
	.set _ZL33flash_attn_stream_k_fixup_generalILi128ELi4ELi1EEvPfPK15HIP_vector_typeIfLj2EEiiiiS1_IjLj3EES5_S5_S5_.numbered_sgpr, 44
	.set _ZL33flash_attn_stream_k_fixup_generalILi128ELi4ELi1EEvPfPK15HIP_vector_typeIfLj2EEiiiiS1_IjLj3EES5_S5_S5_.num_named_barrier, 0
	.set _ZL33flash_attn_stream_k_fixup_generalILi128ELi4ELi1EEvPfPK15HIP_vector_typeIfLj2EEiiiiS1_IjLj3EES5_S5_S5_.private_seg_size, 0
	.set _ZL33flash_attn_stream_k_fixup_generalILi128ELi4ELi1EEvPfPK15HIP_vector_typeIfLj2EEiiiiS1_IjLj3EES5_S5_S5_.uses_vcc, 1
	.set _ZL33flash_attn_stream_k_fixup_generalILi128ELi4ELi1EEvPfPK15HIP_vector_typeIfLj2EEiiiiS1_IjLj3EES5_S5_S5_.uses_flat_scratch, 0
	.set _ZL33flash_attn_stream_k_fixup_generalILi128ELi4ELi1EEvPfPK15HIP_vector_typeIfLj2EEiiiiS1_IjLj3EES5_S5_S5_.has_dyn_sized_stack, 0
	.set _ZL33flash_attn_stream_k_fixup_generalILi128ELi4ELi1EEvPfPK15HIP_vector_typeIfLj2EEiiiiS1_IjLj3EES5_S5_S5_.has_recursion, 0
	.set _ZL33flash_attn_stream_k_fixup_generalILi128ELi4ELi1EEvPfPK15HIP_vector_typeIfLj2EEiiiiS1_IjLj3EES5_S5_S5_.has_indirect_call, 0
	.section	.AMDGPU.csdata,"",@progbits
; Kernel info:
; codeLenInByte = 3556
; TotalNumSgprs: 46
; NumVgprs: 9
; ScratchSize: 0
; MemoryBound: 0
; FloatMode: 240
; IeeeMode: 1
; LDSByteSize: 0 bytes/workgroup (compile time only)
; SGPRBlocks: 0
; VGPRBlocks: 1
; NumSGPRsForWavesPerEU: 46
; NumVGPRsForWavesPerEU: 9
; Occupancy: 16
; WaveLimiterHint : 0
; COMPUTE_PGM_RSRC2:SCRATCH_EN: 0
; COMPUTE_PGM_RSRC2:USER_SGPR: 2
; COMPUTE_PGM_RSRC2:TRAP_HANDLER: 0
; COMPUTE_PGM_RSRC2:TGID_X_EN: 1
; COMPUTE_PGM_RSRC2:TGID_Y_EN: 1
; COMPUTE_PGM_RSRC2:TGID_Z_EN: 1
; COMPUTE_PGM_RSRC2:TIDIG_COMP_CNT: 0
	.section	.text._ZL15flash_attn_tileILi128ELi128ELi2ELi1ELb0EEvPKcS1_S1_S1_S1_PKiPfP15HIP_vector_typeIfLj2EEffffjfiS5_IjLj3EEiiiiiiiiiiiliiliiiiil,"axG",@progbits,_ZL15flash_attn_tileILi128ELi128ELi2ELi1ELb0EEvPKcS1_S1_S1_S1_PKiPfP15HIP_vector_typeIfLj2EEffffjfiS5_IjLj3EEiiiiiiiiiiiliiliiiiil,comdat
	.globl	_ZL15flash_attn_tileILi128ELi128ELi2ELi1ELb0EEvPKcS1_S1_S1_S1_PKiPfP15HIP_vector_typeIfLj2EEffffjfiS5_IjLj3EEiiiiiiiiiiiliiliiiiil ; -- Begin function _ZL15flash_attn_tileILi128ELi128ELi2ELi1ELb0EEvPKcS1_S1_S1_S1_PKiPfP15HIP_vector_typeIfLj2EEffffjfiS5_IjLj3EEiiiiiiiiiiiliiliiiiil
	.p2align	8
	.type	_ZL15flash_attn_tileILi128ELi128ELi2ELi1ELb0EEvPKcS1_S1_S1_S1_PKiPfP15HIP_vector_typeIfLj2EEffffjfiS5_IjLj3EEiiiiiiiiiiiliiliiiiil,@function
_ZL15flash_attn_tileILi128ELi128ELi2ELi1ELb0EEvPKcS1_S1_S1_S1_PKiPfP15HIP_vector_typeIfLj2EEffffjfiS5_IjLj3EEiiiiiiiiiiiliiliiiiil: ; @_ZL15flash_attn_tileILi128ELi128ELi2ELi1ELb0EEvPKcS1_S1_S1_S1_PKiPfP15HIP_vector_typeIfLj2EEffffjfiS5_IjLj3EEiiiiiiiiiiiliiliiiiil
; %bb.0:
	s_clause 0x1
	s_load_b128 s[20:23], s[0:1], 0x5c
	s_load_b64 s[2:3], s[0:1], 0x80
	s_lshr_b32 s6, ttmp7, 16
	s_load_b64 s[38:39], s[0:1], 0xb8
	s_mov_b32 s37, 0
	s_mov_b64 s[34:35], 0
	s_wait_kmcnt 0x0
	s_cvt_f32_u32 s4, s23
	s_sub_co_i32 s5, 0, s23
	s_delay_alu instid0(SALU_CYCLE_2) | instskip(NEXT) | instid1(TRANS32_DEP_1)
	v_rcp_iflag_f32_e32 v1, s4
	v_readfirstlane_b32 s4, v1
	s_mul_f32 s4, s4, 0x4f7ffffe
	s_wait_alu 0xfffe
	s_delay_alu instid0(SALU_CYCLE_2) | instskip(SKIP_1) | instid1(SALU_CYCLE_2)
	s_cvt_u32_f32 s4, s4
	s_wait_alu 0xfffe
	s_mul_i32 s5, s5, s4
	s_wait_alu 0xfffe
	s_mul_hi_u32 s5, s4, s5
	s_wait_alu 0xfffe
	s_add_co_i32 s4, s4, s5
	s_wait_alu 0xfffe
	s_mul_hi_u32 s4, s6, s4
	s_wait_alu 0xfffe
	s_mul_i32 s5, s4, s23
	s_add_co_i32 s7, s4, 1
	s_wait_alu 0xfffe
	s_sub_co_i32 s5, s6, s5
	s_wait_alu 0xfffe
	s_sub_co_i32 s8, s5, s23
	s_cmp_ge_u32 s5, s23
	s_cselect_b32 s4, s7, s4
	s_cselect_b32 s5, s8, s5
	s_wait_alu 0xfffe
	s_add_co_i32 s7, s4, 1
	s_cmp_ge_u32 s5, s23
	s_cselect_b32 s28, s7, s4
	s_abs_i32 s4, s3
	s_abs_i32 s9, s23
	s_wait_alu 0xfffe
	s_cvt_f32_u32 s5, s4
	s_sub_co_i32 s7, 0, s4
	s_mul_i32 s8, s28, s23
	s_xor_b32 s3, s23, s3
	s_wait_alu 0xfffe
	v_rcp_iflag_f32_e32 v1, s5
	s_sub_co_i32 s30, s6, s8
	s_ashr_i32 s3, s3, 31
	s_delay_alu instid0(TRANS32_DEP_1) | instskip(SKIP_2) | instid1(SALU_CYCLE_2)
	v_readfirstlane_b32 s5, v1
	s_mul_f32 s5, s5, 0x4f7ffffe
	s_wait_alu 0xfffe
	s_cvt_u32_f32 s5, s5
	s_wait_alu 0xfffe
	s_delay_alu instid0(SALU_CYCLE_2) | instskip(NEXT) | instid1(SALU_CYCLE_1)
	s_mul_i32 s7, s7, s5
	s_mul_hi_u32 s7, s5, s7
	s_delay_alu instid0(SALU_CYCLE_1)
	s_add_co_i32 s5, s5, s7
	s_wait_alu 0xfffe
	s_mul_hi_u32 s5, s9, s5
	s_wait_alu 0xfffe
	s_mul_i32 s6, s5, s4
	s_add_co_i32 s7, s5, 1
	s_sub_co_i32 s6, s9, s6
	s_delay_alu instid0(SALU_CYCLE_1)
	s_sub_co_i32 s8, s6, s4
	s_cmp_ge_u32 s6, s4
	s_cselect_b32 s5, s7, s5
	s_cselect_b32 s6, s8, s6
	s_wait_alu 0xfffe
	s_add_co_i32 s7, s5, 1
	s_cmp_ge_u32 s6, s4
	s_cselect_b32 s4, s7, s5
	s_abs_i32 s36, s30
	s_wait_alu 0xfffe
	s_xor_b32 s4, s4, s3
	s_wait_alu 0xfffe
	s_sub_co_i32 s29, s4, s3
	s_delay_alu instid0(SALU_CYCLE_1) | instskip(NEXT) | instid1(SALU_CYCLE_1)
	s_abs_i32 s3, s29
	s_cvt_f32_u32 s4, s3
	s_sub_co_i32 s25, 0, s3
	s_wait_alu 0xfffe
	s_delay_alu instid0(SALU_CYCLE_1) | instskip(SKIP_1) | instid1(TRANS32_DEP_1)
	v_rcp_iflag_f32_e32 v1, s4
	s_load_b512 s[4:19], s[0:1], 0x0
	v_readfirstlane_b32 s24, v1
	s_mul_f32 s24, s24, 0x4f7ffffe
	s_delay_alu instid0(SALU_CYCLE_3) | instskip(NEXT) | instid1(SALU_CYCLE_3)
	s_cvt_u32_f32 s24, s24
	s_mul_i32 s25, s25, s24
	s_delay_alu instid0(SALU_CYCLE_1) | instskip(NEXT) | instid1(SALU_CYCLE_1)
	s_mul_hi_u32 s25, s24, s25
	s_add_co_i32 s40, s24, s25
	s_wait_kmcnt 0x0
	s_cmp_eq_u64 s[10:11], 0
	s_cbranch_scc1 .LBB68_2
; %bb.1:
	s_abs_i32 s26, s38
	s_delay_alu instid0(SALU_CYCLE_1) | instskip(NEXT) | instid1(SALU_CYCLE_3)
	s_cvt_f32_u32 s24, s26
	v_rcp_iflag_f32_e32 v1, s24
	s_delay_alu instid0(TRANS32_DEP_1) | instskip(SKIP_2) | instid1(SALU_CYCLE_2)
	v_readfirstlane_b32 s24, v1
	s_mul_f32 s24, s24, 0x4f7ffffe
	s_wait_alu 0xfffe
	s_cvt_u32_f32 s27, s24
	s_sub_co_i32 s24, 0, s26
	s_wait_alu 0xfffe
	s_delay_alu instid0(SALU_CYCLE_1) | instskip(SKIP_4) | instid1(SALU_CYCLE_1)
	s_mul_i32 s24, s24, s27
	s_wait_alu 0xfffe
	s_mul_hi_u32 s31, s27, s24
	s_load_b64 s[24:25], s[0:1], 0xc8
	s_add_co_i32 s27, s27, s31
	s_mul_hi_u32 s27, s28, s27
	s_delay_alu instid0(SALU_CYCLE_1) | instskip(NEXT) | instid1(SALU_CYCLE_1)
	s_mul_i32 s27, s27, s26
	s_sub_co_i32 s27, s28, s27
	s_delay_alu instid0(SALU_CYCLE_1) | instskip(SKIP_2) | instid1(SALU_CYCLE_1)
	s_sub_co_i32 s31, s27, s26
	s_cmp_ge_u32 s27, s26
	s_cselect_b32 s27, s31, s27
	s_sub_co_i32 s31, s27, s26
	s_cmp_ge_u32 s27, s26
	s_cselect_b32 s26, s31, s27
	s_delay_alu instid0(SALU_CYCLE_1)
	s_ashr_i32 s27, s26, 31
	s_wait_kmcnt 0x0
	s_mul_u64 s[24:25], s[24:25], s[26:27]
	s_wait_alu 0xfffe
	s_add_nc_u64 s[34:35], s[10:11], s[24:25]
.LBB68_2:
	s_clause 0x1
	s_load_b128 s[24:27], s[0:1], 0x40
	s_load_b32 s10, s[0:1], 0x50
	v_mov_b32_e32 v26, 1.0
	s_mov_b32 s41, s37
	s_wait_kmcnt 0x0
	s_cmp_le_f32 s25, 0
	s_cbranch_scc1 .LBB68_4
; %bb.3:
	v_sub_co_u32 v1, s10, s30, s10
	s_and_b32 s25, s10, exec_lo
	s_cselect_b32 s25, s26, s27
	s_add_co_i32 s26, s30, 1
	v_readfirstlane_b32 s11, v1
	s_lshl_b32 s11, s11, 1
	s_wait_alu 0xfffe
	s_or_b32 s11, s11, 1
	s_and_b32 s10, s10, exec_lo
	s_wait_alu 0xfffe
	s_cselect_b32 s10, s26, s11
	s_cmp_neq_f32 s25, 1.0
	s_wait_alu 0xfffe
	s_cvt_f32_i32 s10, s10
	s_wait_alu 0xfffe
	s_delay_alu instid0(SALU_CYCLE_2)
	s_cselect_b32 s11, s10, 1.0
	s_wait_alu 0xfffe
	s_cmp_neq_f32 s11, 0
	s_cselect_b32 s10, s25, 1.0
	s_wait_alu 0xfffe
	v_frexp_mant_f32_e64 v1, |s10|
	s_delay_alu instid0(VALU_DEP_1) | instskip(SKIP_3) | instid1(SALU_CYCLE_1)
	v_readfirstlane_b32 s25, v1
	v_cvt_f64_f32_e64 v[1:2], |s10|
	s_cmp_lt_f32 s25, 0x3f2aaaab
	s_cselect_b32 s26, -1, 0
	s_and_b32 s27, s26, exec_lo
	s_cselect_b32 s27, 2.0, 1.0
	s_delay_alu instid0(SALU_CYCLE_1) | instskip(SKIP_1) | instid1(SALU_CYCLE_2)
	s_mul_f32 s25, s25, s27
	s_wait_alu 0xfffe
	s_add_f32 s27, s25, 1.0
	s_add_f32 s33, s25, -1.0
	s_delay_alu instid0(SALU_CYCLE_2) | instskip(SKIP_1) | instid1(SALU_CYCLE_3)
	v_s_rcp_f32 s31, s27
	s_add_f32 s43, s27, -1.0
	s_sub_f32 s25, s25, s43
	s_delay_alu instid0(TRANS32_DEP_1) | instskip(NEXT) | instid1(SALU_CYCLE_3)
	s_mul_f32 s38, s33, s31
	s_mul_f32 s42, s27, s38
	s_delay_alu instid0(SALU_CYCLE_3) | instskip(NEXT) | instid1(VALU_DEP_1)
	s_xor_b32 s44, s42, 0x80000000
	v_frexp_exp_i32_f64_e32 v1, v[1:2]
	s_fmac_f32 s44, s38, s27
	s_wait_alu 0xfffe
	s_delay_alu instid0(SALU_CYCLE_2) | instskip(NEXT) | instid1(SALU_CYCLE_3)
	s_fmac_f32 s44, s38, s25
	s_add_f32 s25, s42, s44
	s_wait_alu 0xfffe
	s_delay_alu instid0(SALU_CYCLE_2) | instskip(SKIP_2) | instid1(SALU_CYCLE_1)
	s_sub_f32 s27, s33, s25
	s_sub_f32 s42, s25, s42
	s_wait_alu 0xfffe
	s_sub_f32 s33, s33, s27
	s_delay_alu instid0(SALU_CYCLE_1) | instskip(NEXT) | instid1(SALU_CYCLE_2)
	s_sub_f32 s42, s42, s44
	s_sub_f32 s25, s33, s25
	s_wait_alu 0xfffe
	s_delay_alu instid0(SALU_CYCLE_2) | instskip(SKIP_2) | instid1(SALU_CYCLE_1)
	s_add_f32 s25, s42, s25
	s_mov_b32 s42, 0x3e76c4e1
	s_wait_alu 0xfffe
	s_add_f32 s25, s27, s25
	s_wait_alu 0xfffe
	s_delay_alu instid0(SALU_CYCLE_2) | instskip(SKIP_1) | instid1(SALU_CYCLE_2)
	s_mul_f32 s25, s31, s25
	s_wait_alu 0xfffe
	s_add_f32 s27, s38, s25
	s_wait_alu 0xfffe
	s_delay_alu instid0(SALU_CYCLE_2) | instskip(SKIP_2) | instid1(SALU_CYCLE_1)
	s_sub_f32 s31, s27, s38
	s_mul_f32 s33, s27, s27
	s_wait_alu 0xfffe
	s_sub_f32 s25, s25, s31
	s_delay_alu instid0(SALU_CYCLE_1) | instskip(SKIP_4) | instid1(SALU_CYCLE_2)
	s_xor_b32 s31, s33, 0x80000000
	s_wait_alu 0xfffe
	s_fmac_f32 s31, s27, s27
	s_add_f32 s38, s25, s25
	s_wait_alu 0xfffe
	s_fmac_f32 s31, s27, s38
	s_wait_alu 0xfffe
	s_delay_alu instid0(SALU_CYCLE_2) | instskip(NEXT) | instid1(SALU_CYCLE_3)
	s_add_f32 s38, s33, s31
	s_fmaak_f32 s42, s38, s42, 0x3e91f4c4
	s_sub_f32 s33, s38, s33
	s_delay_alu instid0(SALU_CYCLE_2) | instskip(NEXT) | instid1(SALU_CYCLE_2)
	s_fmaak_f32 s42, s38, s42, 0x3ecccdef
	s_sub_f32 s31, s31, s33
	s_mul_f32 s33, s27, s38
	s_delay_alu instid0(SALU_CYCLE_1) | instskip(NEXT) | instid1(SALU_CYCLE_2)
	s_mul_f32 s43, s38, s42
	s_xor_b32 s45, s33, 0x80000000
	s_delay_alu instid0(SALU_CYCLE_2) | instskip(SKIP_2) | instid1(SALU_CYCLE_2)
	s_xor_b32 s44, s43, 0x80000000
	s_fmac_f32 s45, s38, s27
	s_fmac_f32 s44, s38, s42
	;; [unrolled: 1-line block ×3, first 2 shown]
	s_wait_alu 0xfffe
	s_delay_alu instid0(SALU_CYCLE_1) | instskip(NEXT) | instid1(SALU_CYCLE_1)
	s_fmac_f32 s44, s31, s42
	s_fmac_f32 s45, s31, s27
	s_delay_alu instid0(SALU_CYCLE_2) | instskip(NEXT) | instid1(SALU_CYCLE_3)
	s_add_f32 s42, s43, s44
	s_sub_f32 s43, s42, s43
	s_add_f32 s46, s42, 0x3f2aaaaa
	s_delay_alu instid0(SALU_CYCLE_2) | instskip(NEXT) | instid1(SALU_CYCLE_2)
	s_sub_f32 s43, s44, s43
	s_add_f32 s44, s46, 0xbf2aaaaa
	s_delay_alu instid0(SALU_CYCLE_2) | instskip(NEXT) | instid1(SALU_CYCLE_2)
	s_add_f32 s38, s43, 0x31739010
	s_sub_f32 s42, s42, s44
	s_delay_alu instid0(SALU_CYCLE_3) | instskip(SKIP_2) | instid1(SALU_CYCLE_1)
	s_add_f32 s31, s38, s42
	s_add_f32 s38, s33, s45
	s_wait_alu 0xfffe
	s_add_f32 s42, s46, s31
	s_delay_alu instid0(SALU_CYCLE_1) | instskip(NEXT) | instid1(SALU_CYCLE_2)
	s_sub_f32 s33, s38, s33
	s_mul_f32 s43, s38, s42
	s_sub_f32 s44, s46, s42
	s_delay_alu instid0(SALU_CYCLE_1) | instskip(NEXT) | instid1(SALU_CYCLE_1)
	s_sub_f32 s33, s45, s33
	s_xor_b32 s46, s43, 0x80000000
	s_delay_alu instid0(SALU_CYCLE_1)
	s_add_f32 s31, s31, s44
	s_fmac_f32 s46, s38, s42
	v_readfirstlane_b32 s44, v1
	v_ldexp_f32 v1, s27, 1
	s_cmp_lg_u32 s26, 0
	s_wait_alu 0xfffe
	s_fmac_f32 s46, s38, s31
	s_sub_co_ci_u32 s26, s44, 0
	v_readfirstlane_b32 s27, v1
	s_delay_alu instid0(SALU_CYCLE_1)
	s_fmac_f32 s46, s33, s42
	s_wait_alu 0xfffe
	s_cvt_f32_i32 s26, s26
	v_ldexp_f32 v1, s25, 1
	s_add_f32 s31, s43, s46
	s_wait_alu 0xfffe
	s_mul_f32 s25, s26, 0x3f317218
	s_delay_alu instid0(VALU_DEP_1)
	v_readfirstlane_b32 s42, v1
	s_add_f32 s33, s27, s31
	s_sub_f32 s38, s31, s43
	s_wait_alu 0xfffe
	s_xor_b32 s43, s25, 0x80000000
	s_sub_f32 s27, s33, s27
	s_sub_f32 s38, s46, s38
	s_fmamk_f32 s43, s26, 0x3f317218, s43
	s_wait_alu 0xfffe
	s_sub_f32 s27, s31, s27
	s_add_f32 s31, s42, s38
	s_fmamk_f32 s26, s26, 0xb102e308, s43
	s_wait_alu 0xfffe
	s_delay_alu instid0(SALU_CYCLE_1) | instskip(NEXT) | instid1(SALU_CYCLE_1)
	s_add_f32 s27, s31, s27
	s_add_f32 s31, s25, s26
	s_wait_alu 0xfffe
	s_delay_alu instid0(SALU_CYCLE_1) | instskip(NEXT) | instid1(SALU_CYCLE_1)
	s_add_f32 s38, s33, s27
	s_sub_f32 s25, s31, s25
	s_delay_alu instid0(SALU_CYCLE_2)
	s_add_f32 s42, s31, s38
	s_sub_f32 s33, s38, s33
	s_wait_alu 0xfffe
	s_sub_f32 s25, s26, s25
	s_sub_f32 s43, s42, s31
	;; [unrolled: 1-line block ×3, first 2 shown]
	s_delay_alu instid0(SALU_CYCLE_2)
	s_sub_f32 s44, s42, s43
	s_sub_f32 s27, s38, s43
	s_wait_alu 0xfffe
	s_add_f32 s33, s25, s26
	s_sub_f32 s31, s31, s44
	s_wait_alu 0xfffe
	s_delay_alu instid0(SALU_CYCLE_2) | instskip(SKIP_2) | instid1(SALU_CYCLE_1)
	s_add_f32 s27, s27, s31
	s_sub_f32 s31, s33, s25
	s_wait_alu 0xfffe
	s_add_f32 s27, s33, s27
	s_delay_alu instid0(SALU_CYCLE_1) | instskip(SKIP_4) | instid1(SALU_CYCLE_2)
	s_sub_f32 s33, s33, s31
	s_sub_f32 s26, s26, s31
	s_wait_alu 0xfffe
	s_add_f32 s38, s42, s27
	s_sub_f32 s25, s25, s33
	s_sub_f32 s31, s38, s42
	s_wait_alu 0xfffe
	s_delay_alu instid0(SALU_CYCLE_1) | instskip(NEXT) | instid1(SALU_CYCLE_1)
	s_add_f32 s25, s26, s25
	s_sub_f32 s26, s27, s31
	s_wait_alu 0xfffe
	s_delay_alu instid0(SALU_CYCLE_2) | instskip(SKIP_1) | instid1(SALU_CYCLE_2)
	s_add_f32 s25, s25, s26
	s_wait_alu 0xfffe
	s_add_f32 s26, s38, s25
	s_wait_alu 0xfffe
	s_delay_alu instid0(SALU_CYCLE_2) | instskip(SKIP_2) | instid1(SALU_CYCLE_1)
	s_mul_f32 s27, s11, s26
	s_sub_f32 s31, s26, s38
	s_wait_alu 0xfffe
	s_xor_b32 s33, s27, 0x80000000
	s_delay_alu instid0(SALU_CYCLE_1) | instskip(SKIP_2) | instid1(SALU_CYCLE_2)
	s_sub_f32 s25, s25, s31
	s_fmac_f32 s33, s11, s26
	s_wait_alu 0xfffe
	s_fmac_f32 s33, s11, s25
	v_cmp_class_f32_e64 s25, s27, 0x204
	s_delay_alu instid0(SALU_CYCLE_2) | instskip(SKIP_2) | instid1(SALU_CYCLE_1)
	s_add_f32 s26, s27, s33
	s_and_b32 s25, s25, exec_lo
	s_wait_alu 0xfffe
	s_sub_f32 s25, s26, s27
	s_cselect_b32 s26, s27, s26
	s_wait_alu 0xfffe
	s_and_b32 s27, s26, 0x7fffffff
	s_sub_f32 s25, s33, s25
	s_wait_alu 0xfffe
	s_cmp_neq_f32 s27, 0x7f800000
	s_delay_alu instid0(SALU_CYCLE_1)
	s_cselect_b32 s25, s25, 0
	s_cmp_eq_f32 s26, 0x42b17218
	s_cselect_b32 s27, 0x37000000, 0
	s_wait_alu 0xfffe
	s_sub_f32 s26, s26, s27
	s_add_f32 s25, s27, s25
	s_wait_alu 0xfffe
	s_delay_alu instid0(SALU_CYCLE_1) | instskip(SKIP_1) | instid1(SALU_CYCLE_2)
	s_mul_f32 s31, s26, 0x3fb8aa3b
	s_wait_alu 0xfffe
	s_xor_b32 s33, s31, 0x80000000
	s_rndne_f32 s38, s31
	s_fmamk_f32 s33, s26, 0x3fb8aa3b, s33
	s_cmp_nlt_f32 s26, 0xc2ce8ed0
	s_delay_alu instid0(SALU_CYCLE_1) | instskip(NEXT) | instid1(SALU_CYCLE_1)
	s_sub_f32 s31, s31, s38
	s_fmamk_f32 s33, s26, 0x32a5705f, s33
	s_cselect_b32 vcc_lo, -1, 0
	s_cmp_ngt_f32 s26, 0x42b17218
	s_trunc_f32 s26, s11
	s_wait_alu 0xfffe
	s_add_f32 s31, s31, s33
	s_cvt_i32_f32 s33, s38
	s_wait_alu 0xfffe
	s_delay_alu instid0(SALU_CYCLE_1) | instskip(SKIP_1) | instid1(TRANS32_DEP_1)
	v_s_exp_f32 s31, s31
	s_wait_alu 0xf1ff
	v_ldexp_f32 v1, s31, s33
	s_mul_f32 s31, s11, 0.5
	s_delay_alu instid0(VALU_DEP_1)
	v_cndmask_b32_e32 v1, 0, v1, vcc_lo
	s_cselect_b32 vcc_lo, -1, 0
	s_cmp_eq_f32 s26, s11
	s_wait_alu 0xfffe
	s_trunc_f32 s33, s31
	v_cndmask_b32_e32 v1, 0x7f800000, v1, vcc_lo
	s_cselect_b32 s38, -1, 0
	s_wait_alu 0xfffe
	s_cmp_neq_f32 s33, s31
	s_delay_alu instid0(VALU_DEP_1)
	v_fma_f32 v2, s25, v1, v1
	v_cmp_class_f32_e64 vcc_lo, v1, 0x204
	s_cselect_b32 s27, -1, 0
	s_wait_alu 0xfffe
	s_and_b32 s25, s38, s27
	s_wait_alu 0xfffd
	v_cndmask_b32_e32 v1, v2, v1, vcc_lo
	s_wait_alu 0xfffe
	s_and_b32 s27, s25, exec_lo
	s_cselect_b32 s27, s10, 1.0
	s_cmp_eq_f32 s26, s11
	v_cmp_class_f32_e64 s26, s10, 0x204
	s_wait_alu 0xfffe
	v_bfi_b32 v1, 0x7fffffff, v1, s27
	s_cselect_b32 vcc_lo, -1, 0
	s_cmp_lt_f32 s10, 0
	s_wait_alu 0xfffe
	s_delay_alu instid0(VALU_DEP_1) | instskip(SKIP_3) | instid1(VALU_DEP_1)
	v_cndmask_b32_e32 v2, 0x7fc00000, v1, vcc_lo
	s_cselect_b32 vcc_lo, -1, 0
	s_cmp_eq_f32 s10, 0
	s_wait_alu 0xfffe
	v_cndmask_b32_e32 v1, v1, v2, vcc_lo
	s_cselect_b32 s27, -1, 0
	s_wait_alu 0xfffe
	s_or_b32 vcc_lo, s27, s26
	s_cmp_lt_f32 s11, 0
	s_cselect_b32 s11, -1, 0
	s_wait_alu 0xfffe
	s_xor_b32 s11, s11, s27
	s_wait_alu 0xfffe
	s_and_b32 s11, s11, exec_lo
	s_cselect_b32 s11, 0, 0x7f800000
	s_and_b32 s25, s25, exec_lo
	s_cselect_b32 s25, s10, 0
	s_cmp_o_f32 s10, s10
	s_wait_alu 0xfffe
	v_mov_b32_e32 v2, s25
	s_delay_alu instid0(VALU_DEP_1) | instskip(NEXT) | instid1(VALU_DEP_1)
	v_bfi_b32 v2, 0x7fffffff, s11, v2
	v_cndmask_b32_e32 v1, v1, v2, vcc_lo
	s_cselect_b32 vcc_lo, -1, 0
	s_wait_alu 0xfffe
	s_delay_alu instid0(VALU_DEP_1)
	v_cndmask_b32_e32 v26, 0x7fc00000, v1, vcc_lo
.LBB68_4:
	v_bfe_u32 v25, v0, 10, 10
	s_load_b96 s[44:46], s[0:1], 0x70
	v_and_b32_e32 v0, 0x3ff, v0
	s_ashr_i32 s31, s30, 31
	v_mov_b32_e32 v31, 0
	v_lshl_add_u32 v1, ttmp9, 1, v25
	v_lshl_add_u32 v30, v25, 8, 0x1200
	v_lshlrev_b32_e32 v22, 3, v0
	s_delay_alu instid0(VALU_DEP_3) | instskip(NEXT) | instid1(VALU_DEP_2)
	v_mul_hi_u32 v2, s20, v1
	v_add_nc_u32_e32 v6, v30, v22
	s_delay_alu instid0(VALU_DEP_2) | instskip(SKIP_3) | instid1(VALU_DEP_1)
	v_add_nc_u32_e32 v2, v1, v2
	s_wait_kmcnt 0x0
	s_mul_i32 s10, s30, s45
	s_ashr_i32 s45, s44, 31
	v_lshrrev_b32_e32 v2, s21, v2
	s_lshr_b64 s[20:21], s[44:45], 2
	s_lshr_b32 s11, s45, 2
	s_delay_alu instid0(VALU_DEP_1) | instskip(NEXT) | instid1(VALU_DEP_1)
	v_mul_lo_u32 v2, v2, s22
	v_sub_nc_u32_e32 v29, v1, v2
	s_wait_alu 0xfffe
	s_delay_alu instid0(VALU_DEP_1)
	v_mad_co_u64_u32 v[2:3], null, s20, v29, 0
	s_mul_i32 s20, s28, s46
	s_wait_alu 0xfffe
	s_ashr_i32 s21, s20, 31
	s_wait_alu 0xfffe
	s_add_nc_u64 s[4:5], s[4:5], s[20:21]
	v_mad_co_u64_u32 v[3:4], null, s11, v29, v[3:4]
	s_ashr_i32 s11, s10, 31
	v_lshlrev_b32_e32 v4, 4, v0
	s_wait_alu 0xfffe
	s_add_nc_u64 s[4:5], s[4:5], s[10:11]
	s_ashr_i32 s10, s29, 31
	s_mov_b32 s29, 0
	s_cmp_eq_u64 s[14:15], 0
	v_lshlrev_b64_e32 v[2:3], 2, v[2:3]
	s_wait_alu 0xfffe
	s_delay_alu instid0(VALU_DEP_1) | instskip(SKIP_1) | instid1(VALU_DEP_2)
	v_add_co_u32 v2, vcc_lo, s4, v2
	s_wait_alu 0xfffd
	v_add_co_ci_u32_e64 v3, null, s5, v3, vcc_lo
	s_mul_u64 s[4:5], s[36:37], s[40:41]
	v_add_co_u32 v2, vcc_lo, v2, v4
	s_wait_alu 0xfffd
	v_add_co_ci_u32_e64 v3, null, 0, v3, vcc_lo
	global_load_b128 v[2:5], v[2:3], off
	s_wait_loadcnt 0x0
	v_fma_mixlo_f16 v3, s24, v3, 0
	v_fma_mixlo_f16 v2, s24, v2, 0
	;; [unrolled: 1-line block ×4, first 2 shown]
	s_delay_alu instid0(VALU_DEP_4) | instskip(NEXT) | instid1(VALU_DEP_4)
	v_lshlrev_b32_e32 v3, 16, v3
	v_and_b32_e32 v2, 0xffff, v2
	s_delay_alu instid0(VALU_DEP_4) | instskip(NEXT) | instid1(VALU_DEP_4)
	v_and_b32_e32 v4, 0xffff, v4
	v_lshlrev_b32_e32 v5, 16, v5
	s_delay_alu instid0(VALU_DEP_3) | instskip(NEXT) | instid1(VALU_DEP_2)
	v_or_b32_e32 v2, v3, v2
	v_or3_b32 v3, v5, v4, 0
	s_delay_alu instid0(VALU_DEP_2)
	v_or3_b32 v2, 0, 0, v2
	ds_store_b64 v6, v[2:3]
	s_wait_dscnt 0x0
	s_barrier_signal -1
	s_barrier_wait -1
	global_inv scope:SCOPE_SE
	s_cbranch_scc1 .LBB68_6
; %bb.5:
	s_load_b32 s2, s[0:1], 0xd0
	s_mov_b32 s21, s29
	s_wait_kmcnt 0x0
	s_mul_i32 s2, s2, s28
	s_delay_alu instid0(SALU_CYCLE_1)
	s_add_co_i32 s20, s2, ttmp9
	s_wait_alu 0xfffe
	s_lshl_b64 s[20:21], s[20:21], 2
	s_wait_alu 0xfffe
	s_add_nc_u64 s[14:15], s[14:15], s[20:21]
	s_load_b32 s2, s[14:15], 0x0
.LBB68_6:
	s_clause 0x2
	s_load_b64 s[14:15], s[0:1], 0x8c
	s_load_b128 s[24:27], s[0:1], 0x98
	s_load_b64 s[20:21], s[0:1], 0xa8
	s_mul_i32 s4, s5, s3
	s_ashr_i32 s33, s39, 1
	s_wait_alu 0xfffe
	s_sub_co_i32 s36, s36, s4
	s_xor_b32 s11, s31, s10
	s_add_co_i32 s37, s5, 1
	s_sub_co_i32 s38, s36, s3
	v_lshlrev_b32_e32 v20, 2, v0
	v_lshrrev_b32_e32 v34, 3, v0
	v_mul_u32_u24_e32 v32, 0x90, v0
	v_lshrrev_b32_e32 v28, 4, v0
	v_mbcnt_lo_u32_b32 v21, -1, 0
	v_and_b32_e32 v33, 28, v20
	v_and_b32_e32 v27, 60, v20
	s_wait_kmcnt 0x0
	s_ashr_i32 s4, s14, 2
	s_ashr_i32 s10, s26, 2
	s_cmp_ge_u32 s36, s3
	s_mul_u64 s[24:25], s[24:25], s[28:29]
	s_cselect_b32 s5, s37, s5
	s_cselect_b32 s14, s38, s36
	s_wait_alu 0xfffe
	s_add_nc_u64 s[6:7], s[6:7], s[24:25]
	s_add_co_i32 s24, s5, 1
	s_cmp_ge_u32 s14, s3
	s_mul_u64 s[20:21], s[20:21], s[28:29]
	s_wait_alu 0xfffe
	s_cselect_b32 s3, s24, s5
	s_add_nc_u64 s[20:21], s[8:9], s[20:21]
	s_xor_b32 s5, s3, s11
	s_and_b32 s8, ttmp7, 0xffff
	s_wait_alu 0xfffe
	s_sub_co_i32 s5, s5, s11
	s_sub_co_i32 s3, s2, 32
	s_wait_alu 0xfffe
	s_mul_i32 s24, s5, s15
	s_mul_i32 s26, s5, s27
	s_lshl_b32 s14, s8, 5
	s_wait_alu 0xfffe
	s_ashr_i32 s25, s24, 31
	s_ashr_i32 s27, s26, 31
	s_cmp_ge_i32 s14, s3
	s_wait_alu 0xfffe
	s_add_nc_u64 s[6:7], s[6:7], s[24:25]
	s_add_nc_u64 s[20:21], s[20:21], s[26:27]
	s_cbranch_scc1 .LBB68_12
; %bb.7:
	v_lshl_add_u32 v2, v25, 2, v34
	v_lshl_add_u32 v8, v25, 1, v28
	s_ashr_i32 s5, s4, 31
	s_lshl_b32 s11, s4, 3
	s_cmp_lg_u64 s[34:35], 0
	v_mul_lo_u32 v5, s4, v2
	v_mul_lo_u32 v12, s10, v8
	s_cselect_b32 s9, -1, 0
	s_lshl_b32 s15, s10, 2
	v_mad_co_u64_u32 v[3:4], null, v29, s33, v[0:1]
	v_dual_mov_b32 v23, 0 :: v_dual_lshlrev_b32 v6, 2, v33
	s_wait_alu 0xfffe
	s_delay_alu instid0(VALU_DEP_4) | instskip(NEXT) | instid1(VALU_DEP_4)
	v_dual_mov_b32 v24, 0 :: v_dual_add_nc_u32 v7, s11, v5
	v_add_nc_u32_e32 v14, s15, v12
	v_dual_mov_b32 v49, 0xfeffffff :: v_dual_lshlrev_b32 v4, 2, v27
	s_delay_alu instid0(VALU_DEP_3) | instskip(SKIP_1) | instid1(VALU_DEP_4)
	v_add_nc_u32_e32 v9, s11, v7
	v_mad_u32_u24 v36, 0x90, v2, v6
	v_add_nc_u32_e32 v18, s15, v14
	s_delay_alu instid0(VALU_DEP_4)
	v_lshl_or_b32 v37, v8, 8, v4
	v_ashrrev_i32_e32 v6, 31, v5
	v_add_nc_u32_e32 v16, s11, v9
	v_ashrrev_i32_e32 v8, 31, v7
	v_add_nc_u32_e32 v47, s15, v18
	v_ashrrev_i32_e32 v10, 31, v9
	v_ashrrev_i32_e32 v13, 31, v12
	;; [unrolled: 1-line block ×6, first 2 shown]
	v_lshl_add_u32 v35, v25, 6, 0x1400
	v_lshlrev_b64_e32 v[4:5], 2, v[5:6]
	v_lshlrev_b64_e32 v[6:7], 2, v[7:8]
	;; [unrolled: 1-line block ×8, first 2 shown]
	v_add_nc_u32_e32 v38, 0x480, v36
	v_add_nc_u32_e32 v39, 0x900, v36
	;; [unrolled: 1-line block ×3, first 2 shown]
	v_lshl_add_u32 v41, v0, 1, v35
	v_add_nc_u32_e32 v42, 0x400, v37
	v_add_nc_u32_e32 v43, 0x800, v37
	;; [unrolled: 1-line block ×3, first 2 shown]
	v_lshlrev_b32_e32 v45, 2, v33
	v_lshlrev_b32_e32 v46, 2, v27
	v_mbcnt_lo_u32_b32 v47, -1, 0
	v_mov_b32_e32 v48, 0
	s_ashr_i32 s11, s10, 31
	s_add_nc_u64 s[24:25], s[0:1], 0xd0
.LBB68_8:                               ; =>This Inner Loop Header: Depth=1
	s_ashr_i32 s15, s14, 31
	s_wait_alu 0xfffe
	s_mul_u64 s[26:27], s[14:15], s[4:5]
	s_wait_alu 0xfffe
	s_lshl_b64 s[26:27], s[26:27], 2
	s_wait_alu 0xfffe
	s_add_nc_u64 s[26:27], s[6:7], s[26:27]
	s_wait_alu 0xfffe
	v_add_co_u32 v2, vcc_lo, s26, v4
	s_wait_alu 0xfffd
	v_add_co_ci_u32_e64 v31, null, s27, v5, vcc_lo
	v_add_co_u32 v50, vcc_lo, s26, v6
	s_wait_alu 0xfffd
	v_add_co_ci_u32_e64 v51, null, s27, v7, vcc_lo
	v_add_co_u32 v66, vcc_lo, v2, v45
	s_wait_alu 0xfffd
	v_add_co_ci_u32_e64 v67, null, 0, v31, vcc_lo
	v_add_co_u32 v68, vcc_lo, v50, v45
	s_wait_alu 0xfffd
	v_add_co_ci_u32_e64 v69, null, 0, v51, vcc_lo
	v_add_co_u32 v2, vcc_lo, s26, v8
	s_wait_alu 0xfffd
	v_add_co_ci_u32_e64 v31, null, s27, v9, vcc_lo
	v_add_co_u32 v50, vcc_lo, s26, v10
	s_wait_alu 0xfffd
	v_add_co_ci_u32_e64 v51, null, s27, v11, vcc_lo
	v_add_co_u32 v70, vcc_lo, v2, v45
	s_wait_alu 0xfffd
	v_add_co_ci_u32_e64 v71, null, 0, v31, vcc_lo
	v_add_co_u32 v72, vcc_lo, v50, v45
	s_wait_alu 0xfffd
	v_add_co_ci_u32_e64 v73, null, 0, v51, vcc_lo
	s_clause 0x3
	global_load_b128 v[50:53], v[66:67], off
	global_load_b128 v[54:57], v[68:69], off
	;; [unrolled: 1-line block ×4, first 2 shown]
	v_dual_mov_b32 v2, 0 :: v_dual_mov_b32 v31, 0
	s_and_not1_b32 vcc_lo, exec_lo, s9
	s_wait_loadcnt 0x3
	ds_store_b128 v36, v[50:53]
	s_wait_loadcnt 0x2
	ds_store_b128 v38, v[54:57]
	;; [unrolled: 2-line block ×4, first 2 shown]
	s_wait_dscnt 0x0
	s_barrier_signal -1
	s_barrier_wait -1
	global_inv scope:SCOPE_SE
	ds_load_b128 v[50:53], v32
	ds_load_b128 v[54:57], v30
	s_wait_dscnt 0x0
	;;#ASMSTART
	v_dot2_f32_f16 v2, v50, v54, v2
	;;#ASMEND
	;;#ASMSTART
	v_dot2_f32_f16 v2, v51, v55, v2
	;;#ASMEND
	;;#ASMSTART
	v_dot2_f32_f16 v2, v52, v56, v2
	;;#ASMEND
	;;#ASMSTART
	v_dot2_f32_f16 v2, v53, v57, v2
	;;#ASMEND
	ds_load_b128 v[50:53], v32 offset:16
	ds_load_b128 v[54:57], v30 offset:16
	s_wait_dscnt 0x0
	;;#ASMSTART
	v_dot2_f32_f16 v2, v50, v54, v2
	;;#ASMEND
	;;#ASMSTART
	v_dot2_f32_f16 v2, v51, v55, v2
	;;#ASMEND
	;;#ASMSTART
	v_dot2_f32_f16 v2, v52, v56, v2
	;;#ASMEND
	;;#ASMSTART
	v_dot2_f32_f16 v2, v53, v57, v2
	;;#ASMEND
	ds_load_b128 v[50:53], v32 offset:32
	ds_load_b128 v[54:57], v30 offset:32
	;; [unrolled: 15-line block ×7, first 2 shown]
	s_wait_dscnt 0x0
	;;#ASMSTART
	v_dot2_f32_f16 v2, v50, v54, v2
	;;#ASMEND
	;;#ASMSTART
	v_dot2_f32_f16 v2, v51, v55, v2
	;;#ASMEND
	;; [unrolled: 3-line block ×4, first 2 shown]
	s_wait_loadcnt 0x0
	s_barrier_signal -1
	s_barrier_wait -1
	global_inv scope:SCOPE_SE
	s_clause 0x3
	global_load_b128 v[50:53], v[66:67], off offset:128
	global_load_b128 v[54:57], v[68:69], off offset:128
	;; [unrolled: 1-line block ×4, first 2 shown]
	s_wait_loadcnt 0x3
	ds_store_b128 v36, v[50:53]
	s_wait_loadcnt 0x2
	ds_store_b128 v38, v[54:57]
	s_wait_loadcnt 0x1
	ds_store_b128 v39, v[58:61]
	s_wait_loadcnt 0x0
	ds_store_b128 v40, v[62:65]
	s_wait_dscnt 0x0
	s_barrier_signal -1
	s_barrier_wait -1
	global_inv scope:SCOPE_SE
	ds_load_b128 v[50:53], v32
	ds_load_b128 v[54:57], v30 offset:128
	s_wait_dscnt 0x0
	;;#ASMSTART
	v_dot2_f32_f16 v2, v50, v54, v2
	;;#ASMEND
	;;#ASMSTART
	v_dot2_f32_f16 v2, v51, v55, v2
	;;#ASMEND
	;;#ASMSTART
	v_dot2_f32_f16 v2, v52, v56, v2
	;;#ASMEND
	;;#ASMSTART
	v_dot2_f32_f16 v2, v53, v57, v2
	;;#ASMEND
	ds_load_b128 v[50:53], v32 offset:16
	ds_load_b128 v[54:57], v30 offset:144
	s_wait_dscnt 0x0
	;;#ASMSTART
	v_dot2_f32_f16 v2, v50, v54, v2
	;;#ASMEND
	;;#ASMSTART
	v_dot2_f32_f16 v2, v51, v55, v2
	;;#ASMEND
	;;#ASMSTART
	v_dot2_f32_f16 v2, v52, v56, v2
	;;#ASMEND
	;;#ASMSTART
	v_dot2_f32_f16 v2, v53, v57, v2
	;;#ASMEND
	ds_load_b128 v[50:53], v32 offset:32
	;; [unrolled: 15-line block ×7, first 2 shown]
	ds_load_b128 v[54:57], v30 offset:240
	s_wait_dscnt 0x0
	;;#ASMSTART
	v_dot2_f32_f16 v2, v50, v54, v2
	;;#ASMEND
	;;#ASMSTART
	v_dot2_f32_f16 v2, v51, v55, v2
	;;#ASMEND
	;; [unrolled: 3-line block ×4, first 2 shown]
	s_wait_alu 0xfffe
	s_cbranch_vccnz .LBB68_10
; %bb.9:                                ;   in Loop: Header=BB68_8 Depth=1
	v_add_nc_u32_e32 v50, s14, v3
	s_delay_alu instid0(VALU_DEP_1) | instskip(NEXT) | instid1(VALU_DEP_1)
	v_ashrrev_i32_e32 v51, 31, v50
	v_lshlrev_b64_e32 v[50:51], 1, v[50:51]
	s_delay_alu instid0(VALU_DEP_1) | instskip(SKIP_1) | instid1(VALU_DEP_2)
	v_add_co_u32 v50, vcc_lo, s34, v50
	s_wait_alu 0xfffd
	v_add_co_ci_u32_e64 v51, null, s35, v51, vcc_lo
	global_load_u16 v31, v[50:51], off
	s_wait_loadcnt 0x0
	v_cvt_f32_f16_e32 v31, v31
	s_delay_alu instid0(VALU_DEP_1)
	v_mul_f32_e32 v31, v26, v31
.LBB68_10:                              ;   in Loop: Header=BB68_8 Depth=1
	s_mul_u64 s[26:27], s[14:15], s[10:11]
	s_wait_loadcnt 0x0
	s_wait_alu 0xfffe
	s_lshl_b64 s[26:27], s[26:27], 2
	s_barrier_signal -1
	s_wait_alu 0xfffe
	s_add_nc_u64 s[26:27], s[20:21], s[26:27]
	s_barrier_wait -1
	s_wait_alu 0xfffe
	v_add_co_u32 v50, vcc_lo, s26, v12
	s_wait_alu 0xfffd
	v_add_co_ci_u32_e64 v51, null, s27, v13, vcc_lo
	v_add_co_u32 v52, vcc_lo, s26, v14
	s_wait_alu 0xfffd
	v_add_co_ci_u32_e64 v53, null, s27, v15, vcc_lo
	;; [unrolled: 3-line block ×8, first 2 shown]
	global_inv scope:SCOPE_SE
	s_clause 0x3
	global_load_b128 v[50:53], v[50:51], off
	global_load_b128 v[54:57], v[54:55], off
	;; [unrolled: 1-line block ×4, first 2 shown]
	v_xor_b32_e32 v66, 16, v47
	v_dual_add_f32 v31, v2, v31 :: v_dual_max_num_f32 v2, v49, v49
	s_or_b32 s26, s14, 16
	s_delay_alu instid0(VALU_DEP_2) | instskip(NEXT) | instid1(VALU_DEP_2)
	v_cmp_gt_i32_e32 vcc_lo, 32, v66
	v_add_f32_e32 v67, 0x40051340, v31
	s_wait_alu 0xfffe
	s_ashr_i32 s27, s26, 31
	s_wait_alu 0xfffe
	s_mul_u64 s[26:27], s[26:27], s[10:11]
	s_wait_alu 0xfffd
	v_cndmask_b32_e32 v66, v47, v66, vcc_lo
	v_max_num_f32_e32 v2, v2, v67
	v_xor_b32_e32 v67, 8, v47
	s_wait_alu 0xfffe
	s_lshl_b64 s[26:27], s[26:27], 2
	s_wait_alu 0xfffe
	s_add_nc_u64 s[26:27], s[20:21], s[26:27]
	v_cmp_gt_i32_e32 vcc_lo, 32, v67
	s_wait_alu 0xfffd
	v_dual_cndmask_b32 v67, v47, v67 :: v_dual_lshlrev_b32 v66, 2, v66
	ds_bpermute_b32 v66, v66, v2
	s_wait_dscnt 0x0
	v_dual_max_num_f32 v66, v66, v66 :: v_dual_lshlrev_b32 v67, 2, v67
	s_delay_alu instid0(VALU_DEP_1) | instskip(SKIP_2) | instid1(VALU_DEP_1)
	v_max_num_f32_e32 v2, v2, v66
	ds_bpermute_b32 v66, v67, v2
	v_xor_b32_e32 v67, 4, v47
	v_cmp_gt_i32_e32 vcc_lo, 32, v67
	s_wait_alu 0xfffd
	v_cndmask_b32_e32 v67, v47, v67, vcc_lo
	s_wait_dscnt 0x0
	s_delay_alu instid0(VALU_DEP_1) | instskip(NEXT) | instid1(VALU_DEP_1)
	v_dual_max_num_f32 v66, v66, v66 :: v_dual_lshlrev_b32 v67, 2, v67
	v_max_num_f32_e32 v2, v2, v66
	ds_bpermute_b32 v66, v67, v2
	v_xor_b32_e32 v67, 2, v47
	s_delay_alu instid0(VALU_DEP_1) | instskip(SKIP_3) | instid1(VALU_DEP_1)
	v_cmp_gt_i32_e32 vcc_lo, 32, v67
	s_wait_alu 0xfffd
	v_cndmask_b32_e32 v67, v47, v67, vcc_lo
	s_wait_dscnt 0x0
	v_dual_max_num_f32 v66, v66, v66 :: v_dual_lshlrev_b32 v67, 2, v67
	s_delay_alu instid0(VALU_DEP_1) | instskip(SKIP_2) | instid1(VALU_DEP_1)
	v_max_num_f32_e32 v2, v2, v66
	ds_bpermute_b32 v66, v67, v2
	v_xor_b32_e32 v67, 1, v47
	v_cmp_gt_i32_e32 vcc_lo, 32, v67
	s_wait_alu 0xfffd
	v_cndmask_b32_e32 v67, v47, v67, vcc_lo
	s_wait_alu 0xfffe
	v_add_co_u32 v69, vcc_lo, s26, v12
	s_wait_alu 0xfffd
	v_add_co_ci_u32_e64 v70, null, s27, v13, vcc_lo
	s_wait_dscnt 0x0
	v_dual_max_num_f32 v66, v66, v66 :: v_dual_lshlrev_b32 v67, 2, v67
	s_delay_alu instid0(VALU_DEP_1) | instskip(SKIP_3) | instid1(VALU_DEP_1)
	v_max_num_f32_e32 v2, v2, v66
	ds_bpermute_b32 v66, v67, v2
	s_wait_dscnt 0x0
	v_max_num_f32_e32 v66, v66, v66
	v_max_num_f32_e32 v2, v2, v66
	s_delay_alu instid0(VALU_DEP_1) | instskip(NEXT) | instid1(VALU_DEP_1)
	v_sub_f32_e32 v49, v49, v2
	v_mul_f32_e32 v107, 0x3fb8aa3b, v49
	s_delay_alu instid0(VALU_DEP_1) | instskip(SKIP_1) | instid1(VALU_DEP_2)
	v_rndne_f32_e32 v109, v107
	v_fma_f32 v108, 0x3fb8aa3b, v49, -v107
	v_sub_f32_e32 v107, v107, v109
	s_delay_alu instid0(VALU_DEP_2) | instskip(NEXT) | instid1(VALU_DEP_1)
	v_dual_sub_f32 v31, v31, v2 :: v_dual_fmac_f32 v108, 0x32a5705f, v49
	v_dual_mul_f32 v66, 0x3fb8aa3b, v31 :: v_dual_add_f32 v107, v107, v108
	v_cvt_i32_f32_e32 v108, v109
	s_delay_alu instid0(VALU_DEP_2) | instskip(SKIP_1) | instid1(VALU_DEP_4)
	v_fma_f32 v67, 0x3fb8aa3b, v31, -v66
	v_rndne_f32_e32 v68, v66
	v_exp_f32_e32 v107, v107
	s_delay_alu instid0(VALU_DEP_1) | instskip(SKIP_1) | instid1(VALU_DEP_2)
	v_dual_sub_f32 v66, v66, v68 :: v_dual_fmac_f32 v67, 0x32a5705f, v31
	v_cvt_i32_f32_e32 v68, v68
	v_add_f32_e32 v66, v66, v67
	v_add_co_u32 v67, vcc_lo, s26, v14
	s_wait_alu 0xfffd
	v_add_co_ci_u32_e64 v71, null, s27, v15, vcc_lo
	s_delay_alu instid0(VALU_DEP_3)
	v_exp_f32_e32 v66, v66
	v_add_co_u32 v72, vcc_lo, s26, v16
	s_wait_alu 0xfffd
	v_add_co_ci_u32_e64 v73, null, s27, v17, vcc_lo
	v_add_co_u32 v74, vcc_lo, s26, v18
	s_wait_alu 0xfffd
	v_add_co_ci_u32_e64 v75, null, s27, v19, vcc_lo
	v_add_co_u32 v90, vcc_lo, v69, v46
	s_delay_alu instid0(TRANS32_DEP_1)
	v_ldexp_f32 v66, v66, v68
	s_wait_alu 0xfffd
	v_add_co_ci_u32_e64 v91, null, 0, v70, vcc_lo
	v_cmp_ngt_f32_e32 vcc_lo, 0xc2ce8ed0, v31
	v_ldexp_f32 v107, v107, v108
	s_wait_alu 0xfffd
	v_cndmask_b32_e32 v66, 0, v66, vcc_lo
	v_add_co_u32 v94, vcc_lo, v67, v46
	s_wait_alu 0xfffd
	v_add_co_ci_u32_e64 v95, null, 0, v71, vcc_lo
	v_cmp_nlt_f32_e32 vcc_lo, 0x42b17218, v31
	s_wait_alu 0xfffd
	v_cndmask_b32_e32 v31, 0x7f800000, v66, vcc_lo
	v_add_co_u32 v98, vcc_lo, v72, v46
	s_wait_alu 0xfffd
	v_add_co_ci_u32_e64 v99, null, 0, v73, vcc_lo
	v_add_co_u32 v102, vcc_lo, v74, v46
	v_cvt_f16_f32_e32 v66, v31
	s_wait_alu 0xfffd
	v_add_co_ci_u32_e64 v103, null, 0, v75, vcc_lo
	v_cmp_ngt_f32_e32 vcc_lo, 0xc2ce8ed0, v49
	v_add_nc_u32_e32 v106, 0x800, v22
	ds_store_b16 v41, v66
	s_wait_loadcnt 0x3
	ds_store_b128 v37, v[50:53]
	s_wait_loadcnt 0x2
	ds_store_b128 v42, v[54:57]
	s_wait_loadcnt 0x1
	ds_store_b128 v43, v[58:61]
	s_wait_loadcnt 0x0
	ds_store_b128 v44, v[62:65]
	s_wait_dscnt 0x0
	s_barrier_signal -1
	s_barrier_wait -1
	global_inv scope:SCOPE_SE
	s_wait_alu 0xfffd
	v_cndmask_b32_e32 v107, 0, v107, vcc_lo
	ds_load_2addr_b64 v[50:53], v22 offset1:32
	ds_load_b128 v[54:57], v35
	ds_load_b128 v[58:61], v35 offset:16
	ds_load_2addr_b64 v[62:65], v22 offset0:64 offset1:96
	ds_load_2addr_b64 v[66:69], v22 offset0:128 offset1:160
	;; [unrolled: 1-line block ×3, first 2 shown]
	ds_load_2addr_b64 v[74:77], v106 offset1:32
	ds_load_2addr_b64 v[78:81], v106 offset0:64 offset1:96
	ds_load_2addr_b64 v[82:85], v106 offset0:128 offset1:160
	;; [unrolled: 1-line block ×3, first 2 shown]
	s_wait_loadcnt_dscnt 0x0
	s_barrier_signal -1
	s_barrier_wait -1
	global_inv scope:SCOPE_SE
	s_clause 0x3
	global_load_b128 v[90:93], v[90:91], off
	global_load_b128 v[94:97], v[94:95], off
	;; [unrolled: 1-line block ×4, first 2 shown]
	v_cmp_nlt_f32_e32 vcc_lo, 0x42b17218, v49
	s_wait_loadcnt 0x3
	ds_store_b128 v37, v[90:93]
	s_wait_loadcnt 0x2
	ds_store_b128 v42, v[94:97]
	s_wait_loadcnt 0x1
	ds_store_b128 v43, v[98:101]
	s_wait_loadcnt 0x0
	ds_store_b128 v44, v[102:105]
	s_wait_alu 0xfffd
	v_cndmask_b32_e32 v107, 0x7f800000, v107, vcc_lo
	v_and_b32_e32 v108, 0xffff, v54
	v_lshrrev_b32_e32 v54, 16, v54
	v_and_b32_e32 v109, 0xffff, v55
	s_wait_dscnt 0x0
	v_cvt_f16_f32_e32 v49, v107
	v_mul_u32_u24_e32 v108, 0x10001, v108
	v_mul_u32_u24_e32 v54, 0x10001, v54
	s_barrier_signal -1
	s_barrier_wait -1
	v_and_b32_e32 v49, 0xffff, v49
	v_pk_mul_f16 v50, v50, v108
	v_pk_mul_f16 v51, v51, v108
	global_inv scope:SCOPE_SE
	v_fmac_f32_e32 v31, v48, v107
	v_mul_u32_u24_e32 v49, 0x10001, v49
	s_delay_alu instid0(VALU_DEP_1)
	v_pk_fma_f16 v23, v23, v49, v50
	v_pk_fma_f16 v24, v24, v49, v51
	v_lshrrev_b32_e32 v50, 16, v55
	v_mul_u32_u24_e32 v55, 0x10001, v109
	v_and_b32_e32 v49, 0xffff, v56
	v_pk_fma_f16 v23, v52, v54, v23
	v_pk_fma_f16 v24, v53, v54, v24
	v_mul_u32_u24_e32 v50, 0x10001, v50
	v_lshrrev_b32_e32 v51, 16, v56
	v_mul_u32_u24_e32 v49, 0x10001, v49
	v_pk_fma_f16 v23, v62, v55, v23
	v_pk_fma_f16 v24, v63, v55, v24
	v_and_b32_e32 v52, 0xffff, v57
	v_mul_u32_u24_e32 v51, 0x10001, v51
	v_and_b32_e32 v53, 0xffff, v60
	v_pk_fma_f16 v23, v64, v50, v23
	v_pk_fma_f16 v24, v65, v50, v24
	v_lshrrev_b32_e32 v50, 16, v57
	v_mul_u32_u24_e32 v52, 0x10001, v52
	v_lshrrev_b32_e32 v55, 16, v60
	v_pk_fma_f16 v23, v66, v49, v23
	v_pk_fma_f16 v24, v67, v49, v24
	v_and_b32_e32 v49, 0xffff, v58
	v_mul_u32_u24_e32 v50, 0x10001, v50
	v_mul_u32_u24_e32 v57, 0x10001, v53
	v_pk_fma_f16 v23, v68, v51, v23
	v_pk_fma_f16 v24, v69, v51, v24
	v_lshrrev_b32_e32 v51, 16, v58
	v_mul_u32_u24_e32 v49, 0x10001, v49
	v_and_b32_e32 v53, 0xffff, v61
	v_pk_fma_f16 v23, v70, v52, v23
	v_pk_fma_f16 v24, v71, v52, v24
	v_and_b32_e32 v52, 0xffff, v59
	v_mul_u32_u24_e32 v51, 0x10001, v51
	v_mul_u32_u24_e32 v58, 0x10001, v55
	v_pk_fma_f16 v23, v72, v50, v23
	v_pk_fma_f16 v24, v73, v50, v24
	v_lshrrev_b32_e32 v50, 16, v59
	v_mul_u32_u24_e32 v54, 0x10001, v52
	v_mul_u32_u24_e32 v65, 0x10001, v53
	v_pk_fma_f16 v23, v74, v49, v23
	v_pk_fma_f16 v24, v75, v49, v24
	v_mul_u32_u24_e32 v56, 0x10001, v50
	v_lshrrev_b32_e32 v59, 16, v61
	s_delay_alu instid0(VALU_DEP_4) | instskip(NEXT) | instid1(VALU_DEP_4)
	v_pk_fma_f16 v23, v76, v51, v23
	v_pk_fma_f16 v24, v77, v51, v24
	ds_load_b128 v[49:52], v35 offset:32
	v_mul_u32_u24_e32 v66, 0x10001, v59
	v_pk_fma_f16 v23, v78, v54, v23
	v_pk_fma_f16 v24, v79, v54, v24
	s_delay_alu instid0(VALU_DEP_2) | instskip(NEXT) | instid1(VALU_DEP_2)
	v_pk_fma_f16 v23, v80, v56, v23
	v_pk_fma_f16 v24, v81, v56, v24
	ds_load_2addr_b64 v[53:56], v22 offset1:32
	v_pk_fma_f16 v23, v82, v57, v23
	v_pk_fma_f16 v24, v83, v57, v24
	s_delay_alu instid0(VALU_DEP_2) | instskip(NEXT) | instid1(VALU_DEP_2)
	v_pk_fma_f16 v23, v84, v58, v23
	v_pk_fma_f16 v24, v85, v58, v24
	ds_load_b128 v[57:60], v35 offset:48
	ds_load_2addr_b64 v[61:64], v22 offset0:64 offset1:96
	s_wait_dscnt 0x3
	v_and_b32_e32 v67, 0xffff, v49
	v_lshrrev_b32_e32 v49, 16, v49
	v_pk_fma_f16 v23, v86, v65, v23
	v_pk_fma_f16 v24, v87, v65, v24
	v_and_b32_e32 v70, 0xffff, v50
	v_mul_u32_u24_e32 v69, 0x10001, v67
	v_mul_u32_u24_e32 v49, 0x10001, v49
	v_pk_fma_f16 v23, v88, v66, v23
	v_pk_fma_f16 v24, v89, v66, v24
	ds_load_2addr_b64 v[65:68], v22 offset0:128 offset1:160
	v_lshrrev_b32_e32 v50, 16, v50
	ds_load_2addr_b64 v[73:76], v106 offset0:128 offset1:160
	s_wait_dscnt 0x4
	v_pk_fma_f16 v23, v53, v69, v23
	v_pk_fma_f16 v24, v54, v69, v24
	v_mul_u32_u24_e32 v69, 0x10001, v70
	v_mul_u32_u24_e32 v50, 0x10001, v50
	s_delay_alu instid0(VALU_DEP_4) | instskip(NEXT) | instid1(VALU_DEP_4)
	v_pk_fma_f16 v23, v55, v49, v23
	v_pk_fma_f16 v24, v56, v49, v24
	ds_load_2addr_b64 v[53:56], v22 offset0:192 offset1:224
	v_and_b32_e32 v49, 0xffff, v51
	v_lshrrev_b32_e32 v51, 16, v51
	s_wait_dscnt 0x3
	v_pk_fma_f16 v23, v61, v69, v23
	v_pk_fma_f16 v24, v62, v69, v24
	ds_load_2addr_b64 v[69:72], v106 offset1:32
	v_mul_u32_u24_e32 v49, 0x10001, v49
	v_mul_u32_u24_e32 v51, 0x10001, v51
	v_pk_fma_f16 v23, v63, v50, v23
	v_pk_fma_f16 v24, v64, v50, v24
	v_and_b32_e32 v50, 0xffff, v52
	ds_load_2addr_b64 v[61:64], v106 offset0:64 offset1:96
	s_wait_dscnt 0x4
	v_pk_fma_f16 v23, v65, v49, v23
	v_pk_fma_f16 v24, v66, v49, v24
	v_lshrrev_b32_e32 v65, 16, v52
	v_mul_u32_u24_e32 v66, 0x10001, v50
	s_delay_alu instid0(VALU_DEP_4) | instskip(NEXT) | instid1(VALU_DEP_4)
	v_pk_fma_f16 v23, v67, v51, v23
	v_pk_fma_f16 v24, v68, v51, v24
	v_and_b32_e32 v67, 0xffff, v57
	v_mul_u32_u24_e32 v65, 0x10001, v65
	ds_load_2addr_b64 v[49:52], v106 offset0:192 offset1:224
	s_wait_dscnt 0x3
	v_pk_fma_f16 v23, v53, v66, v23
	v_pk_fma_f16 v24, v54, v66, v24
	v_lshrrev_b32_e32 v53, 16, v57
	v_mul_u32_u24_e32 v54, 0x10001, v67
	s_wait_loadcnt_dscnt 0x0
	v_pk_fma_f16 v23, v55, v65, v23
	v_pk_fma_f16 v24, v56, v65, v24
	v_and_b32_e32 v55, 0xffff, v58
	v_mul_u32_u24_e32 v53, 0x10001, v53
	s_barrier_signal -1
	v_pk_fma_f16 v23, v69, v54, v23
	v_pk_fma_f16 v24, v70, v54, v24
	v_lshrrev_b32_e32 v54, 16, v58
	v_mul_u32_u24_e32 v55, 0x10001, v55
	s_barrier_wait -1
	v_pk_fma_f16 v23, v71, v53, v23
	v_pk_fma_f16 v24, v72, v53, v24
	v_and_b32_e32 v53, 0xffff, v59
	v_mul_u32_u24_e32 v54, 0x10001, v54
	global_inv scope:SCOPE_SE
	v_pk_fma_f16 v23, v61, v55, v23
	v_pk_fma_f16 v24, v62, v55, v24
	s_load_b32 s15, s[24:25], 0x4
	v_lshrrev_b32_e32 v55, 16, v59
	v_mul_u32_u24_e32 v53, 0x10001, v53
	v_pk_fma_f16 v23, v63, v54, v23
	v_pk_fma_f16 v24, v64, v54, v24
	v_and_b32_e32 v54, 0xffff, v60
	v_mul_u32_u24_e32 v55, 0x10001, v55
	s_delay_alu instid0(VALU_DEP_4) | instskip(NEXT) | instid1(VALU_DEP_4)
	v_pk_fma_f16 v23, v73, v53, v23
	v_pk_fma_f16 v24, v74, v53, v24
	v_lshrrev_b32_e32 v53, 16, v60
	v_mul_u32_u24_e32 v54, 0x10001, v54
	s_delay_alu instid0(VALU_DEP_4) | instskip(NEXT) | instid1(VALU_DEP_4)
	v_pk_fma_f16 v23, v75, v55, v23
	v_pk_fma_f16 v24, v76, v55, v24
	s_delay_alu instid0(VALU_DEP_4) | instskip(NEXT) | instid1(VALU_DEP_3)
	v_mul_u32_u24_e32 v53, 0x10001, v53
	v_pk_fma_f16 v23, v49, v54, v23
	s_delay_alu instid0(VALU_DEP_3)
	v_pk_fma_f16 v24, v50, v54, v24
	s_wait_kmcnt 0x0
	s_lshl_b32 s15, s15, 5
	s_wait_alu 0xfffe
	s_add_co_i32 s14, s15, s14
	v_pk_fma_f16 v23, v51, v53, v23
	v_pk_fma_f16 v24, v52, v53, v24
	s_wait_alu 0xfffe
	s_cmp_lt_i32 s14, s3
	s_cbranch_scc0 .LBB68_13
; %bb.11:                               ;   in Loop: Header=BB68_8 Depth=1
	v_dual_mov_b32 v49, v2 :: v_dual_mov_b32 v48, v31
	s_branch .LBB68_8
.LBB68_12:
	v_dual_mov_b32 v24, 0 :: v_dual_mov_b32 v23, 0
	v_mov_b32_e32 v2, 0xfeffffff
.LBB68_13:
	s_cmp_gt_i32 s2, s14
	s_cbranch_scc1 .LBB68_16
; %bb.14:
	v_mbcnt_lo_u32_b32 v8, -1, 0
	v_mov_b32_e32 v10, 32
	s_delay_alu instid0(VALU_DEP_2)
	v_xor_b32_e32 v5, 16, v8
	v_xor_b32_e32 v3, 8, v8
	;; [unrolled: 1-line block ×5, first 2 shown]
	s_cbranch_execz .LBB68_17
; %bb.15:
	v_mov_b32_e32 v21, v8
	s_branch .LBB68_22
.LBB68_16:
                                        ; implicit-def: $vgpr8
                                        ; implicit-def: $vgpr10
                                        ; implicit-def: $vgpr5
                                        ; implicit-def: $vgpr3
                                        ; implicit-def: $vgpr4
                                        ; implicit-def: $vgpr6
                                        ; implicit-def: $vgpr7
.LBB68_17:
	v_lshl_add_u32 v11, v25, 2, v34
	s_ashr_i32 s15, s14, 31
	s_ashr_i32 s5, s4, 31
	s_sub_co_i32 s9, s2, s14
	s_wait_alu 0xfffe
	s_mul_u64 s[26:27], s[14:15], s[4:5]
	v_mul_lo_u32 v8, s4, v11
	s_lshl_b32 s4, s4, 3
	s_wait_alu 0xfffe
	s_lshl_b64 s[2:3], s[26:27], 2
	v_lshlrev_b32_e32 v12, 2, v33
	s_add_nc_u64 s[6:7], s[6:7], s[2:3]
	s_mov_b32 s36, 0
	s_mov_b64 s[24:25], src_private_base
	s_mov_b32 s37, s36
	v_ashrrev_i32_e32 v9, 31, v8
	s_mov_b32 s38, s36
	v_dual_mov_b32 v14, s36 :: v_dual_mov_b32 v15, s37
	v_dual_mov_b32 v16, s38 :: v_dual_add_nc_u32 v13, 8, v11
	s_delay_alu instid0(VALU_DEP_3) | instskip(SKIP_1) | instid1(VALU_DEP_1)
	v_lshlrev_b64_e32 v[3:4], 2, v[8:9]
	v_add_nc_u32_e32 v8, s4, v8
	v_ashrrev_i32_e32 v9, 31, v8
	s_delay_alu instid0(VALU_DEP_3) | instskip(SKIP_1) | instid1(VALU_DEP_4)
	v_add_co_u32 v3, vcc_lo, s6, v3
	s_wait_alu 0xfffd
	v_add_co_ci_u32_e64 v4, null, s7, v4, vcc_lo
	s_delay_alu instid0(VALU_DEP_3) | instskip(NEXT) | instid1(VALU_DEP_3)
	v_lshlrev_b64_e32 v[9:10], 2, v[8:9]
	v_add_co_u32 v17, vcc_lo, v3, v12
	s_wait_alu 0xfffd
	s_delay_alu instid0(VALU_DEP_3) | instskip(SKIP_1) | instid1(VALU_DEP_4)
	v_add_co_ci_u32_e64 v18, null, 0, v4, vcc_lo
	v_cmp_gt_i32_e32 vcc_lo, s9, v11
	v_add_co_u32 v9, s2, s6, v9
	v_mov_b32_e32 v3, 0
	v_add_co_ci_u32_e64 v10, null, s7, v10, s2
	s_wait_alu 0xfffc
	v_cndmask_b32_e32 v5, s25, v18, vcc_lo
	v_cndmask_b32_e32 v4, 0, v17, vcc_lo
	v_add_co_u32 v19, s2, v9, v12
	s_clause 0x1
	scratch_store_b32 off, v3, off
	scratch_store_b96 off, v[14:16], off offset:4
	s_wait_alu 0xf1ff
	v_add_co_ci_u32_e64 v33, null, 0, v10, s2
	v_cmp_gt_i32_e64 s2, s9, v13
	v_add_nc_u32_e32 v13, 16, v11
	flat_load_b128 v[4:7], v[4:5]
	v_mad_u32_u24 v34, 0x90, v11, v12
	s_clause 0x1
	scratch_store_b32 off, v3, off
	scratch_store_b96 off, v[14:16], off offset:4
	s_wait_alu 0xf1ff
	v_cndmask_b32_e64 v10, s25, v33, s2
	v_cndmask_b32_e64 v9, 0, v19, s2
	v_add_nc_u32_e32 v8, s4, v8
	s_wait_loadcnt_dscnt 0x0
	ds_store_b128 v34, v[4:7]
	flat_load_b128 v[4:7], v[9:10]
	v_ashrrev_i32_e32 v9, 31, v8
	s_clause 0x1
	scratch_store_b32 off, v3, off
	scratch_store_b96 off, v[14:16], off offset:4
	v_lshlrev_b64_e32 v[9:10], 2, v[8:9]
	v_add_nc_u32_e32 v8, s4, v8
	s_delay_alu instid0(VALU_DEP_2) | instskip(SKIP_1) | instid1(VALU_DEP_3)
	v_add_co_u32 v9, s3, s6, v9
	s_wait_alu 0xf1ff
	v_add_co_ci_u32_e64 v10, null, s7, v10, s3
	s_delay_alu instid0(VALU_DEP_2) | instskip(SKIP_1) | instid1(VALU_DEP_2)
	v_add_co_u32 v35, s3, v9, v12
	s_wait_alu 0xf1ff
	v_add_co_ci_u32_e64 v36, null, 0, v10, s3
	v_cmp_gt_i32_e64 s3, s9, v13
	s_wait_alu 0xf1ff
	s_delay_alu instid0(VALU_DEP_1)
	v_cndmask_b32_e64 v10, s25, v36, s3
	v_cndmask_b32_e64 v9, 0, v35, s3
	s_wait_loadcnt_dscnt 0x0
	ds_store_b128 v34, v[4:7] offset:1152
	flat_load_b128 v[4:7], v[9:10]
	v_ashrrev_i32_e32 v9, 31, v8
	v_add_nc_u32_e32 v10, 24, v11
	s_clause 0x1
	scratch_store_b32 off, v3, off
	scratch_store_b96 off, v[14:16], off offset:4
	v_lshlrev_b64_e32 v[8:9], 2, v[8:9]
	s_delay_alu instid0(VALU_DEP_1) | instskip(SKIP_1) | instid1(VALU_DEP_2)
	v_add_co_u32 v8, s4, s6, v8
	s_wait_alu 0xf1ff
	v_add_co_ci_u32_e64 v9, null, s7, v9, s4
	s_delay_alu instid0(VALU_DEP_2) | instskip(SKIP_1) | instid1(VALU_DEP_2)
	v_add_co_u32 v37, s4, v8, v12
	s_wait_alu 0xf1ff
	v_add_co_ci_u32_e64 v38, null, 0, v9, s4
	v_cmp_gt_i32_e64 s4, s9, v10
	s_wait_alu 0xf1ff
	s_delay_alu instid0(VALU_DEP_1)
	v_cndmask_b32_e64 v9, s25, v38, s4
	v_cndmask_b32_e64 v8, 0, v37, s4
	s_wait_loadcnt_dscnt 0x0
	ds_store_b128 v34, v[4:7] offset:2304
	flat_load_b128 v[4:7], v[8:9]
	v_mov_b32_e32 v9, 0
	v_add_co_u32 v8, s5, 0x80, v17
	s_wait_alu 0xf1ff
	v_add_co_ci_u32_e64 v17, null, 0, v18, s5
	s_delay_alu instid0(VALU_DEP_1) | instskip(NEXT) | instid1(VALU_DEP_3)
	v_cndmask_b32_e32 v18, s25, v17, vcc_lo
	v_cndmask_b32_e32 v17, 0, v8, vcc_lo
	v_add_co_u32 v8, vcc_lo, 0x80, v19
	s_wait_loadcnt_dscnt 0x0
	ds_store_b128 v34, v[4:7] offset:3456
	s_wait_storecnt_dscnt 0x0
	s_barrier_signal -1
	s_barrier_wait -1
	global_inv scope:SCOPE_SE
	ds_load_b128 v[4:7], v32
	ds_load_b128 v[10:13], v30
	s_wait_dscnt 0x0
	;;#ASMSTART
	v_dot2_f32_f16 v9, v4, v10, v9
	;;#ASMEND
	;;#ASMSTART
	v_dot2_f32_f16 v9, v5, v11, v9
	;;#ASMEND
	;;#ASMSTART
	v_dot2_f32_f16 v9, v6, v12, v9
	;;#ASMEND
	;;#ASMSTART
	v_dot2_f32_f16 v9, v7, v13, v9
	;;#ASMEND
	ds_load_b128 v[4:7], v32 offset:16
	ds_load_b128 v[10:13], v30 offset:16
	s_wait_dscnt 0x0
	;;#ASMSTART
	v_dot2_f32_f16 v9, v4, v10, v9
	;;#ASMEND
	;;#ASMSTART
	v_dot2_f32_f16 v9, v5, v11, v9
	;;#ASMEND
	;;#ASMSTART
	v_dot2_f32_f16 v9, v6, v12, v9
	;;#ASMEND
	;;#ASMSTART
	v_dot2_f32_f16 v9, v7, v13, v9
	;;#ASMEND
	ds_load_b128 v[4:7], v32 offset:32
	ds_load_b128 v[10:13], v30 offset:32
	s_wait_dscnt 0x0
	;;#ASMSTART
	v_dot2_f32_f16 v9, v4, v10, v9
	;;#ASMEND
	;;#ASMSTART
	v_dot2_f32_f16 v9, v5, v11, v9
	;;#ASMEND
	;;#ASMSTART
	v_dot2_f32_f16 v9, v6, v12, v9
	;;#ASMEND
	;;#ASMSTART
	v_dot2_f32_f16 v9, v7, v13, v9
	;;#ASMEND
	ds_load_b128 v[4:7], v32 offset:48
	ds_load_b128 v[10:13], v30 offset:48
	s_wait_dscnt 0x0
	;;#ASMSTART
	v_dot2_f32_f16 v9, v4, v10, v9
	;;#ASMEND
	;;#ASMSTART
	v_dot2_f32_f16 v9, v5, v11, v9
	;;#ASMEND
	;;#ASMSTART
	v_dot2_f32_f16 v9, v6, v12, v9
	;;#ASMEND
	;;#ASMSTART
	v_dot2_f32_f16 v9, v7, v13, v9
	;;#ASMEND
	ds_load_b128 v[4:7], v32 offset:64
	ds_load_b128 v[10:13], v30 offset:64
	s_wait_dscnt 0x0
	;;#ASMSTART
	v_dot2_f32_f16 v9, v4, v10, v9
	;;#ASMEND
	;;#ASMSTART
	v_dot2_f32_f16 v9, v5, v11, v9
	;;#ASMEND
	;;#ASMSTART
	v_dot2_f32_f16 v9, v6, v12, v9
	;;#ASMEND
	;;#ASMSTART
	v_dot2_f32_f16 v9, v7, v13, v9
	;;#ASMEND
	ds_load_b128 v[4:7], v32 offset:80
	ds_load_b128 v[10:13], v30 offset:80
	s_wait_dscnt 0x0
	;;#ASMSTART
	v_dot2_f32_f16 v9, v4, v10, v9
	;;#ASMEND
	;;#ASMSTART
	v_dot2_f32_f16 v9, v5, v11, v9
	;;#ASMEND
	;;#ASMSTART
	v_dot2_f32_f16 v9, v6, v12, v9
	;;#ASMEND
	;;#ASMSTART
	v_dot2_f32_f16 v9, v7, v13, v9
	;;#ASMEND
	ds_load_b128 v[4:7], v32 offset:96
	ds_load_b128 v[10:13], v30 offset:96
	s_wait_dscnt 0x0
	;;#ASMSTART
	v_dot2_f32_f16 v9, v4, v10, v9
	;;#ASMEND
	;;#ASMSTART
	v_dot2_f32_f16 v9, v5, v11, v9
	;;#ASMEND
	;;#ASMSTART
	v_dot2_f32_f16 v9, v6, v12, v9
	;;#ASMEND
	;;#ASMSTART
	v_dot2_f32_f16 v9, v7, v13, v9
	;;#ASMEND
	ds_load_b128 v[4:7], v32 offset:112
	ds_load_b128 v[10:13], v30 offset:112
	s_wait_dscnt 0x0
	;;#ASMSTART
	v_dot2_f32_f16 v9, v4, v10, v9
	;;#ASMEND
	;;#ASMSTART
	v_dot2_f32_f16 v9, v5, v11, v9
	;;#ASMEND
	;; [unrolled: 3-line block ×4, first 2 shown]
	s_wait_loadcnt 0x0
	s_barrier_signal -1
	s_barrier_wait -1
	global_inv scope:SCOPE_SE
	s_clause 0x1
	scratch_store_b32 off, v3, off
	scratch_store_b96 off, v[14:16], off offset:4
	flat_load_b128 v[4:7], v[17:18]
	s_wait_alu 0xfffd
	v_add_co_ci_u32_e64 v10, null, 0, v33, vcc_lo
	s_clause 0x1
	scratch_store_b32 off, v3, off
	scratch_store_b96 off, v[14:16], off offset:4
	v_cndmask_b32_e64 v11, s25, v10, s2
	v_cndmask_b32_e64 v10, 0, v8, s2
	v_add_co_u32 v8, vcc_lo, 0x80, v35
	s_mov_b32 s2, exec_lo
	s_wait_loadcnt_dscnt 0x0
	ds_store_b128 v34, v[4:7]
	flat_load_b128 v[4:7], v[10:11]
	s_wait_alu 0xfffd
	v_add_co_ci_u32_e64 v10, null, 0, v36, vcc_lo
	s_clause 0x1
	scratch_store_b32 off, v3, off
	scratch_store_b96 off, v[14:16], off offset:4
	v_cndmask_b32_e64 v11, s25, v10, s3
	v_cndmask_b32_e64 v10, 0, v8, s3
	v_add_co_u32 v8, vcc_lo, 0x80, v37
	s_wait_loadcnt_dscnt 0x0
	ds_store_b128 v34, v[4:7] offset:1152
	flat_load_b128 v[4:7], v[10:11]
	s_wait_alu 0xfffd
	v_add_co_ci_u32_e64 v10, null, 0, v38, vcc_lo
	s_clause 0x1
	scratch_store_b32 off, v3, off
	scratch_store_b96 off, v[14:16], off offset:4
	v_cndmask_b32_e64 v11, s25, v10, s4
	v_cndmask_b32_e64 v10, 0, v8, s4
	s_wait_loadcnt_dscnt 0x0
	ds_store_b128 v34, v[4:7] offset:2304
	flat_load_b128 v[4:7], v[10:11]
	s_wait_loadcnt_dscnt 0x0
	ds_store_b128 v34, v[4:7] offset:3456
	s_wait_storecnt_dscnt 0x0
	s_barrier_signal -1
	s_barrier_wait -1
	global_inv scope:SCOPE_SE
	ds_load_b128 v[4:7], v32
	ds_load_b128 v[10:13], v30 offset:128
	s_wait_dscnt 0x0
	;;#ASMSTART
	v_dot2_f32_f16 v9, v4, v10, v9
	;;#ASMEND
	;;#ASMSTART
	v_dot2_f32_f16 v9, v5, v11, v9
	;;#ASMEND
	;;#ASMSTART
	v_dot2_f32_f16 v9, v6, v12, v9
	;;#ASMEND
	;;#ASMSTART
	v_dot2_f32_f16 v9, v7, v13, v9
	;;#ASMEND
	ds_load_b128 v[4:7], v32 offset:16
	ds_load_b128 v[10:13], v30 offset:144
	s_wait_dscnt 0x0
	;;#ASMSTART
	v_dot2_f32_f16 v9, v4, v10, v9
	;;#ASMEND
	;;#ASMSTART
	v_dot2_f32_f16 v9, v5, v11, v9
	;;#ASMEND
	;;#ASMSTART
	v_dot2_f32_f16 v9, v6, v12, v9
	;;#ASMEND
	;;#ASMSTART
	v_dot2_f32_f16 v9, v7, v13, v9
	;;#ASMEND
	ds_load_b128 v[4:7], v32 offset:32
	;; [unrolled: 15-line block ×7, first 2 shown]
	ds_load_b128 v[10:13], v30 offset:240
	v_mov_b32_e32 v4, v2
	s_wait_dscnt 0x0
	;;#ASMSTART
	v_dot2_f32_f16 v9, v5, v10, v9
	;;#ASMEND
	;;#ASMSTART
	v_dot2_f32_f16 v9, v6, v11, v9
	;;#ASMEND
	;; [unrolled: 3-line block ×4, first 2 shown]
	v_cmpx_gt_i32_e64 s9, v0
	s_cbranch_execz .LBB68_21
; %bb.18:
	s_cmp_eq_u64 s[34:35], 0
	s_cbranch_scc1 .LBB68_20
; %bb.19:
	v_mul_lo_u32 v3, v29, s33
	s_delay_alu instid0(VALU_DEP_1) | instskip(NEXT) | instid1(VALU_DEP_1)
	v_add3_u32 v3, v3, v0, s14
	v_ashrrev_i32_e32 v4, 31, v3
	s_delay_alu instid0(VALU_DEP_1) | instskip(NEXT) | instid1(VALU_DEP_1)
	v_lshlrev_b64_e32 v[3:4], 1, v[3:4]
	v_add_co_u32 v3, vcc_lo, s34, v3
	s_wait_alu 0xfffd
	s_delay_alu instid0(VALU_DEP_2) | instskip(SKIP_3) | instid1(VALU_DEP_1)
	v_add_co_ci_u32_e64 v4, null, s35, v4, vcc_lo
	global_load_u16 v3, v[3:4], off
	s_wait_loadcnt 0x0
	v_cvt_f32_f16_e32 v3, v3
	v_mul_f32_e32 v3, v26, v3
.LBB68_20:
	s_delay_alu instid0(VALU_DEP_1) | instskip(NEXT) | instid1(VALU_DEP_1)
	v_dual_add_f32 v9, v9, v3 :: v_dual_max_num_f32 v4, v2, v2
	v_add_f32_e32 v3, 0x40051340, v9
	s_delay_alu instid0(VALU_DEP_1)
	v_max_num_f32_e32 v4, v4, v3
.LBB68_21:
	s_wait_alu 0xfffe
	s_or_b32 exec_lo, exec_lo, s2
	v_xor_b32_e32 v5, 16, v21
	v_lshl_add_u32 v28, v25, 1, v28
	s_ashr_i32 s11, s10, 31
	s_mov_b32 s4, 0
	s_wait_alu 0xfffe
	s_mul_u64 s[6:7], s[14:15], s[10:11]
	v_cmp_gt_i32_e32 vcc_lo, 32, v5
	v_mul_lo_u32 v15, s10, v28
	s_wait_alu 0xfffe
	s_lshl_b64 s[24:25], s[6:7], 2
	s_mov_b32 s5, s4
	s_wait_alu 0xfffe
	s_add_nc_u64 s[24:25], s[20:21], s[24:25]
	s_wait_alu 0xfffd
	v_cndmask_b32_e32 v3, v21, v5, vcc_lo
	s_mov_b32 s6, s4
	s_mov_b64 s[2:3], src_private_base
	s_wait_loadcnt 0x0
	v_ashrrev_i32_e32 v16, 31, v15
	v_lshlrev_b32_e32 v3, 2, v3
	s_barrier_signal -1
	s_barrier_wait -1
	global_inv scope:SCOPE_SE
	v_lshlrev_b64_e32 v[16:17], 2, v[15:16]
	ds_bpermute_b32 v6, v3, v4
	v_xor_b32_e32 v3, 8, v21
	v_max_num_f32_e32 v4, v4, v4
	s_lshl_b32 s2, s10, 2
	v_lshlrev_b32_e32 v13, 1, v0
	s_wait_alu 0xfffe
	v_add_nc_u32_e32 v18, s2, v15
	v_cmp_gt_i32_e32 vcc_lo, 32, v3
	v_lshlrev_b32_e32 v71, 2, v27
	v_add_nc_u32_e32 v73, 4, v28
	v_add_nc_u32_e32 v75, 8, v28
	v_ashrrev_i32_e32 v19, 31, v18
	v_add_nc_u32_e32 v77, 12, v28
	v_lshl_or_b32 v74, v28, 8, v71
	v_lshl_or_b32 v76, v73, 8, v71
	;; [unrolled: 1-line block ×3, first 2 shown]
	v_lshlrev_b64_e32 v[29:30], 2, v[18:19]
	v_add_nc_u32_e32 v18, s2, v18
	v_add_nc_u32_e32 v79, 0x800, v22
	s_wait_dscnt 0x0
	s_wait_alu 0xfffd
	v_dual_max_num_f32 v6, v6, v6 :: v_dual_cndmask_b32 v7, v21, v3
	s_delay_alu instid0(VALU_DEP_1) | instskip(SKIP_1) | instid1(VALU_DEP_1)
	v_max_num_f32_e32 v6, v4, v6
	v_xor_b32_e32 v4, 4, v21
	v_cmp_gt_i32_e32 vcc_lo, 32, v4
	s_wait_alu 0xfffd
	v_dual_cndmask_b32 v8, v21, v4 :: v_dual_lshlrev_b32 v7, 2, v7
	ds_bpermute_b32 v7, v7, v6
	s_wait_dscnt 0x0
	v_dual_max_num_f32 v7, v7, v7 :: v_dual_lshlrev_b32 v8, 2, v8
	s_delay_alu instid0(VALU_DEP_1) | instskip(SKIP_1) | instid1(VALU_DEP_1)
	v_max_num_f32_e32 v7, v6, v7
	v_xor_b32_e32 v6, 2, v21
	v_cmp_gt_i32_e32 vcc_lo, 32, v6
	s_wait_alu 0xfffd
	v_cndmask_b32_e32 v10, v21, v6, vcc_lo
	ds_bpermute_b32 v8, v8, v7
	v_lshlrev_b32_e32 v10, 2, v10
	s_wait_dscnt 0x0
	v_max_num_f32_e32 v8, v8, v8
	s_delay_alu instid0(VALU_DEP_1) | instskip(SKIP_1) | instid1(VALU_DEP_1)
	v_max_num_f32_e32 v8, v7, v8
	v_xor_b32_e32 v7, 1, v21
	v_cmp_gt_i32_e32 vcc_lo, 32, v7
	s_wait_alu 0xfffd
	v_cndmask_b32_e32 v11, v21, v7, vcc_lo
	s_delay_alu instid0(VALU_DEP_1) | instskip(SKIP_3) | instid1(VALU_DEP_1)
	v_lshlrev_b32_e32 v11, 2, v11
	ds_bpermute_b32 v10, v10, v8
	s_wait_dscnt 0x0
	v_max_num_f32_e32 v10, v10, v10
	v_max_num_f32_e32 v8, v8, v10
	ds_bpermute_b32 v10, v11, v8
	s_wait_dscnt 0x0
	v_max_num_f32_e32 v10, v10, v10
	s_delay_alu instid0(VALU_DEP_1) | instskip(NEXT) | instid1(VALU_DEP_1)
	v_max_num_f32_e32 v8, v8, v10
	v_sub_f32_e32 v9, v9, v8
	v_sub_f32_e32 v2, v2, v8
	s_delay_alu instid0(VALU_DEP_2) | instskip(SKIP_1) | instid1(VALU_DEP_1)
	v_cmp_ngt_f32_e32 vcc_lo, 0xc2ce8ed0, v9
	v_mul_f32_e32 v10, 0x3fb8aa3b, v9
	v_fma_f32 v11, 0x3fb8aa3b, v9, -v10
	v_rndne_f32_e32 v12, v10
	s_delay_alu instid0(VALU_DEP_1) | instskip(SKIP_1) | instid1(VALU_DEP_2)
	v_dual_fmac_f32 v11, 0x32a5705f, v9 :: v_dual_sub_f32 v10, v10, v12
	v_cvt_i32_f32_e32 v12, v12
	v_dual_add_f32 v11, v10, v11 :: v_dual_lshlrev_b32 v10, 6, v25
	s_delay_alu instid0(VALU_DEP_1) | instskip(NEXT) | instid1(TRANS32_DEP_1)
	v_exp_f32_e32 v11, v11
	v_ldexp_f32 v11, v11, v12
	s_wait_alu 0xfffd
	s_delay_alu instid0(VALU_DEP_1)
	v_cndmask_b32_e32 v11, 0, v11, vcc_lo
	v_add_co_u32 v12, vcc_lo, s24, v16
	s_wait_alu 0xfffd
	v_add_co_ci_u32_e64 v14, null, s25, v17, vcc_lo
	v_cmp_nlt_f32_e32 vcc_lo, 0x42b17218, v9
	s_wait_alu 0xfffd
	v_cndmask_b32_e32 v9, 0x7f800000, v11, vcc_lo
	v_add_co_u32 v11, vcc_lo, v12, v71
	s_wait_alu 0xfffd
	v_add_co_ci_u32_e64 v12, null, 0, v14, vcc_lo
	v_cmp_gt_u32_e32 vcc_lo, s9, v0
	s_wait_alu 0xfffd
	v_dual_mov_b32 v72, 0 :: v_dual_cndmask_b32 v9, 0, v9
	v_cmp_gt_i32_e32 vcc_lo, s9, v28
	v_dual_mov_b32 v66, s6 :: v_dual_mov_b32 v65, s5
	v_add3_u32 v13, 0x1400, v10, v13
	s_delay_alu instid0(VALU_DEP_4)
	v_cvt_f16_f32_e32 v14, v9
	v_mov_b32_e32 v64, s4
	s_wait_alu 0xfffd
	v_cndmask_b32_e32 v12, s3, v12, vcc_lo
	v_cndmask_b32_e32 v11, 0, v11, vcc_lo
	s_clause 0x1
	scratch_store_b32 off, v72, off
	scratch_store_b96 off, v[64:66], off offset:4
	ds_store_b16 v13, v14
	v_add_co_u32 v15, vcc_lo, s24, v29
	flat_load_b128 v[11:14], v[11:12]
	s_wait_alu 0xfffd
	v_add_co_ci_u32_e64 v19, null, s25, v30, vcc_lo
	v_add_co_u32 v15, vcc_lo, v15, v71
	s_clause 0x1
	scratch_store_b32 off, v72, off
	scratch_store_b96 off, v[64:66], off offset:4
	s_wait_alu 0xfffd
	v_add_co_ci_u32_e64 v19, null, 0, v19, vcc_lo
	v_cmp_gt_i32_e32 vcc_lo, s9, v73
	s_or_b32 s4, s14, 16
	s_wait_alu 0xfffe
	s_ashr_i32 s5, s4, 31
	s_wait_alu 0xfffd
	v_cndmask_b32_e32 v26, s3, v19, vcc_lo
	v_cndmask_b32_e32 v25, 0, v15, vcc_lo
	v_ashrrev_i32_e32 v19, 31, v18
	s_wait_alu 0xfffe
	s_mul_u64 s[4:5], s[4:5], s[10:11]
	s_wait_alu 0xfffe
	s_lshl_b64 s[4:5], s[4:5], 2
	v_lshlrev_b64_e32 v[67:68], 2, v[18:19]
	v_add_nc_u32_e32 v18, s2, v18
	s_wait_alu 0xfffe
	s_add_nc_u64 s[4:5], s[20:21], s[4:5]
	s_delay_alu instid0(VALU_DEP_2) | instskip(SKIP_2) | instid1(VALU_DEP_2)
	v_add_co_u32 v15, vcc_lo, s24, v67
	s_wait_alu 0xfffd
	v_add_co_ci_u32_e64 v19, null, s25, v68, vcc_lo
	v_add_co_u32 v15, vcc_lo, v15, v71
	s_wait_alu 0xfffd
	s_delay_alu instid0(VALU_DEP_2)
	v_add_co_ci_u32_e64 v19, null, 0, v19, vcc_lo
	v_cmp_gt_i32_e32 vcc_lo, s9, v75
	s_wait_loadcnt_dscnt 0x0
	ds_store_b128 v74, v[11:14]
	flat_load_b128 v[11:14], v[25:26]
	s_wait_alu 0xfffd
	v_cndmask_b32_e32 v26, s3, v19, vcc_lo
	v_cndmask_b32_e32 v25, 0, v15, vcc_lo
	s_clause 0x1
	scratch_store_b32 off, v72, off
	scratch_store_b96 off, v[64:66], off offset:4
	v_ashrrev_i32_e32 v19, 31, v18
	s_delay_alu instid0(VALU_DEP_1) | instskip(NEXT) | instid1(VALU_DEP_1)
	v_lshlrev_b64_e32 v[69:70], 2, v[18:19]
	v_add_co_u32 v15, vcc_lo, s24, v69
	s_wait_alu 0xfffd
	s_delay_alu instid0(VALU_DEP_2) | instskip(NEXT) | instid1(VALU_DEP_2)
	v_add_co_ci_u32_e64 v18, null, s25, v70, vcc_lo
	v_add_co_u32 v15, vcc_lo, v15, v71
	s_wait_alu 0xfffd
	s_delay_alu instid0(VALU_DEP_2) | instskip(SKIP_3) | instid1(VALU_DEP_2)
	v_add_co_ci_u32_e64 v18, null, 0, v18, vcc_lo
	v_cmp_gt_i32_e32 vcc_lo, s9, v77
	s_add_co_i32 s9, s9, -16
	s_wait_alu 0xfffd
	v_cndmask_b32_e32 v19, s3, v18, vcc_lo
	v_cndmask_b32_e32 v18, 0, v15, vcc_lo
	s_wait_alu 0xfffe
	v_add_co_u32 v15, vcc_lo, s4, v16
	s_wait_alu 0xfffd
	v_add_co_ci_u32_e64 v16, null, s5, v17, vcc_lo
	s_delay_alu instid0(VALU_DEP_2) | instskip(SKIP_1) | instid1(VALU_DEP_2)
	v_add_co_u32 v15, vcc_lo, v15, v71
	s_wait_alu 0xfffd
	v_add_co_ci_u32_e64 v16, null, 0, v16, vcc_lo
	v_cmp_gt_i32_e32 vcc_lo, s9, v28
	s_wait_alu 0xfffd
	s_delay_alu instid0(VALU_DEP_2) | instskip(SKIP_4) | instid1(VALU_DEP_2)
	v_cndmask_b32_e32 v61, s3, v16, vcc_lo
	v_cndmask_b32_e32 v60, 0, v15, vcc_lo
	v_add_co_u32 v29, vcc_lo, s4, v29
	s_wait_alu 0xfffd
	v_add_co_ci_u32_e64 v30, null, s5, v30, vcc_lo
	v_add_co_u32 v29, vcc_lo, v29, v71
	s_wait_alu 0xfffd
	s_delay_alu instid0(VALU_DEP_2) | instskip(SKIP_2) | instid1(VALU_DEP_2)
	v_add_co_ci_u32_e64 v30, null, 0, v30, vcc_lo
	v_cmp_gt_i32_e32 vcc_lo, s9, v73
	s_wait_alu 0xfffd
	v_cndmask_b32_e32 v30, s3, v30, vcc_lo
	v_cndmask_b32_e32 v29, 0, v29, vcc_lo
	s_wait_loadcnt_dscnt 0x0
	ds_store_b128 v76, v[11:14]
	flat_load_b128 v[11:14], v[25:26]
	s_clause 0x1
	scratch_store_b32 off, v72, off
	scratch_store_b96 off, v[64:66], off offset:4
	s_wait_loadcnt_dscnt 0x0
	ds_store_b128 v78, v[11:14]
	flat_load_b128 v[11:14], v[18:19]
	v_lshl_or_b32 v19, v77, 8, v71
	s_wait_loadcnt_dscnt 0x0
	ds_store_b128 v19, v[11:14]
	s_wait_storecnt_dscnt 0x0
	s_barrier_signal -1
	s_barrier_wait -1
	global_inv scope:SCOPE_SE
	ds_load_2addr_b64 v[11:14], v22 offset1:32
	ds_load_b128 v[15:18], v10 offset:5120
	ds_load_b128 v[25:28], v10 offset:5136
	ds_load_2addr_b64 v[32:35], v22 offset0:64 offset1:96
	ds_load_2addr_b64 v[36:39], v22 offset0:128 offset1:160
	;; [unrolled: 1-line block ×3, first 2 shown]
	ds_load_2addr_b64 v[44:47], v79 offset1:32
	ds_load_2addr_b64 v[48:51], v79 offset0:64 offset1:96
	ds_load_2addr_b64 v[52:55], v79 offset0:128 offset1:160
	;; [unrolled: 1-line block ×3, first 2 shown]
	s_wait_loadcnt_dscnt 0x0
	s_barrier_signal -1
	s_barrier_wait -1
	global_inv scope:SCOPE_SE
	s_clause 0x1
	scratch_store_b32 off, v72, off
	scratch_store_b96 off, v[64:66], off offset:4
	flat_load_b128 v[60:63], v[60:61]
	s_clause 0x1
	scratch_store_b32 off, v72, off
	scratch_store_b96 off, v[64:66], off offset:4
	s_wait_loadcnt_dscnt 0x0
	ds_store_b128 v74, v[60:63]
	flat_load_b128 v[60:63], v[29:30]
	v_add_co_u32 v29, vcc_lo, s4, v67
	s_wait_alu 0xfffd
	v_add_co_ci_u32_e64 v30, null, s5, v68, vcc_lo
	s_clause 0x1
	scratch_store_b32 off, v72, off
	scratch_store_b96 off, v[64:66], off offset:4
	v_add_co_u32 v29, vcc_lo, v29, v71
	s_wait_alu 0xfffd
	v_add_co_ci_u32_e64 v30, null, 0, v30, vcc_lo
	v_cmp_gt_i32_e32 vcc_lo, s9, v75
	s_wait_alu 0xfffd
	s_delay_alu instid0(VALU_DEP_2)
	v_cndmask_b32_e32 v30, s3, v30, vcc_lo
	v_cndmask_b32_e32 v29, 0, v29, vcc_lo
	s_wait_loadcnt_dscnt 0x0
	ds_store_b128 v76, v[60:63]
	flat_load_b128 v[60:63], v[29:30]
	v_add_co_u32 v29, vcc_lo, s4, v69
	s_wait_alu 0xfffd
	v_add_co_ci_u32_e64 v30, null, s5, v70, vcc_lo
	s_clause 0x1
	scratch_store_b32 off, v72, off
	scratch_store_b96 off, v[64:66], off offset:4
	v_add_co_u32 v29, vcc_lo, v29, v71
	s_wait_alu 0xfffd
	v_add_co_ci_u32_e64 v30, null, 0, v30, vcc_lo
	v_cmp_gt_i32_e32 vcc_lo, s9, v77
	s_wait_alu 0xfffd
	s_delay_alu instid0(VALU_DEP_2)
	v_cndmask_b32_e32 v30, s3, v30, vcc_lo
	v_cndmask_b32_e32 v29, 0, v29, vcc_lo
	v_cmp_ngt_f32_e32 vcc_lo, 0xc2ce8ed0, v2
	s_wait_loadcnt_dscnt 0x0
	ds_store_b128 v78, v[60:63]
	flat_load_b128 v[60:63], v[29:30]
	v_mul_f32_e32 v29, 0x3fb8aa3b, v2
	s_delay_alu instid0(VALU_DEP_1) | instskip(SKIP_1) | instid1(VALU_DEP_1)
	v_fma_f32 v30, 0x3fb8aa3b, v2, -v29
	v_rndne_f32_e32 v64, v29
	v_dual_fmac_f32 v30, 0x32a5705f, v2 :: v_dual_sub_f32 v29, v29, v64
	s_delay_alu instid0(VALU_DEP_1) | instskip(SKIP_1) | instid1(VALU_DEP_2)
	v_add_f32_e32 v29, v29, v30
	v_cvt_i32_f32_e32 v30, v64
	v_exp_f32_e32 v29, v29
	s_delay_alu instid0(TRANS32_DEP_1) | instskip(SKIP_3) | instid1(VALU_DEP_3)
	v_ldexp_f32 v29, v29, v30
	v_and_b32_e32 v30, 0xffff, v15
	v_lshrrev_b32_e32 v15, 16, v15
	s_wait_alu 0xfffd
	v_cndmask_b32_e32 v29, 0, v29, vcc_lo
	v_cmp_nlt_f32_e32 vcc_lo, 0x42b17218, v2
	v_mul_u32_u24_e32 v30, 0x10001, v30
	v_mul_u32_u24_e32 v15, 0x10001, v15
	s_wait_alu 0xfffd
	v_cndmask_b32_e32 v2, 0x7f800000, v29, vcc_lo
	s_delay_alu instid0(VALU_DEP_3)
	v_pk_mul_f16 v11, v11, v30
	v_pk_mul_f16 v12, v12, v30
	v_and_b32_e32 v64, 0xffff, v16
	v_lshrrev_b32_e32 v16, 16, v16
	v_cvt_f16_f32_e32 v29, v2
	v_dual_fmac_f32 v9, v31, v2 :: v_dual_mov_b32 v2, v8
	s_delay_alu instid0(VALU_DEP_3) | instskip(NEXT) | instid1(VALU_DEP_3)
	v_mul_u32_u24_e32 v16, 0x10001, v16
	v_and_b32_e32 v29, 0xffff, v29
	s_delay_alu instid0(VALU_DEP_3) | instskip(NEXT) | instid1(VALU_DEP_2)
	v_mov_b32_e32 v31, v9
	v_mul_u32_u24_e32 v29, 0x10001, v29
	s_delay_alu instid0(VALU_DEP_1) | instskip(SKIP_2) | instid1(VALU_DEP_3)
	v_pk_fma_f16 v11, v23, v29, v11
	v_pk_fma_f16 v12, v24, v29, v12
	v_mul_u32_u24_e32 v23, 0x10001, v64
	v_pk_fma_f16 v11, v13, v15, v11
	s_delay_alu instid0(VALU_DEP_3)
	v_pk_fma_f16 v12, v14, v15, v12
	v_and_b32_e32 v13, 0xffff, v17
	v_lshrrev_b32_e32 v14, 16, v17
	v_and_b32_e32 v15, 0xffff, v18
	v_pk_fma_f16 v11, v32, v23, v11
	v_pk_fma_f16 v12, v33, v23, v12
	v_mul_u32_u24_e32 v13, 0x10001, v13
	v_mul_u32_u24_e32 v14, 0x10001, v14
	;; [unrolled: 1-line block ×3, first 2 shown]
	v_pk_fma_f16 v11, v34, v16, v11
	v_pk_fma_f16 v12, v35, v16, v12
	v_lshrrev_b32_e32 v16, 16, v18
	v_and_b32_e32 v17, 0xffff, v27
	v_lshrrev_b32_e32 v18, 16, v27
	v_pk_fma_f16 v11, v36, v13, v11
	v_pk_fma_f16 v12, v37, v13, v12
	v_and_b32_e32 v13, 0xffff, v25
	v_mul_u32_u24_e32 v16, 0x10001, v16
	v_mul_u32_u24_e32 v23, 0x10001, v17
	v_pk_fma_f16 v11, v38, v14, v11
	v_pk_fma_f16 v12, v39, v14, v12
	v_lshrrev_b32_e32 v14, 16, v25
	v_mul_u32_u24_e32 v13, 0x10001, v13
	v_lshrrev_b32_e32 v27, 16, v28
	v_pk_fma_f16 v11, v40, v15, v11
	v_pk_fma_f16 v12, v41, v15, v12
	v_and_b32_e32 v15, 0xffff, v26
	v_mul_u32_u24_e32 v14, 0x10001, v14
	v_mul_u32_u24_e32 v32, 0x10001, v27
	v_pk_fma_f16 v11, v42, v16, v11
	v_pk_fma_f16 v12, v43, v16, v12
	v_lshrrev_b32_e32 v16, 16, v26
	v_mul_u32_u24_e32 v15, 0x10001, v15
	s_delay_alu instid0(VALU_DEP_4) | instskip(NEXT) | instid1(VALU_DEP_4)
	v_pk_fma_f16 v11, v44, v13, v11
	v_pk_fma_f16 v12, v45, v13, v12
	s_delay_alu instid0(VALU_DEP_4) | instskip(NEXT) | instid1(VALU_DEP_3)
	v_mul_u32_u24_e32 v16, 0x10001, v16
	v_pk_fma_f16 v11, v46, v14, v11
	s_delay_alu instid0(VALU_DEP_3) | instskip(NEXT) | instid1(VALU_DEP_2)
	v_pk_fma_f16 v17, v47, v14, v12
	v_pk_fma_f16 v24, v48, v15, v11
	s_delay_alu instid0(VALU_DEP_2) | instskip(NEXT) | instid1(VALU_DEP_2)
	v_pk_fma_f16 v15, v49, v15, v17
	v_pk_fma_f16 v17, v50, v16, v24
	s_delay_alu instid0(VALU_DEP_2) | instskip(SKIP_1) | instid1(VALU_DEP_3)
	v_pk_fma_f16 v25, v51, v16, v15
	v_mul_u32_u24_e32 v24, 0x10001, v18
	v_pk_fma_f16 v26, v52, v23, v17
	s_delay_alu instid0(VALU_DEP_3) | instskip(NEXT) | instid1(VALU_DEP_2)
	v_pk_fma_f16 v23, v53, v23, v25
	v_pk_fma_f16 v25, v54, v24, v26
	s_delay_alu instid0(VALU_DEP_2)
	v_pk_fma_f16 v33, v55, v24, v23
	s_wait_loadcnt_dscnt 0x0
	ds_store_b128 v19, v[60:63]
	s_wait_storecnt_dscnt 0x0
	s_barrier_signal -1
	s_barrier_wait -1
	global_inv scope:SCOPE_SE
	ds_load_b128 v[11:14], v10 offset:5152
	v_and_b32_e32 v19, 0xffff, v28
	ds_load_2addr_b64 v[15:18], v22 offset1:32
	v_mul_u32_u24_e32 v19, 0x10001, v19
	s_delay_alu instid0(VALU_DEP_1) | instskip(SKIP_4) | instid1(VALU_DEP_2)
	v_pk_fma_f16 v34, v56, v19, v25
	ds_load_b128 v[23:26], v10 offset:5168
	ds_load_2addr_b64 v[27:30], v22 offset0:64 offset1:96
	v_pk_fma_f16 v19, v57, v19, v33
	v_pk_fma_f16 v36, v58, v32, v34
	;; [unrolled: 1-line block ×3, first 2 shown]
	ds_load_2addr_b64 v[32:35], v22 offset0:128 offset1:160
	s_wait_dscnt 0x4
	v_and_b32_e32 v10, 0xffff, v11
	v_lshrrev_b32_e32 v11, 16, v11
	v_and_b32_e32 v37, 0xffff, v12
	v_lshrrev_b32_e32 v12, 16, v12
	s_delay_alu instid0(VALU_DEP_4) | instskip(NEXT) | instid1(VALU_DEP_4)
	v_mul_u32_u24_e32 v10, 0x10001, v10
	v_mul_u32_u24_e32 v11, 0x10001, v11
	s_delay_alu instid0(VALU_DEP_3) | instskip(SKIP_1) | instid1(VALU_DEP_3)
	v_mul_u32_u24_e32 v12, 0x10001, v12
	s_wait_dscnt 0x3
	v_pk_fma_f16 v15, v15, v10, v36
	v_pk_fma_f16 v10, v16, v10, v19
	v_mul_u32_u24_e32 v19, 0x10001, v37
	s_delay_alu instid0(VALU_DEP_3) | instskip(NEXT) | instid1(VALU_DEP_3)
	v_pk_fma_f16 v36, v17, v11, v15
	v_pk_fma_f16 v10, v18, v11, v10
	ds_load_2addr_b64 v[15:18], v22 offset0:192 offset1:224
	v_and_b32_e32 v11, 0xffff, v13
	s_wait_dscnt 0x2
	v_pk_fma_f16 v22, v27, v19, v36
	v_pk_fma_f16 v10, v28, v19, v10
	v_lshrrev_b32_e32 v19, 16, v13
	v_mul_u32_u24_e32 v27, 0x10001, v11
	s_delay_alu instid0(VALU_DEP_4) | instskip(NEXT) | instid1(VALU_DEP_4)
	v_pk_fma_f16 v22, v29, v12, v22
	v_pk_fma_f16 v28, v30, v12, v10
	ds_load_2addr_b64 v[10:13], v79 offset1:32
	v_and_b32_e32 v29, 0xffff, v14
	v_mul_u32_u24_e32 v19, 0x10001, v19
	s_wait_dscnt 0x2
	v_pk_fma_f16 v22, v32, v27, v22
	v_pk_fma_f16 v27, v33, v27, v28
	v_lshrrev_b32_e32 v14, 16, v14
	v_mul_u32_u24_e32 v32, 0x10001, v29
	v_and_b32_e32 v33, 0xffff, v23
	v_pk_fma_f16 v22, v34, v19, v22
	v_pk_fma_f16 v19, v35, v19, v27
	ds_load_2addr_b64 v[27:30], v79 offset0:64 offset1:96
	v_mul_u32_u24_e32 v14, 0x10001, v14
	s_wait_dscnt 0x2
	v_pk_fma_f16 v15, v15, v32, v22
	v_pk_fma_f16 v16, v16, v32, v19
	v_lshrrev_b32_e32 v19, 16, v23
	v_mul_u32_u24_e32 v22, 0x10001, v33
	v_and_b32_e32 v32, 0xffff, v24
	v_pk_fma_f16 v23, v17, v14, v15
	v_pk_fma_f16 v18, v18, v14, v16
	ds_load_2addr_b64 v[14:17], v79 offset0:128 offset1:160
	;; [unrolled: 10-line block ×3, first 2 shown]
	v_mul_u32_u24_e32 v18, 0x10001, v18
	v_mul_u32_u24_e32 v24, 0x10001, v24
	s_wait_dscnt 0x2
	v_pk_fma_f16 v23, v27, v22, v23
	v_pk_fma_f16 v19, v28, v22, v19
	v_lshrrev_b32_e32 v22, 16, v25
	s_wait_loadcnt_dscnt 0x0
	s_barrier_signal -1
	v_pk_fma_f16 v23, v29, v18, v23
	v_pk_fma_f16 v18, v30, v18, v19
	v_and_b32_e32 v19, 0xffff, v26
	v_mul_u32_u24_e32 v22, 0x10001, v22
	s_barrier_wait -1
	v_pk_fma_f16 v14, v14, v24, v23
	v_pk_fma_f16 v15, v15, v24, v18
	v_lshrrev_b32_e32 v18, 16, v26
	v_mul_u32_u24_e32 v19, 0x10001, v19
	global_inv scope:SCOPE_SE
	v_pk_fma_f16 v14, v16, v22, v14
	v_pk_fma_f16 v15, v17, v22, v15
	v_mul_u32_u24_e32 v16, 0x10001, v18
	s_delay_alu instid0(VALU_DEP_3) | instskip(NEXT) | instid1(VALU_DEP_3)
	v_pk_fma_f16 v14, v10, v19, v14
	v_pk_fma_f16 v11, v11, v19, v15
	v_mov_b32_e32 v10, 32
	s_delay_alu instid0(VALU_DEP_3) | instskip(NEXT) | instid1(VALU_DEP_3)
	v_pk_fma_f16 v23, v12, v16, v14
	v_pk_fma_f16 v24, v13, v16, v11
.LBB68_22:
	s_delay_alu instid0(VALU_DEP_3)
	v_cmp_lt_i32_e32 vcc_lo, v5, v10
	s_cmp_eq_u64 s[12:13], 0
	s_cselect_b32 s2, -1, 0
	s_cmp_lg_u32 s8, 0
	s_wait_alu 0xfffd
	v_cndmask_b32_e32 v5, v21, v5, vcc_lo
	v_cmp_lt_i32_e32 vcc_lo, v3, v10
	s_cselect_b32 s3, -1, 0
	s_wait_alu 0xfffe
	s_or_b32 s2, s3, s2
	s_wait_alu 0xfffd
	v_cndmask_b32_e32 v3, v21, v3, vcc_lo
	v_cmp_lt_i32_e32 vcc_lo, v4, v10
	s_wait_alu 0xfffd
	s_delay_alu instid0(VALU_DEP_2) | instskip(SKIP_1) | instid1(VALU_DEP_2)
	v_dual_cndmask_b32 v4, v21, v4 :: v_dual_lshlrev_b32 v3, 2, v3
	v_cmp_lt_i32_e32 vcc_lo, v6, v10
	v_lshlrev_b32_e32 v4, 2, v4
	v_lshlrev_b32_e32 v5, 2, v5
	ds_bpermute_b32 v5, v5, v31
	s_wait_dscnt 0x0
	v_add_f32_e32 v5, v31, v5
	ds_bpermute_b32 v3, v3, v5
	s_wait_dscnt 0x0
	v_add_f32_e32 v3, v5, v3
	s_wait_alu 0xfffd
	v_cndmask_b32_e32 v5, v21, v6, vcc_lo
	v_cmp_lt_i32_e32 vcc_lo, v7, v10
	ds_bpermute_b32 v4, v4, v3
	v_lshlrev_b32_e32 v5, 2, v5
	s_wait_dscnt 0x0
	v_add_f32_e32 v3, v3, v4
	ds_bpermute_b32 v4, v5, v3
	s_wait_alu 0xfffd
	v_cndmask_b32_e32 v5, v21, v7, vcc_lo
	s_wait_alu 0xfffe
	s_and_b32 vcc_lo, exec_lo, s2
	s_delay_alu instid0(VALU_DEP_1)
	v_lshlrev_b32_e32 v5, 2, v5
	s_wait_dscnt 0x0
	v_add_f32_e32 v3, v3, v4
	ds_bpermute_b32 v4, v5, v3
	s_wait_dscnt 0x0
	v_add_f32_e32 v3, v3, v4
	s_wait_alu 0xfffe
	s_cbranch_vccnz .LBB68_24
; %bb.23:
	v_dual_mov_b32 v4, 0 :: v_dual_max_num_f32 v5, v2, v2
	s_lshl_b64 s[2:3], s[30:31], 2
	s_wait_alu 0xfffe
	s_add_nc_u64 s[2:3], s[12:13], s[2:3]
	global_load_b32 v4, v4, s[2:3]
	s_wait_loadcnt 0x0
	v_max_num_f32_e32 v6, v4, v4
	s_delay_alu instid0(VALU_DEP_1) | instskip(NEXT) | instid1(VALU_DEP_1)
	v_max_num_f32_e32 v5, v5, v6
	v_sub_f32_e32 v2, v2, v5
	s_delay_alu instid0(VALU_DEP_1) | instskip(NEXT) | instid1(VALU_DEP_1)
	v_mul_f32_e32 v6, 0x3fb8aa3b, v2
	v_rndne_f32_e32 v8, v6
	v_fma_f32 v7, 0x3fb8aa3b, v2, -v6
	s_delay_alu instid0(VALU_DEP_2) | instskip(SKIP_2) | instid1(VALU_DEP_2)
	v_sub_f32_e32 v6, v6, v8
	v_sub_f32_e32 v4, v4, v5
	v_cvt_i32_f32_e32 v8, v8
	v_mul_f32_e32 v9, 0x3fb8aa3b, v4
	v_fmac_f32_e32 v7, 0x32a5705f, v2
	v_cmp_ngt_f32_e32 vcc_lo, 0xc2ce8ed0, v2
	s_delay_alu instid0(VALU_DEP_3) | instskip(SKIP_1) | instid1(VALU_DEP_4)
	v_fma_f32 v10, 0x3fb8aa3b, v4, -v9
	v_rndne_f32_e32 v11, v9
	v_add_f32_e32 v6, v6, v7
	s_delay_alu instid0(VALU_DEP_2) | instskip(NEXT) | instid1(VALU_DEP_2)
	v_dual_fmac_f32 v10, 0x32a5705f, v4 :: v_dual_sub_f32 v7, v9, v11
	v_exp_f32_e32 v6, v6
	s_delay_alu instid0(VALU_DEP_1) | instskip(NEXT) | instid1(VALU_DEP_1)
	v_add_f32_e32 v7, v7, v10
	v_exp_f32_e32 v7, v7
	s_delay_alu instid0(TRANS32_DEP_2) | instskip(SKIP_2) | instid1(VALU_DEP_2)
	v_ldexp_f32 v6, v6, v8
	v_cvt_i32_f32_e32 v8, v11
	s_wait_alu 0xfffd
	v_cndmask_b32_e32 v6, 0, v6, vcc_lo
	v_cmp_nlt_f32_e32 vcc_lo, 0x42b17218, v2
	s_delay_alu instid0(TRANS32_DEP_1) | instid1(VALU_DEP_3)
	v_ldexp_f32 v7, v7, v8
	s_wait_alu 0xfffd
	s_delay_alu instid0(VALU_DEP_3) | instskip(SKIP_3) | instid1(VALU_DEP_3)
	v_cndmask_b32_e32 v2, 0x7f800000, v6, vcc_lo
	v_cmp_ngt_f32_e32 vcc_lo, 0xc2ce8ed0, v4
	s_wait_alu 0xfffd
	v_cndmask_b32_e32 v6, 0, v7, vcc_lo
	v_cvt_f16_f32_e32 v7, v2
	v_cmp_nlt_f32_e32 vcc_lo, 0x42b17218, v4
	s_wait_alu 0xfffd
	s_delay_alu instid0(VALU_DEP_3) | instskip(NEXT) | instid1(VALU_DEP_3)
	v_cndmask_b32_e32 v4, 0x7f800000, v6, vcc_lo
	v_and_b32_e32 v6, 0xffff, v7
	s_delay_alu instid0(VALU_DEP_2) | instskip(NEXT) | instid1(VALU_DEP_2)
	v_fmac_f32_e32 v4, v3, v2
	v_mul_u32_u24_e32 v2, 0x10001, v6
	s_delay_alu instid0(VALU_DEP_2) | instskip(NEXT) | instid1(VALU_DEP_2)
	v_mov_b32_e32 v3, v4
	v_pk_mul_f16 v23, v23, v2
	v_pk_mul_f16 v24, v24, v2
	v_mov_b32_e32 v2, v5
.LBB68_24:
	s_mov_b32 s2, exec_lo
	v_cmpx_gt_i32_e64 s22, v1
	s_cbranch_execz .LBB68_27
; %bb.25:
	v_div_scale_f32 v6, null, v3, v3, 1.0
	v_div_scale_f32 v8, vcc_lo, 1.0, v3, 1.0
	s_load_b32 s1, s[0:1], 0xd4
	v_rcp_f32_e32 v7, v6
	v_cmp_eq_u32_e64 s0, 0, v0
	s_delay_alu instid0(TRANS32_DEP_1) | instskip(NEXT) | instid1(VALU_DEP_1)
	v_fma_f32 v4, -v6, v7, 1.0
	v_fmac_f32_e32 v7, v4, v7
	v_mad_co_u64_u32 v[4:5], null, s28, s22, v[1:2]
	s_wait_kmcnt 0x0
	s_cmp_lg_u32 s1, 1
	s_delay_alu instid0(VALU_DEP_2) | instskip(NEXT) | instid1(VALU_DEP_2)
	v_mul_f32_e32 v9, v8, v7
	v_mad_co_u64_u32 v[4:5], null, v4, s23, s[30:31]
	s_delay_alu instid0(VALU_DEP_2) | instskip(NEXT) | instid1(VALU_DEP_1)
	v_fma_f32 v1, -v6, v9, v8
	v_fmac_f32_e32 v9, v1, v7
	s_delay_alu instid0(VALU_DEP_3)
	v_mad_co_u64_u32 v[4:5], null, s1, v4, s[8:9]
	s_cselect_b32 s1, -1, 0
	v_cvt_f32_f16_e32 v5, v23
	v_fma_f32 v0, -v6, v9, v8
	v_cvt_f32_f16_e32 v8, v24
	v_lshrrev_b32_e32 v6, 16, v23
	s_wait_alu 0xfffe
	s_and_b32 s0, s0, s1
	v_div_fmas_f32 v7, v0, v7, v9
	v_lshrrev_b32_e32 v9, 16, v24
	v_lshl_add_u32 v0, v4, 7, v20
	v_cvt_f32_f16_e32 v6, v6
	s_delay_alu instid0(VALU_DEP_4) | instskip(NEXT) | instid1(VALU_DEP_4)
	v_div_fixup_f32 v7, v7, v3, 1.0
	v_cvt_f32_f16_e32 v9, v9
	s_delay_alu instid0(VALU_DEP_2) | instskip(SKIP_1) | instid1(VALU_DEP_2)
	v_cndmask_b32_e64 v10, v7, 1.0, s1
	v_mov_b32_e32 v1, 0
	v_mul_f32_e32 v7, v10, v8
	s_delay_alu instid0(VALU_DEP_4) | instskip(NEXT) | instid1(VALU_DEP_3)
	v_mul_f32_e32 v8, v10, v9
	v_lshlrev_b64_e32 v[0:1], 2, v[0:1]
	v_mul_f32_e32 v5, v10, v5
	v_mul_f32_e32 v6, v10, v6
	s_delay_alu instid0(VALU_DEP_3) | instskip(SKIP_1) | instid1(VALU_DEP_4)
	v_add_co_u32 v0, vcc_lo, s16, v0
	s_wait_alu 0xfffd
	v_add_co_ci_u32_e64 v1, null, s17, v1, vcc_lo
	global_store_b128 v[0:1], v[5:8], off
	s_wait_alu 0xfffe
	s_and_b32 exec_lo, exec_lo, s0
	s_cbranch_execz .LBB68_27
; %bb.26:
	v_ashrrev_i32_e32 v5, 31, v4
	s_delay_alu instid0(VALU_DEP_1) | instskip(NEXT) | instid1(VALU_DEP_1)
	v_lshlrev_b64_e32 v[0:1], 3, v[4:5]
	v_add_co_u32 v0, vcc_lo, s18, v0
	s_wait_alu 0xfffd
	s_delay_alu instid0(VALU_DEP_2)
	v_add_co_ci_u32_e64 v1, null, s19, v1, vcc_lo
	global_store_b64 v[0:1], v[2:3], off
.LBB68_27:
	s_nop 0
	s_sendmsg sendmsg(MSG_DEALLOC_VGPRS)
	s_endpgm
	.section	.rodata,"a",@progbits
	.p2align	6, 0x0
	.amdhsa_kernel _ZL15flash_attn_tileILi128ELi128ELi2ELi1ELb0EEvPKcS1_S1_S1_S1_PKiPfP15HIP_vector_typeIfLj2EEffffjfiS5_IjLj3EEiiiiiiiiiiiliiliiiiil
		.amdhsa_group_segment_fixed_size 5248
		.amdhsa_private_segment_fixed_size 32
		.amdhsa_kernarg_size 464
		.amdhsa_user_sgpr_count 2
		.amdhsa_user_sgpr_dispatch_ptr 0
		.amdhsa_user_sgpr_queue_ptr 0
		.amdhsa_user_sgpr_kernarg_segment_ptr 1
		.amdhsa_user_sgpr_dispatch_id 0
		.amdhsa_user_sgpr_private_segment_size 0
		.amdhsa_wavefront_size32 1
		.amdhsa_uses_dynamic_stack 0
		.amdhsa_enable_private_segment 1
		.amdhsa_system_sgpr_workgroup_id_x 1
		.amdhsa_system_sgpr_workgroup_id_y 1
		.amdhsa_system_sgpr_workgroup_id_z 1
		.amdhsa_system_sgpr_workgroup_info 0
		.amdhsa_system_vgpr_workitem_id 1
		.amdhsa_next_free_vgpr 110
		.amdhsa_next_free_sgpr 47
		.amdhsa_reserve_vcc 1
		.amdhsa_float_round_mode_32 0
		.amdhsa_float_round_mode_16_64 0
		.amdhsa_float_denorm_mode_32 3
		.amdhsa_float_denorm_mode_16_64 3
		.amdhsa_fp16_overflow 0
		.amdhsa_workgroup_processor_mode 1
		.amdhsa_memory_ordered 1
		.amdhsa_forward_progress 1
		.amdhsa_inst_pref_size 93
		.amdhsa_round_robin_scheduling 0
		.amdhsa_exception_fp_ieee_invalid_op 0
		.amdhsa_exception_fp_denorm_src 0
		.amdhsa_exception_fp_ieee_div_zero 0
		.amdhsa_exception_fp_ieee_overflow 0
		.amdhsa_exception_fp_ieee_underflow 0
		.amdhsa_exception_fp_ieee_inexact 0
		.amdhsa_exception_int_div_zero 0
	.end_amdhsa_kernel
	.section	.text._ZL15flash_attn_tileILi128ELi128ELi2ELi1ELb0EEvPKcS1_S1_S1_S1_PKiPfP15HIP_vector_typeIfLj2EEffffjfiS5_IjLj3EEiiiiiiiiiiiliiliiiiil,"axG",@progbits,_ZL15flash_attn_tileILi128ELi128ELi2ELi1ELb0EEvPKcS1_S1_S1_S1_PKiPfP15HIP_vector_typeIfLj2EEffffjfiS5_IjLj3EEiiiiiiiiiiiliiliiiiil,comdat
.Lfunc_end68:
	.size	_ZL15flash_attn_tileILi128ELi128ELi2ELi1ELb0EEvPKcS1_S1_S1_S1_PKiPfP15HIP_vector_typeIfLj2EEffffjfiS5_IjLj3EEiiiiiiiiiiiliiliiiiil, .Lfunc_end68-_ZL15flash_attn_tileILi128ELi128ELi2ELi1ELb0EEvPKcS1_S1_S1_S1_PKiPfP15HIP_vector_typeIfLj2EEffffjfiS5_IjLj3EEiiiiiiiiiiiliiliiiiil
                                        ; -- End function
	.set _ZL15flash_attn_tileILi128ELi128ELi2ELi1ELb0EEvPKcS1_S1_S1_S1_PKiPfP15HIP_vector_typeIfLj2EEffffjfiS5_IjLj3EEiiiiiiiiiiiliiliiiiil.num_vgpr, 110
	.set _ZL15flash_attn_tileILi128ELi128ELi2ELi1ELb0EEvPKcS1_S1_S1_S1_PKiPfP15HIP_vector_typeIfLj2EEffffjfiS5_IjLj3EEiiiiiiiiiiiliiliiiiil.num_agpr, 0
	.set _ZL15flash_attn_tileILi128ELi128ELi2ELi1ELb0EEvPKcS1_S1_S1_S1_PKiPfP15HIP_vector_typeIfLj2EEffffjfiS5_IjLj3EEiiiiiiiiiiiliiliiiiil.numbered_sgpr, 47
	.set _ZL15flash_attn_tileILi128ELi128ELi2ELi1ELb0EEvPKcS1_S1_S1_S1_PKiPfP15HIP_vector_typeIfLj2EEffffjfiS5_IjLj3EEiiiiiiiiiiiliiliiiiil.num_named_barrier, 0
	.set _ZL15flash_attn_tileILi128ELi128ELi2ELi1ELb0EEvPKcS1_S1_S1_S1_PKiPfP15HIP_vector_typeIfLj2EEffffjfiS5_IjLj3EEiiiiiiiiiiiliiliiiiil.private_seg_size, 32
	.set _ZL15flash_attn_tileILi128ELi128ELi2ELi1ELb0EEvPKcS1_S1_S1_S1_PKiPfP15HIP_vector_typeIfLj2EEffffjfiS5_IjLj3EEiiiiiiiiiiiliiliiiiil.uses_vcc, 1
	.set _ZL15flash_attn_tileILi128ELi128ELi2ELi1ELb0EEvPKcS1_S1_S1_S1_PKiPfP15HIP_vector_typeIfLj2EEffffjfiS5_IjLj3EEiiiiiiiiiiiliiliiiiil.uses_flat_scratch, 1
	.set _ZL15flash_attn_tileILi128ELi128ELi2ELi1ELb0EEvPKcS1_S1_S1_S1_PKiPfP15HIP_vector_typeIfLj2EEffffjfiS5_IjLj3EEiiiiiiiiiiiliiliiiiil.has_dyn_sized_stack, 0
	.set _ZL15flash_attn_tileILi128ELi128ELi2ELi1ELb0EEvPKcS1_S1_S1_S1_PKiPfP15HIP_vector_typeIfLj2EEffffjfiS5_IjLj3EEiiiiiiiiiiiliiliiiiil.has_recursion, 0
	.set _ZL15flash_attn_tileILi128ELi128ELi2ELi1ELb0EEvPKcS1_S1_S1_S1_PKiPfP15HIP_vector_typeIfLj2EEffffjfiS5_IjLj3EEiiiiiiiiiiiliiliiiiil.has_indirect_call, 0
	.section	.AMDGPU.csdata,"",@progbits
; Kernel info:
; codeLenInByte = 11896
; TotalNumSgprs: 49
; NumVgprs: 110
; ScratchSize: 32
; MemoryBound: 0
; FloatMode: 240
; IeeeMode: 1
; LDSByteSize: 5248 bytes/workgroup (compile time only)
; SGPRBlocks: 0
; VGPRBlocks: 13
; NumSGPRsForWavesPerEU: 49
; NumVGPRsForWavesPerEU: 110
; Occupancy: 12
; WaveLimiterHint : 1
; COMPUTE_PGM_RSRC2:SCRATCH_EN: 1
; COMPUTE_PGM_RSRC2:USER_SGPR: 2
; COMPUTE_PGM_RSRC2:TRAP_HANDLER: 0
; COMPUTE_PGM_RSRC2:TGID_X_EN: 1
; COMPUTE_PGM_RSRC2:TGID_Y_EN: 1
; COMPUTE_PGM_RSRC2:TGID_Z_EN: 1
; COMPUTE_PGM_RSRC2:TIDIG_COMP_CNT: 1
	.section	.text._ZL33flash_attn_stream_k_fixup_uniformILi128ELi2ELi1EEvPfPK15HIP_vector_typeIfLj2EEiiiiiiS1_IjLj3EES5_S5_,"axG",@progbits,_ZL33flash_attn_stream_k_fixup_uniformILi128ELi2ELi1EEvPfPK15HIP_vector_typeIfLj2EEiiiiiiS1_IjLj3EES5_S5_,comdat
	.globl	_ZL33flash_attn_stream_k_fixup_uniformILi128ELi2ELi1EEvPfPK15HIP_vector_typeIfLj2EEiiiiiiS1_IjLj3EES5_S5_ ; -- Begin function _ZL33flash_attn_stream_k_fixup_uniformILi128ELi2ELi1EEvPfPK15HIP_vector_typeIfLj2EEiiiiiiS1_IjLj3EES5_S5_
	.p2align	8
	.type	_ZL33flash_attn_stream_k_fixup_uniformILi128ELi2ELi1EEvPfPK15HIP_vector_typeIfLj2EEiiiiiiS1_IjLj3EES5_S5_,@function
_ZL33flash_attn_stream_k_fixup_uniformILi128ELi2ELi1EEvPfPK15HIP_vector_typeIfLj2EEiiiiiiS1_IjLj3EES5_S5_: ; @_ZL33flash_attn_stream_k_fixup_uniformILi128ELi2ELi1EEvPfPK15HIP_vector_typeIfLj2EEiiiiiiS1_IjLj3EES5_S5_
; %bb.0:
	s_clause 0x1
	s_load_b256 s[4:11], s[0:1], 0x1c
	s_load_b128 s[12:15], s[0:1], 0x3c
	s_wait_kmcnt 0x0
	s_mul_hi_u32 s2, s7, ttmp9
	s_delay_alu instid0(SALU_CYCLE_1) | instskip(NEXT) | instid1(SALU_CYCLE_1)
	s_add_co_i32 s2, ttmp9, s2
	s_lshr_b32 s2, s2, s8
	s_delay_alu instid0(SALU_CYCLE_1) | instskip(SKIP_2) | instid1(SALU_CYCLE_1)
	s_mul_i32 s3, s2, s9
	s_load_b64 s[8:9], s[0:1], 0x10
	s_sub_co_i32 s7, ttmp9, s3
	s_mul_hi_u32 s3, s7, s10
	s_delay_alu instid0(SALU_CYCLE_1) | instskip(NEXT) | instid1(SALU_CYCLE_1)
	s_add_co_i32 s3, s7, s3
	s_lshr_b32 s3, s3, s11
	s_delay_alu instid0(SALU_CYCLE_1) | instskip(NEXT) | instid1(SALU_CYCLE_1)
	s_mul_i32 s10, s3, s12
	s_sub_co_i32 s7, s7, s10
	s_delay_alu instid0(SALU_CYCLE_1) | instskip(NEXT) | instid1(SALU_CYCLE_1)
	s_mul_hi_u32 s10, s7, s13
	s_add_co_i32 s10, s7, s10
	s_delay_alu instid0(SALU_CYCLE_1) | instskip(NEXT) | instid1(SALU_CYCLE_1)
	s_lshr_b32 s11, s10, s14
	s_mul_i32 s10, s11, s15
	s_delay_alu instid0(SALU_CYCLE_1) | instskip(SKIP_2) | instid1(SALU_CYCLE_1)
	s_sub_co_i32 s12, s7, s10
	s_and_b32 s7, ttmp7, 0xffff
	s_lshl_b32 s10, s12, 1
	s_add_co_i32 s13, s10, s7
	s_lshr_b32 s10, ttmp7, 16
	s_wait_kmcnt 0x0
	s_cmp_lt_i32 s13, s8
	s_cselect_b32 s13, -1, 0
	s_add_co_i32 s14, s11, s10
	s_delay_alu instid0(SALU_CYCLE_1) | instskip(SKIP_1) | instid1(SALU_CYCLE_1)
	s_cmp_lt_i32 s14, s5
	s_cselect_b32 s14, -1, 0
	s_and_b32 s13, s13, s14
	s_delay_alu instid0(SALU_CYCLE_1)
	s_and_not1_b32 vcc_lo, exec_lo, s13
	s_cbranch_vccnz .LBB69_6
; %bb.1:
	s_mul_i32 s2, s2, s8
	s_mul_i32 s5, s3, s5
	s_add_co_i32 s2, s2, s7
	s_delay_alu instid0(SALU_CYCLE_1) | instskip(NEXT) | instid1(SALU_CYCLE_1)
	s_mul_i32 s2, s2, s9
	s_add_co_i32 s8, s2, s10
	s_load_b128 s[0:3], s[0:1], 0x0
	s_add_co_i32 s5, s8, s5
	s_mul_i32 s8, s9, s12
	s_add_co_i32 s5, s5, s11
	s_lshl_b32 s8, s8, 8
	s_lshl_b32 s5, s5, 7
	s_add_co_i32 s9, s7, s10
	s_add_co_i32 s8, s8, s5
	s_delay_alu instid0(SALU_CYCLE_1) | instskip(SKIP_3) | instid1(SALU_CYCLE_1)
	v_or_b32_e32 v1, s8, v0
	s_mul_i32 s8, s6, ttmp9
	s_wait_alu 0xfffe
	s_add_co_i32 s5, s8, s6
	s_add_co_i32 s7, s5, -2
	v_ashrrev_i32_e32 v2, 31, v1
	s_delay_alu instid0(VALU_DEP_1) | instskip(SKIP_1) | instid1(VALU_DEP_1)
	v_lshlrev_b64_e32 v[1:2], 2, v[1:2]
	s_wait_kmcnt 0x0
	v_add_co_u32 v1, vcc_lo, s0, v1
	s_delay_alu instid0(VALU_DEP_1)
	v_add_co_ci_u32_e64 v2, null, s1, v2, vcc_lo
	s_lshl_b32 s0, s5, 1
	s_wait_alu 0xfffe
	s_add_co_i32 s0, s9, s0
	global_load_b32 v5, v[1:2], off
	s_wait_alu 0xfffe
	s_add_co_i32 s0, s0, -2
	s_wait_alu 0xfffe
	s_ashr_i32 s1, s0, 31
	s_wait_alu 0xfffe
	s_lshl_b64 s[0:1], s[0:1], 3
	s_cmp_lt_i32 s7, s8
	s_wait_alu 0xfffe
	s_add_nc_u64 s[0:1], s[2:3], s[0:1]
	s_load_b32 s10, s[0:1], 0x4
	s_cbranch_scc1 .LBB69_4
; %bb.2:
	s_load_b32 s0, s[0:1], 0x0
	s_add_co_i32 s7, ttmp9, 1
	s_wait_kmcnt 0x0
	v_mov_b32_e32 v6, s10
	s_mul_i32 s1, s6, s7
	s_lshl_b32 s7, s9, 7
	s_wait_alu 0xfffe
	s_lshl_b32 s11, s1, 8
	s_lshl_b32 s6, s4, 3
	s_wait_alu 0xfffe
	s_add_co_i32 s11, s7, s11
	s_lshl_b32 s1, s1, 1
	s_wait_alu 0xfffe
	v_or_b32_e32 v0, s11, v0
	s_ashr_i32 s7, s6, 31
	s_add_co_i32 s1, s9, s1
	s_lshl_b32 s4, s4, 1
	s_lshl_b64 s[6:7], s[6:7], 2
	v_add_nc_u32_e32 v3, 0xfffffe00, v0
	s_wait_alu 0xfffe
	s_add_co_i32 s4, s1, s4
	s_add_nc_u64 s[6:7], s[2:3], s[6:7]
	s_add_co_i32 s1, s5, -1
	s_add_co_i32 s4, s4, -4
.LBB69_3:                               ; =>This Inner Loop Header: Depth=1
	v_ashrrev_i32_e32 v4, 31, v3
	s_ashr_i32 s5, s4, 31
	v_mov_b32_e32 v10, v6
	s_lshl_b64 s[10:11], s[4:5], 3
	s_wait_loadcnt 0x0
	v_mov_b32_e32 v9, v5
	v_lshlrev_b64_e32 v[7:8], 2, v[3:4]
	s_wait_alu 0xfffe
	s_add_nc_u64 s[10:11], s[2:3], s[10:11]
	v_max_num_f32_e64 v4, s0, s0
	s_load_b64 s[10:11], s[10:11], 0x0
	v_add_nc_u32_e32 v3, 0xffffff00, v3
	v_add_co_u32 v7, vcc_lo, s6, v7
	s_wait_alu 0xfffd
	v_add_co_ci_u32_e64 v8, null, s7, v8, vcc_lo
	v_readfirstlane_b32 s5, v4
	global_load_b32 v0, v[7:8], off
	s_wait_kmcnt 0x0
	v_max_num_f32_e64 v4, s10, s10
	s_delay_alu instid0(VALU_DEP_1) | instskip(SKIP_1) | instid1(SALU_CYCLE_3)
	v_readfirstlane_b32 s9, v4
	s_max_num_f32 s5, s5, s9
	s_sub_f32 s0, s0, s5
	s_sub_f32 s9, s10, s5
	s_wait_alu 0xfffe
	s_delay_alu instid0(SALU_CYCLE_1) | instskip(NEXT) | instid1(SALU_CYCLE_1)
	s_mul_f32 s10, s0, 0x3fb8aa3b
	s_mul_f32 s12, s9, 0x3fb8aa3b
	s_wait_alu 0xfffe
	s_delay_alu instid0(SALU_CYCLE_1)
	s_xor_b32 s13, s10, 0x80000000
	s_rndne_f32 s14, s10
	s_fmamk_f32 s13, s0, 0x3fb8aa3b, s13
	s_cmp_nlt_f32 s0, 0xc2ce8ed0
	s_rndne_f32 s15, s12
	s_wait_alu 0xfffe
	s_sub_f32 s10, s10, s14
	s_fmamk_f32 s13, s0, 0x32a5705f, s13
	s_cvt_i32_f32 s14, s14
	s_cselect_b32 vcc_lo, -1, 0
	s_cmp_ngt_f32 s0, 0x42b17218
	s_wait_alu 0xfffe
	s_add_f32 s10, s10, s13
	s_sub_f32 s13, s12, s15
	s_wait_alu 0xfffe
	s_delay_alu instid0(SALU_CYCLE_1) | instskip(SKIP_1) | instid1(TRANS32_DEP_1)
	v_s_exp_f32 s10, s10
	s_wait_alu 0xf1ff
	v_ldexp_f32 v4, s10, s14
	s_cvt_i32_f32 s10, s15
	s_delay_alu instid0(VALU_DEP_1) | instskip(SKIP_3) | instid1(VALU_DEP_1)
	v_cndmask_b32_e32 v4, 0, v4, vcc_lo
	s_cselect_b32 vcc_lo, -1, 0
	s_cmp_ge_f32 s0, 0xc1a00000
	s_wait_alu 0xfffe
	v_cndmask_b32_e32 v4, 0x7f800000, v4, vcc_lo
	s_cselect_b32 vcc_lo, -1, 0
	s_xor_b32 s0, s12, 0x80000000
	s_cmp_nlt_f32 s9, 0xc2ce8ed0
	s_wait_alu 0xfffe
	s_fmamk_f32 s0, s9, 0x3fb8aa3b, s0
	s_wait_alu 0xfffe
	s_delay_alu instid0(SALU_CYCLE_2) | instskip(SKIP_1) | instid1(SALU_CYCLE_2)
	s_fmamk_f32 s0, s9, 0x32a5705f, s0
	s_wait_alu 0xfffe
	s_add_f32 s0, s13, s0
	s_wait_alu 0xfffe
	s_delay_alu instid0(SALU_CYCLE_2) | instskip(SKIP_1) | instid1(TRANS32_DEP_1)
	v_s_exp_f32 s0, s0
	s_wait_alu 0xf1ff
	v_ldexp_f32 v7, s0, s10
	s_cselect_b32 s0, -1, 0
	s_cmp_ngt_f32 s9, 0x42b17218
	s_wait_alu 0xfffe
	s_delay_alu instid0(VALU_DEP_1) | instskip(SKIP_3) | instid1(VALU_DEP_1)
	v_cndmask_b32_e64 v7, 0, v7, s0
	s_cselect_b32 s0, -1, 0
	s_cmp_ge_f32 s9, 0xc1a00000
	s_wait_alu 0xfffe
	v_cndmask_b32_e64 v7, 0x7f800000, v7, s0
	s_cselect_b32 s0, -1, 0
	s_add_co_i32 s1, s1, -1
	s_add_co_i32 s4, s4, -2
	s_wait_alu 0xfffe
	s_cmp_le_i32 s1, s8
	v_cndmask_b32_e64 v7, 0, v7, s0
	s_mov_b32 s0, s5
	s_wait_loadcnt 0x0
	s_delay_alu instid0(VALU_DEP_1) | instskip(NEXT) | instid1(VALU_DEP_1)
	v_dual_mul_f32 v5, v0, v7 :: v_dual_cndmask_b32 v4, 0, v4
	v_dual_mul_f32 v8, s11, v7 :: v_dual_fmac_f32 v5, v9, v4
	s_delay_alu instid0(VALU_DEP_1) | instskip(NEXT) | instid1(VALU_DEP_1)
	v_mov_b32_e32 v6, v8
	v_fmac_f32_e32 v6, v10, v4
	s_cbranch_scc0 .LBB69_3
	s_branch .LBB69_5
.LBB69_4:
	s_wait_kmcnt 0x0
	v_mov_b32_e32 v6, s10
.LBB69_5:
	s_wait_loadcnt 0x0
	s_delay_alu instid0(VALU_DEP_1) | instskip(NEXT) | instid1(VALU_DEP_1)
	v_div_scale_f32 v0, null, v6, v6, v5
	v_rcp_f32_e32 v3, v0
	s_delay_alu instid0(TRANS32_DEP_1) | instskip(NEXT) | instid1(VALU_DEP_1)
	v_fma_f32 v4, -v0, v3, 1.0
	v_fmac_f32_e32 v3, v4, v3
	v_div_scale_f32 v4, vcc_lo, v5, v6, v5
	s_delay_alu instid0(VALU_DEP_1) | instskip(NEXT) | instid1(VALU_DEP_1)
	v_mul_f32_e32 v7, v4, v3
	v_fma_f32 v8, -v0, v7, v4
	s_delay_alu instid0(VALU_DEP_1) | instskip(NEXT) | instid1(VALU_DEP_1)
	v_fmac_f32_e32 v7, v8, v3
	v_fma_f32 v0, -v0, v7, v4
	s_wait_alu 0xfffd
	s_delay_alu instid0(VALU_DEP_1) | instskip(NEXT) | instid1(VALU_DEP_1)
	v_div_fmas_f32 v0, v0, v3, v7
	v_div_fixup_f32 v0, v0, v6, v5
	global_store_b32 v[1:2], v0, off
.LBB69_6:
	s_endpgm
	.section	.rodata,"a",@progbits
	.p2align	6, 0x0
	.amdhsa_kernel _ZL33flash_attn_stream_k_fixup_uniformILi128ELi2ELi1EEvPfPK15HIP_vector_typeIfLj2EEiiiiiiS1_IjLj3EES5_S5_
		.amdhsa_group_segment_fixed_size 0
		.amdhsa_private_segment_fixed_size 0
		.amdhsa_kernarg_size 76
		.amdhsa_user_sgpr_count 2
		.amdhsa_user_sgpr_dispatch_ptr 0
		.amdhsa_user_sgpr_queue_ptr 0
		.amdhsa_user_sgpr_kernarg_segment_ptr 1
		.amdhsa_user_sgpr_dispatch_id 0
		.amdhsa_user_sgpr_private_segment_size 0
		.amdhsa_wavefront_size32 1
		.amdhsa_uses_dynamic_stack 0
		.amdhsa_enable_private_segment 0
		.amdhsa_system_sgpr_workgroup_id_x 1
		.amdhsa_system_sgpr_workgroup_id_y 1
		.amdhsa_system_sgpr_workgroup_id_z 1
		.amdhsa_system_sgpr_workgroup_info 0
		.amdhsa_system_vgpr_workitem_id 0
		.amdhsa_next_free_vgpr 11
		.amdhsa_next_free_sgpr 16
		.amdhsa_reserve_vcc 1
		.amdhsa_float_round_mode_32 0
		.amdhsa_float_round_mode_16_64 0
		.amdhsa_float_denorm_mode_32 3
		.amdhsa_float_denorm_mode_16_64 3
		.amdhsa_fp16_overflow 0
		.amdhsa_workgroup_processor_mode 1
		.amdhsa_memory_ordered 1
		.amdhsa_forward_progress 1
		.amdhsa_inst_pref_size 9
		.amdhsa_round_robin_scheduling 0
		.amdhsa_exception_fp_ieee_invalid_op 0
		.amdhsa_exception_fp_denorm_src 0
		.amdhsa_exception_fp_ieee_div_zero 0
		.amdhsa_exception_fp_ieee_overflow 0
		.amdhsa_exception_fp_ieee_underflow 0
		.amdhsa_exception_fp_ieee_inexact 0
		.amdhsa_exception_int_div_zero 0
	.end_amdhsa_kernel
	.section	.text._ZL33flash_attn_stream_k_fixup_uniformILi128ELi2ELi1EEvPfPK15HIP_vector_typeIfLj2EEiiiiiiS1_IjLj3EES5_S5_,"axG",@progbits,_ZL33flash_attn_stream_k_fixup_uniformILi128ELi2ELi1EEvPfPK15HIP_vector_typeIfLj2EEiiiiiiS1_IjLj3EES5_S5_,comdat
.Lfunc_end69:
	.size	_ZL33flash_attn_stream_k_fixup_uniformILi128ELi2ELi1EEvPfPK15HIP_vector_typeIfLj2EEiiiiiiS1_IjLj3EES5_S5_, .Lfunc_end69-_ZL33flash_attn_stream_k_fixup_uniformILi128ELi2ELi1EEvPfPK15HIP_vector_typeIfLj2EEiiiiiiS1_IjLj3EES5_S5_
                                        ; -- End function
	.set _ZL33flash_attn_stream_k_fixup_uniformILi128ELi2ELi1EEvPfPK15HIP_vector_typeIfLj2EEiiiiiiS1_IjLj3EES5_S5_.num_vgpr, 11
	.set _ZL33flash_attn_stream_k_fixup_uniformILi128ELi2ELi1EEvPfPK15HIP_vector_typeIfLj2EEiiiiiiS1_IjLj3EES5_S5_.num_agpr, 0
	.set _ZL33flash_attn_stream_k_fixup_uniformILi128ELi2ELi1EEvPfPK15HIP_vector_typeIfLj2EEiiiiiiS1_IjLj3EES5_S5_.numbered_sgpr, 16
	.set _ZL33flash_attn_stream_k_fixup_uniformILi128ELi2ELi1EEvPfPK15HIP_vector_typeIfLj2EEiiiiiiS1_IjLj3EES5_S5_.num_named_barrier, 0
	.set _ZL33flash_attn_stream_k_fixup_uniformILi128ELi2ELi1EEvPfPK15HIP_vector_typeIfLj2EEiiiiiiS1_IjLj3EES5_S5_.private_seg_size, 0
	.set _ZL33flash_attn_stream_k_fixup_uniformILi128ELi2ELi1EEvPfPK15HIP_vector_typeIfLj2EEiiiiiiS1_IjLj3EES5_S5_.uses_vcc, 1
	.set _ZL33flash_attn_stream_k_fixup_uniformILi128ELi2ELi1EEvPfPK15HIP_vector_typeIfLj2EEiiiiiiS1_IjLj3EES5_S5_.uses_flat_scratch, 0
	.set _ZL33flash_attn_stream_k_fixup_uniformILi128ELi2ELi1EEvPfPK15HIP_vector_typeIfLj2EEiiiiiiS1_IjLj3EES5_S5_.has_dyn_sized_stack, 0
	.set _ZL33flash_attn_stream_k_fixup_uniformILi128ELi2ELi1EEvPfPK15HIP_vector_typeIfLj2EEiiiiiiS1_IjLj3EES5_S5_.has_recursion, 0
	.set _ZL33flash_attn_stream_k_fixup_uniformILi128ELi2ELi1EEvPfPK15HIP_vector_typeIfLj2EEiiiiiiS1_IjLj3EES5_S5_.has_indirect_call, 0
	.section	.AMDGPU.csdata,"",@progbits
; Kernel info:
; codeLenInByte = 1120
; TotalNumSgprs: 18
; NumVgprs: 11
; ScratchSize: 0
; MemoryBound: 0
; FloatMode: 240
; IeeeMode: 1
; LDSByteSize: 0 bytes/workgroup (compile time only)
; SGPRBlocks: 0
; VGPRBlocks: 1
; NumSGPRsForWavesPerEU: 18
; NumVGPRsForWavesPerEU: 11
; Occupancy: 16
; WaveLimiterHint : 0
; COMPUTE_PGM_RSRC2:SCRATCH_EN: 0
; COMPUTE_PGM_RSRC2:USER_SGPR: 2
; COMPUTE_PGM_RSRC2:TRAP_HANDLER: 0
; COMPUTE_PGM_RSRC2:TGID_X_EN: 1
; COMPUTE_PGM_RSRC2:TGID_Y_EN: 1
; COMPUTE_PGM_RSRC2:TGID_Z_EN: 1
; COMPUTE_PGM_RSRC2:TIDIG_COMP_CNT: 0
	.section	.text._ZL33flash_attn_stream_k_fixup_generalILi128ELi2ELi1EEvPfPK15HIP_vector_typeIfLj2EEiiiiS1_IjLj3EES5_S5_S5_,"axG",@progbits,_ZL33flash_attn_stream_k_fixup_generalILi128ELi2ELi1EEvPfPK15HIP_vector_typeIfLj2EEiiiiS1_IjLj3EES5_S5_S5_,comdat
	.globl	_ZL33flash_attn_stream_k_fixup_generalILi128ELi2ELi1EEvPfPK15HIP_vector_typeIfLj2EEiiiiS1_IjLj3EES5_S5_S5_ ; -- Begin function _ZL33flash_attn_stream_k_fixup_generalILi128ELi2ELi1EEvPfPK15HIP_vector_typeIfLj2EEiiiiS1_IjLj3EES5_S5_S5_
	.p2align	8
	.type	_ZL33flash_attn_stream_k_fixup_generalILi128ELi2ELi1EEvPfPK15HIP_vector_typeIfLj2EEiiiiS1_IjLj3EES5_S5_S5_,@function
_ZL33flash_attn_stream_k_fixup_generalILi128ELi2ELi1EEvPfPK15HIP_vector_typeIfLj2EEiiiiS1_IjLj3EES5_S5_S5_: ; @_ZL33flash_attn_stream_k_fixup_generalILi128ELi2ELi1EEvPfPK15HIP_vector_typeIfLj2EEiiiiS1_IjLj3EES5_S5_S5_
; %bb.0:
	s_clause 0x1
	s_load_b128 s[4:7], s[0:1], 0x10
	s_load_b32 s16, s[0:1], 0x50
	s_mov_b32 s2, ttmp9
	s_ashr_i32 s3, ttmp9, 31
	s_mov_b32 s17, 0
	s_delay_alu instid0(SALU_CYCLE_1) | instskip(SKIP_3) | instid1(SALU_CYCLE_1)
	s_mov_b32 s8, s17
	s_wait_kmcnt 0x0
	s_ashr_i32 s19, s7, 31
	s_mov_b32 s18, s7
	s_mul_u64 s[2:3], s[18:19], s[2:3]
	s_delay_alu instid0(SALU_CYCLE_1) | instskip(NEXT) | instid1(SALU_CYCLE_1)
	s_mov_b32 s9, s3
	s_cmp_lg_u64 s[8:9], 0
	s_cbranch_scc0 .LBB70_21
; %bb.1:
	s_add_nc_u64 s[8:9], s[16:17], 0
	s_mov_b32 s15, s17
	s_xor_b64 s[8:9], s[8:9], 0
	s_mov_b32 s23, s17
	s_cvt_f32_u32 s7, s8
	s_cvt_f32_u32 s10, s9
	s_sub_nc_u64 s[12:13], 0, s[8:9]
	s_delay_alu instid0(SALU_CYCLE_2) | instskip(NEXT) | instid1(SALU_CYCLE_3)
	s_fmamk_f32 s7, s10, 0x4f800000, s7
	v_s_rcp_f32 s7, s7
	s_delay_alu instid0(TRANS32_DEP_1) | instskip(SKIP_1) | instid1(SALU_CYCLE_2)
	s_mul_f32 s7, s7, 0x5f7ffffc
	s_wait_alu 0xfffe
	s_mul_f32 s10, s7, 0x2f800000
	s_delay_alu instid0(SALU_CYCLE_3) | instskip(NEXT) | instid1(SALU_CYCLE_3)
	s_trunc_f32 s10, s10
	s_fmamk_f32 s7, s10, 0xcf800000, s7
	s_cvt_u32_f32 s11, s10
	s_wait_alu 0xfffe
	s_delay_alu instid0(SALU_CYCLE_1) | instskip(NEXT) | instid1(SALU_CYCLE_3)
	s_cvt_u32_f32 s10, s7
	s_mul_u64 s[20:21], s[12:13], s[10:11]
	s_delay_alu instid0(SALU_CYCLE_1)
	s_mul_hi_u32 s25, s10, s21
	s_mul_i32 s24, s10, s21
	s_mul_hi_u32 s14, s10, s20
	s_mul_i32 s22, s11, s20
	s_add_nc_u64 s[14:15], s[14:15], s[24:25]
	s_mul_hi_u32 s7, s11, s20
	s_mul_hi_u32 s26, s11, s21
	s_add_co_u32 s14, s14, s22
	s_wait_alu 0xfffe
	s_add_co_ci_u32 s22, s15, s7
	s_mul_i32 s20, s11, s21
	s_add_co_ci_u32 s21, s26, 0
	s_delay_alu instid0(SALU_CYCLE_1)
	s_add_nc_u64 s[14:15], s[22:23], s[20:21]
	s_mov_b32 s21, s17
	s_add_co_u32 s10, s10, s14
	s_cselect_b32 s7, -1, 0
	s_wait_alu 0xfffe
	s_cmp_lg_u32 s7, 0
	s_add_co_ci_u32 s11, s11, s15
	s_mov_b32 s15, s17
	s_mul_u64 s[12:13], s[12:13], s[10:11]
	s_delay_alu instid0(SALU_CYCLE_1)
	s_mul_hi_u32 s23, s10, s13
	s_mul_i32 s22, s10, s13
	s_mul_hi_u32 s14, s10, s12
	s_mul_i32 s20, s11, s12
	s_add_nc_u64 s[14:15], s[14:15], s[22:23]
	s_mul_hi_u32 s7, s11, s12
	s_mul_hi_u32 s24, s11, s13
	s_mul_i32 s12, s11, s13
	s_add_co_u32 s13, s14, s20
	s_wait_alu 0xfffe
	s_add_co_ci_u32 s20, s15, s7
	s_add_co_ci_u32 s13, s24, 0
	s_mov_b32 s15, s17
	s_add_nc_u64 s[12:13], s[20:21], s[12:13]
	s_delay_alu instid0(SALU_CYCLE_1) | instskip(SKIP_1) | instid1(SALU_CYCLE_1)
	s_add_co_u32 s7, s10, s12
	s_cselect_b32 s10, -1, 0
	s_cmp_lg_u32 s10, 0
	s_add_co_ci_u32 s20, s11, s13
	s_ashr_i32 s10, s3, 31
	s_delay_alu instid0(SALU_CYCLE_1) | instskip(NEXT) | instid1(SALU_CYCLE_1)
	s_mov_b32 s11, s10
	s_add_nc_u64 s[12:13], s[2:3], s[10:11]
	s_delay_alu instid0(SALU_CYCLE_1) | instskip(NEXT) | instid1(SALU_CYCLE_1)
	s_xor_b64 s[12:13], s[12:13], s[10:11]
	s_mul_hi_u32 s23, s12, s20
	s_mul_i32 s22, s12, s20
	s_wait_alu 0xfffe
	s_mul_hi_u32 s14, s12, s7
	s_mul_hi_u32 s24, s13, s7
	s_mul_i32 s7, s13, s7
	s_add_nc_u64 s[14:15], s[14:15], s[22:23]
	s_mul_hi_u32 s3, s13, s20
	s_wait_alu 0xfffe
	s_add_co_u32 s7, s14, s7
	s_mul_i32 s22, s13, s20
	s_add_co_ci_u32 s20, s15, s24
	s_add_co_ci_u32 s23, s3, 0
	s_delay_alu instid0(SALU_CYCLE_1) | instskip(NEXT) | instid1(SALU_CYCLE_1)
	s_add_nc_u64 s[14:15], s[20:21], s[22:23]
	s_mul_u64 s[20:21], s[8:9], s[14:15]
	s_delay_alu instid0(SALU_CYCLE_1)
	s_sub_co_u32 s3, s12, s20
	s_cselect_b32 s7, -1, 0
	s_sub_co_i32 s12, s13, s21
	s_wait_alu 0xfffe
	s_cmp_lg_u32 s7, 0
	s_sub_co_ci_u32 s12, s12, s9
	s_sub_co_u32 s20, s3, s8
	s_cselect_b32 s22, -1, 0
	s_delay_alu instid0(SALU_CYCLE_1) | instskip(SKIP_2) | instid1(SALU_CYCLE_1)
	s_cmp_lg_u32 s22, 0
	s_add_nc_u64 s[22:23], s[14:15], 1
	s_sub_co_ci_u32 s12, s12, 0
	s_cmp_ge_u32 s12, s9
	s_cselect_b32 s24, -1, 0
	s_cmp_ge_u32 s20, s8
	s_cselect_b32 s20, -1, 0
	s_cmp_eq_u32 s12, s9
	s_cselect_b32 s12, s20, s24
	s_add_nc_u64 s[24:25], s[14:15], 2
	s_cmp_lg_u32 s12, 0
	s_cselect_b32 s12, s24, s22
	s_cselect_b32 s20, s25, s23
	s_cmp_lg_u32 s7, 0
	s_sub_co_ci_u32 s7, s13, s21
	s_wait_alu 0xfffe
	s_cmp_ge_u32 s7, s9
	s_cselect_b32 s13, -1, 0
	s_cmp_ge_u32 s3, s8
	s_cselect_b32 s3, -1, 0
	s_cmp_eq_u32 s7, s9
	s_cselect_b32 s3, s3, s13
	s_delay_alu instid0(SALU_CYCLE_1) | instskip(SKIP_4) | instid1(SALU_CYCLE_1)
	s_cmp_lg_u32 s3, 0
	s_mov_b32 s3, s17
	s_cselect_b32 s9, s20, s15
	s_cselect_b32 s8, s12, s14
	s_xor_b64 s[10:11], s[10:11], 0
	s_xor_b64 s[8:9], s[8:9], s[10:11]
	s_delay_alu instid0(SALU_CYCLE_1)
	s_sub_nc_u64 s[20:21], s[8:9], s[10:11]
	s_and_not1_b32 vcc_lo, exec_lo, s3
	s_cbranch_vccnz .LBB70_3
.LBB70_2:
	v_cvt_f32_u32_e32 v1, s16
	s_sub_co_i32 s7, 0, s16
	s_delay_alu instid0(VALU_DEP_1) | instskip(NEXT) | instid1(TRANS32_DEP_1)
	v_rcp_iflag_f32_e32 v1, v1
	v_mul_f32_e32 v1, 0x4f7ffffe, v1
	s_delay_alu instid0(VALU_DEP_1) | instskip(NEXT) | instid1(VALU_DEP_1)
	v_cvt_u32_f32_e32 v1, v1
	v_readfirstlane_b32 s3, v1
	s_wait_alu 0xfffe
	s_mul_i32 s7, s7, s3
	s_wait_alu 0xfffe
	s_mul_hi_u32 s7, s3, s7
	s_wait_alu 0xfffe
	s_add_co_i32 s3, s3, s7
	s_delay_alu instid0(SALU_CYCLE_1) | instskip(NEXT) | instid1(SALU_CYCLE_1)
	s_mul_hi_u32 s3, s2, s3
	s_mul_i32 s7, s3, s16
	s_wait_alu 0xfffe
	s_sub_co_i32 s2, s2, s7
	s_add_co_i32 s7, s3, 1
	s_sub_co_i32 s8, s2, s16
	s_cmp_ge_u32 s2, s16
	s_wait_alu 0xfffe
	s_cselect_b32 s3, s7, s3
	s_cselect_b32 s2, s8, s2
	s_add_co_i32 s7, s3, 1
	s_cmp_ge_u32 s2, s16
	s_wait_alu 0xfffe
	s_cselect_b32 s20, s7, s3
.LBB70_3:
	s_add_co_i32 s2, ttmp9, 1
	s_mov_b32 s8, 0
	s_ashr_i32 s3, s2, 31
	s_delay_alu instid0(SALU_CYCLE_1) | instskip(NEXT) | instid1(SALU_CYCLE_1)
	s_mul_u64 s[2:3], s[18:19], s[2:3]
	s_mov_b32 s9, s3
	s_delay_alu instid0(SALU_CYCLE_1)
	s_cmp_lg_u64 s[8:9], 0
	s_cbranch_scc0 .LBB70_22
; %bb.4:
	s_add_nc_u64 s[10:11], s[16:17], 0
	s_mov_b32 s23, s8
	s_xor_b64 s[10:11], s[10:11], 0
	s_mov_b32 s27, s8
	s_cvt_f32_u32 s7, s10
	s_cvt_f32_u32 s9, s11
	s_sub_nc_u64 s[14:15], 0, s[10:11]
	s_wait_alu 0xfffe
	s_delay_alu instid0(SALU_CYCLE_1) | instskip(SKIP_1) | instid1(SALU_CYCLE_2)
	s_fmamk_f32 s7, s9, 0x4f800000, s7
	s_wait_alu 0xfffe
	v_s_rcp_f32 s7, s7
	s_delay_alu instid0(TRANS32_DEP_1) | instskip(SKIP_1) | instid1(SALU_CYCLE_2)
	s_mul_f32 s7, s7, 0x5f7ffffc
	s_wait_alu 0xfffe
	s_mul_f32 s9, s7, 0x2f800000
	s_delay_alu instid0(SALU_CYCLE_3) | instskip(NEXT) | instid1(SALU_CYCLE_3)
	s_trunc_f32 s9, s9
	s_fmamk_f32 s7, s9, 0xcf800000, s7
	s_cvt_u32_f32 s13, s9
	s_wait_alu 0xfffe
	s_delay_alu instid0(SALU_CYCLE_1) | instskip(NEXT) | instid1(SALU_CYCLE_3)
	s_cvt_u32_f32 s12, s7
	s_mul_u64 s[24:25], s[14:15], s[12:13]
	s_delay_alu instid0(SALU_CYCLE_1)
	s_mul_hi_u32 s29, s12, s25
	s_mul_i32 s28, s12, s25
	s_mul_hi_u32 s22, s12, s24
	s_mul_i32 s9, s13, s24
	s_add_nc_u64 s[22:23], s[22:23], s[28:29]
	s_mul_hi_u32 s7, s13, s24
	s_mul_hi_u32 s21, s13, s25
	s_add_co_u32 s9, s22, s9
	s_wait_alu 0xfffe
	s_add_co_ci_u32 s26, s23, s7
	s_mul_i32 s24, s13, s25
	s_add_co_ci_u32 s25, s21, 0
	s_delay_alu instid0(SALU_CYCLE_1)
	s_add_nc_u64 s[22:23], s[26:27], s[24:25]
	s_mov_b32 s25, s8
	s_add_co_u32 s12, s12, s22
	s_cselect_b32 s7, -1, 0
	s_wait_alu 0xfffe
	s_cmp_lg_u32 s7, 0
	s_add_co_ci_u32 s13, s13, s23
	s_mov_b32 s23, s8
	s_mul_u64 s[14:15], s[14:15], s[12:13]
	s_delay_alu instid0(SALU_CYCLE_1)
	s_mul_hi_u32 s27, s12, s15
	s_mul_i32 s26, s12, s15
	s_mul_hi_u32 s22, s12, s14
	s_mul_i32 s9, s13, s14
	s_add_nc_u64 s[22:23], s[22:23], s[26:27]
	s_mul_hi_u32 s7, s13, s14
	s_mul_hi_u32 s21, s13, s15
	s_add_co_u32 s9, s22, s9
	s_wait_alu 0xfffe
	s_add_co_ci_u32 s24, s23, s7
	s_mul_i32 s14, s13, s15
	s_add_co_ci_u32 s15, s21, 0
	s_mov_b32 s23, s8
	s_add_nc_u64 s[14:15], s[24:25], s[14:15]
	s_delay_alu instid0(SALU_CYCLE_1) | instskip(SKIP_1) | instid1(SALU_CYCLE_1)
	s_add_co_u32 s7, s12, s14
	s_cselect_b32 s9, -1, 0
	s_cmp_lg_u32 s9, 0
	s_add_co_ci_u32 s9, s13, s15
	s_ashr_i32 s12, s3, 31
	s_delay_alu instid0(SALU_CYCLE_1) | instskip(NEXT) | instid1(SALU_CYCLE_1)
	s_mov_b32 s13, s12
	s_add_nc_u64 s[14:15], s[2:3], s[12:13]
	s_delay_alu instid0(SALU_CYCLE_1) | instskip(NEXT) | instid1(SALU_CYCLE_1)
	s_xor_b64 s[14:15], s[14:15], s[12:13]
	s_mul_hi_u32 s27, s14, s9
	s_mul_i32 s26, s14, s9
	s_wait_alu 0xfffe
	s_mul_hi_u32 s22, s14, s7
	s_mul_hi_u32 s21, s15, s7
	s_mul_i32 s7, s15, s7
	s_add_nc_u64 s[22:23], s[22:23], s[26:27]
	s_mul_hi_u32 s3, s15, s9
	s_wait_alu 0xfffe
	s_add_co_u32 s7, s22, s7
	s_add_co_ci_u32 s24, s23, s21
	s_mul_i32 s26, s15, s9
	s_add_co_ci_u32 s27, s3, 0
	s_delay_alu instid0(SALU_CYCLE_1) | instskip(NEXT) | instid1(SALU_CYCLE_1)
	s_add_nc_u64 s[22:23], s[24:25], s[26:27]
	s_mul_u64 s[24:25], s[10:11], s[22:23]
	s_add_nc_u64 s[26:27], s[22:23], 1
	s_sub_co_u32 s3, s14, s24
	s_cselect_b32 s7, -1, 0
	s_sub_co_i32 s9, s15, s25
	s_wait_alu 0xfffe
	s_cmp_lg_u32 s7, 0
	s_add_nc_u64 s[28:29], s[22:23], 2
	s_sub_co_ci_u32 s9, s9, s11
	s_sub_co_u32 s14, s3, s10
	s_cselect_b32 s21, -1, 0
	s_delay_alu instid0(SALU_CYCLE_1) | instskip(SKIP_1) | instid1(SALU_CYCLE_1)
	s_cmp_lg_u32 s21, 0
	s_sub_co_ci_u32 s9, s9, 0
	s_cmp_ge_u32 s9, s11
	s_cselect_b32 s21, -1, 0
	s_cmp_ge_u32 s14, s10
	s_cselect_b32 s14, -1, 0
	s_cmp_eq_u32 s9, s11
	s_cselect_b32 s9, s14, s21
	s_delay_alu instid0(SALU_CYCLE_1)
	s_cmp_lg_u32 s9, 0
	s_cselect_b32 s9, s28, s26
	s_cselect_b32 s14, s29, s27
	s_cmp_lg_u32 s7, 0
	s_sub_co_ci_u32 s7, s15, s25
	s_wait_alu 0xfffe
	s_cmp_ge_u32 s7, s11
	s_cselect_b32 s15, -1, 0
	s_cmp_ge_u32 s3, s10
	s_cselect_b32 s3, -1, 0
	s_cmp_eq_u32 s7, s11
	s_cselect_b32 s3, s3, s15
	s_delay_alu instid0(SALU_CYCLE_1) | instskip(SKIP_3) | instid1(SALU_CYCLE_1)
	s_cmp_lg_u32 s3, 0
	s_cselect_b32 s11, s14, s23
	s_cselect_b32 s10, s9, s22
	s_xor_b64 s[12:13], s[12:13], 0
	s_xor_b64 s[10:11], s[10:11], s[12:13]
	s_delay_alu instid0(SALU_CYCLE_1)
	s_sub_nc_u64 s[10:11], s[10:11], s[12:13]
	s_load_b96 s[12:14], s[0:1], 0x44
	s_and_not1_b32 vcc_lo, exec_lo, s8
	s_cbranch_vccnz .LBB70_6
.LBB70_5:
	v_cvt_f32_u32_e32 v1, s16
	s_sub_co_i32 s7, 0, s16
	s_delay_alu instid0(VALU_DEP_1) | instskip(NEXT) | instid1(TRANS32_DEP_1)
	v_rcp_iflag_f32_e32 v1, v1
	v_mul_f32_e32 v1, 0x4f7ffffe, v1
	s_delay_alu instid0(VALU_DEP_1) | instskip(NEXT) | instid1(VALU_DEP_1)
	v_cvt_u32_f32_e32 v1, v1
	v_readfirstlane_b32 s3, v1
	s_wait_alu 0xfffe
	s_mul_i32 s7, s7, s3
	s_wait_alu 0xfffe
	s_mul_hi_u32 s7, s3, s7
	s_wait_alu 0xfffe
	s_add_co_i32 s3, s3, s7
	s_delay_alu instid0(SALU_CYCLE_1) | instskip(NEXT) | instid1(SALU_CYCLE_1)
	s_mul_hi_u32 s3, s2, s3
	s_mul_i32 s7, s3, s16
	s_wait_alu 0xfffe
	s_sub_co_i32 s2, s2, s7
	s_add_co_i32 s7, s3, 1
	s_sub_co_i32 s8, s2, s16
	s_cmp_ge_u32 s2, s16
	s_wait_alu 0xfffe
	s_cselect_b32 s3, s7, s3
	s_cselect_b32 s2, s8, s2
	s_add_co_i32 s7, s3, 1
	s_cmp_ge_u32 s2, s16
	s_wait_alu 0xfffe
	s_cselect_b32 s10, s7, s3
.LBB70_6:
	s_mov_b32 s21, 0
	s_wait_kmcnt 0x0
	s_mov_b32 s22, s12
	s_mov_b32 s23, s21
	s_cmp_eq_u32 s20, s10
	s_mul_u64 s[2:3], s[20:21], s[22:23]
	s_cselect_b32 s7, -1, 0
	s_add_co_i32 s2, s3, s20
	s_mov_b32 s11, s21
	s_lshr_b32 s12, s2, s13
	s_mul_u64 s[2:3], s[10:11], s[22:23]
	s_mul_i32 s2, s12, s14
	s_delay_alu instid0(SALU_CYCLE_1) | instskip(SKIP_2) | instid1(SALU_CYCLE_1)
	s_cmp_eq_u32 s2, s20
	s_cselect_b32 s2, -1, 0
	s_add_co_i32 s3, s3, s10
	s_lshr_b32 s3, s3, s13
	s_delay_alu instid0(SALU_CYCLE_1)
	s_cmp_eq_u32 s12, s3
	s_mul_i32 s3, s3, s14
	s_cselect_b32 s8, -1, 0
	s_cmp_lg_u32 s3, s10
	s_cselect_b32 s3, -1, 0
	s_wait_alu 0xfffe
	s_or_b32 s2, s7, s2
	s_and_b32 s3, s8, s3
	s_delay_alu instid0(SALU_CYCLE_1) | instskip(NEXT) | instid1(SALU_CYCLE_1)
	s_or_b32 s2, s2, s3
	s_and_b32 vcc_lo, exec_lo, s2
	s_cbranch_vccnz .LBB70_24
; %bb.7:
	s_load_b256 s[24:31], s[0:1], 0x20
	s_mov_b32 s3, s21
	s_and_b32 s15, ttmp7, 0xffff
	s_wait_kmcnt 0x0
	s_mov_b32 s2, s24
	s_delay_alu instid0(SALU_CYCLE_1) | instskip(NEXT) | instid1(SALU_CYCLE_1)
	s_mul_u64 s[2:3], s[20:21], s[2:3]
	s_add_co_i32 s2, s3, s20
	s_delay_alu instid0(SALU_CYCLE_1) | instskip(SKIP_4) | instid1(SALU_CYCLE_1)
	s_lshr_b32 s3, s2, s25
	s_load_b32 s2, s[0:1], 0x40
	s_mul_i32 s7, s3, s26
	s_wait_alu 0xfffe
	s_sub_co_i32 s8, s20, s7
	s_mul_hi_u32 s7, s8, s27
	s_wait_alu 0xfffe
	s_add_co_i32 s7, s8, s7
	s_wait_alu 0xfffe
	s_lshr_b32 s7, s7, s28
	s_wait_alu 0xfffe
	s_mul_i32 s9, s7, s29
	s_delay_alu instid0(SALU_CYCLE_1) | instskip(NEXT) | instid1(SALU_CYCLE_1)
	s_sub_co_i32 s8, s8, s9
	s_mul_hi_u32 s9, s8, s30
	s_delay_alu instid0(SALU_CYCLE_1) | instskip(NEXT) | instid1(SALU_CYCLE_1)
	s_add_co_i32 s9, s8, s9
	s_lshr_b32 s24, s9, s31
	s_mov_b32 s9, s21
	s_wait_kmcnt 0x0
	s_mul_i32 s2, s24, s2
	s_delay_alu instid0(SALU_CYCLE_1) | instskip(NEXT) | instid1(SALU_CYCLE_1)
	s_sub_co_i32 s8, s8, s2
	s_mul_u64 s[10:11], s[8:9], s[22:23]
	s_delay_alu instid0(SALU_CYCLE_1) | instskip(NEXT) | instid1(SALU_CYCLE_1)
	s_add_co_i32 s2, s8, s11
	s_lshr_b32 s21, s2, s13
	s_delay_alu instid0(SALU_CYCLE_1) | instskip(NEXT) | instid1(SALU_CYCLE_1)
	s_lshl_b32 s2, s21, 1
	s_add_co_i32 s8, s2, s15
	s_lshr_b32 s2, ttmp7, 16
	s_cmp_lt_i32 s8, s4
	s_cselect_b32 s8, -1, 0
	s_add_co_i32 s9, s24, s2
	s_delay_alu instid0(SALU_CYCLE_1) | instskip(SKIP_1) | instid1(SALU_CYCLE_1)
	s_cmp_lt_i32 s9, s6
	s_cselect_b32 s9, -1, 0
	s_and_b32 s8, s8, s9
	s_delay_alu instid0(SALU_CYCLE_1)
	s_and_not1_b32 vcc_lo, exec_lo, s8
	s_cbranch_vccnz .LBB70_24
; %bb.8:
	s_mul_i32 s3, s3, s4
	s_mul_i32 s7, s7, s6
	s_add_co_i32 s3, s3, s15
	s_load_b128 s[8:11], s[0:1], 0x0
	s_mul_i32 s3, s3, s5
	s_mul_i32 s1, s5, s21
	s_add_co_i32 s3, s3, s2
	s_lshl_b32 s1, s1, 8
	s_add_co_i32 s0, s3, s7
	s_add_co_i32 s15, s15, s2
	s_add_co_i32 s0, s0, s24
	v_cvt_f32_u32_e32 v4, s16
	s_lshl_b32 s0, s0, 7
	s_add_co_i32 s34, ttmp9, -1
	s_add_co_i32 s1, s1, s0
	s_delay_alu instid0(VALU_DEP_1)
	v_rcp_iflag_f32_e32 v4, v4
	v_or_b32_e32 v1, s1, v0
	s_add_nc_u64 s[0:1], s[16:17], 0
	v_lshl_or_b32 v0, s15, 7, v0
	s_wait_alu 0xfffe
	s_xor_b64 s[6:7], s[0:1], 0
	s_lshl_b32 s0, ttmp9, 1
	v_ashrrev_i32_e32 v2, 31, v1
	s_wait_alu 0xfffe
	s_cvt_f32_u32 s1, s6
	s_cvt_f32_u32 s2, s7
	s_add_co_i32 s0, s0, s15
	s_sub_nc_u64 s[30:31], 0, s[6:7]
	v_lshlrev_b64_e32 v[1:2], 2, v[1:2]
	s_wait_alu 0xfffe
	s_fmamk_f32 s2, s2, 0x4f800000, s1
	s_ashr_i32 s1, s0, 31
	s_wait_alu 0xfffe
	s_lshl_b64 s[0:1], s[0:1], 3
	v_s_rcp_f32 s2, s2
	s_wait_kmcnt 0x0
	v_add_co_u32 v1, vcc_lo, s8, v1
	s_delay_alu instid0(VALU_DEP_1)
	v_add_co_ci_u32_e64 v2, null, s9, v2, vcc_lo
	s_wait_alu 0xfffe
	s_add_nc_u64 s[0:1], s[10:11], s[0:1]
	s_mov_b32 s8, 0
	s_load_b64 s[26:27], s[0:1], 0x0
	global_load_b32 v3, v[1:2], off
	s_mul_f32 s2, s2, 0x5f7ffffc
	v_mul_f32_e32 v4, 0x4f7ffffe, v4
	s_lshl_b32 s0, s16, 3
	s_wait_alu 0xfffe
	s_mul_f32 s1, s2, 0x2f800000
	s_wait_alu 0xfffe
	s_delay_alu instid0(SALU_CYCLE_2)
	s_trunc_f32 s3, s1
	s_mov_b32 s1, s8
	s_wait_alu 0xfffe
	s_lshl_b64 s[0:1], s[0:1], 2
	s_fmamk_f32 s2, s3, 0xcf800000, s2
	s_cvt_u32_f32 s29, s3
	s_wait_alu 0xfffe
	s_add_nc_u64 s[24:25], s[10:11], s[0:1]
	s_cvt_u32_f32 s28, s2
	s_wait_kmcnt 0x0
	v_mov_b32_e32 v5, s27
	v_cvt_u32_f32_e32 v4, v4
.LBB70_9:                               ; =>This Inner Loop Header: Depth=1
	s_wait_alu 0xfffe
	s_ashr_i32 s35, s34, 31
	s_mov_b32 s2, -1
	s_wait_alu 0xfffe
	s_mul_u64 s[0:1], s[34:35], s[18:19]
                                        ; implicit-def: $sgpr38_sgpr39
	s_wait_alu 0xfffe
	s_mov_b32 s9, s1
	s_wait_alu 0xfffe
	s_cmp_lg_u64 s[8:9], 0
	s_cbranch_scc0 .LBB70_11
; %bb.10:                               ;   in Loop: Header=BB70_9 Depth=1
	s_mul_u64 s[2:3], s[30:31], s[28:29]
	s_mov_b32 s37, s8
	s_wait_alu 0xfffe
	s_mul_hi_u32 s5, s28, s3
	s_mul_i32 s4, s28, s3
	s_mul_hi_u32 s36, s28, s2
	s_mul_hi_u32 s9, s29, s2
	s_wait_alu 0xfffe
	s_add_nc_u64 s[4:5], s[36:37], s[4:5]
	s_mul_i32 s2, s29, s2
	s_mul_hi_u32 s17, s29, s3
	s_wait_alu 0xfffe
	s_add_co_u32 s2, s4, s2
	s_add_co_ci_u32 s2, s5, s9
	s_add_co_ci_u32 s5, s17, 0
	s_mul_i32 s4, s29, s3
	s_mov_b32 s3, s8
	s_mov_b32 s39, s8
	s_wait_alu 0xfffe
	s_add_nc_u64 s[2:3], s[2:3], s[4:5]
	s_wait_alu 0xfffe
	s_add_co_u32 s2, s28, s2
	s_cselect_b32 s4, -1, 0
	s_wait_alu 0xfffe
	s_cmp_lg_u32 s4, 0
	s_add_co_ci_u32 s3, s29, s3
	s_wait_alu 0xfffe
	s_mul_u64 s[4:5], s[30:31], s[2:3]
	s_wait_alu 0xfffe
	s_mul_hi_u32 s37, s2, s5
	s_mul_i32 s36, s2, s5
	s_mul_hi_u32 s38, s2, s4
	s_mul_hi_u32 s9, s3, s4
	s_mul_i32 s4, s3, s4
	s_wait_alu 0xfffe
	s_add_nc_u64 s[36:37], s[38:39], s[36:37]
	s_mul_hi_u32 s17, s3, s5
	s_wait_alu 0xfffe
	s_add_co_u32 s4, s36, s4
	s_add_co_ci_u32 s4, s37, s9
	s_add_co_ci_u32 s37, s17, 0
	s_mul_i32 s36, s3, s5
	s_mov_b32 s5, s8
	s_wait_alu 0xfffe
	s_add_nc_u64 s[4:5], s[4:5], s[36:37]
	s_mov_b32 s37, s8
	s_wait_alu 0xfffe
	s_add_co_u32 s9, s2, s4
	s_cselect_b32 s2, -1, 0
	s_wait_alu 0xfffe
	s_cmp_lg_u32 s2, 0
	s_add_co_ci_u32 s17, s3, s5
	s_ashr_i32 s2, s1, 31
	s_wait_alu 0xfffe
	s_mov_b32 s3, s2
	s_wait_alu 0xfffe
	s_add_nc_u64 s[4:5], s[0:1], s[2:3]
	s_wait_alu 0xfffe
	s_xor_b64 s[4:5], s[4:5], s[2:3]
	s_wait_alu 0xfffe
	s_mul_hi_u32 s39, s4, s17
	s_mul_i32 s38, s4, s17
	s_mul_hi_u32 s36, s4, s9
	s_mul_i32 s21, s5, s9
	s_wait_alu 0xfffe
	s_add_nc_u64 s[36:37], s[36:37], s[38:39]
	s_mul_hi_u32 s9, s5, s9
	s_mul_hi_u32 s1, s5, s17
	s_wait_alu 0xfffe
	s_add_co_u32 s21, s36, s21
	s_add_co_ci_u32 s36, s37, s9
	s_add_co_ci_u32 s39, s1, 0
	s_mul_i32 s38, s5, s17
	s_mov_b32 s37, s8
	s_wait_alu 0xfffe
	s_add_nc_u64 s[36:37], s[36:37], s[38:39]
	s_wait_alu 0xfffe
	s_mul_u64 s[38:39], s[6:7], s[36:37]
	s_add_nc_u64 s[40:41], s[36:37], 1
	s_sub_co_u32 s1, s4, s38
	s_cselect_b32 s4, -1, 0
	s_sub_co_i32 s9, s5, s39
	s_wait_alu 0xfffe
	s_cmp_lg_u32 s4, 0
	s_add_nc_u64 s[42:43], s[36:37], 2
	s_sub_co_ci_u32 s9, s9, s7
	s_sub_co_u32 s17, s1, s6
	s_cselect_b32 s21, -1, 0
	s_delay_alu instid0(SALU_CYCLE_1)
	s_cmp_lg_u32 s21, 0
	s_wait_alu 0xfffe
	s_sub_co_ci_u32 s9, s9, 0
	s_wait_alu 0xfffe
	s_cmp_ge_u32 s9, s7
	s_cselect_b32 s21, -1, 0
	s_cmp_ge_u32 s17, s6
	s_cselect_b32 s17, -1, 0
	s_cmp_eq_u32 s9, s7
	s_wait_alu 0xfffe
	s_cselect_b32 s9, s17, s21
	s_wait_alu 0xfffe
	s_cmp_lg_u32 s9, 0
	s_cselect_b32 s9, s42, s40
	s_cselect_b32 s17, s43, s41
	s_cmp_lg_u32 s4, 0
	s_sub_co_ci_u32 s4, s5, s39
	s_wait_alu 0xfffe
	s_cmp_ge_u32 s4, s7
	s_cselect_b32 s5, -1, 0
	s_cmp_ge_u32 s1, s6
	s_cselect_b32 s1, -1, 0
	s_cmp_eq_u32 s4, s7
	s_wait_alu 0xfffe
	s_cselect_b32 s1, s1, s5
	s_wait_alu 0xfffe
	s_cmp_lg_u32 s1, 0
	s_cselect_b32 s5, s17, s37
	s_cselect_b32 s4, s9, s36
	s_xor_b64 s[2:3], s[2:3], 0
	s_wait_alu 0xfffe
	s_xor_b64 s[4:5], s[4:5], s[2:3]
	s_wait_alu 0xfffe
	s_sub_nc_u64 s[38:39], s[4:5], s[2:3]
	s_mov_b32 s2, 0
.LBB70_11:                              ;   in Loop: Header=BB70_9 Depth=1
	s_wait_alu 0xfffe
	s_and_not1_b32 vcc_lo, exec_lo, s2
	s_wait_alu 0xfffe
	s_cbranch_vccnz .LBB70_13
; %bb.12:                               ;   in Loop: Header=BB70_9 Depth=1
	v_readfirstlane_b32 s1, v4
	s_sub_co_i32 s2, 0, s16
	s_wait_alu 0xfffe
	s_mul_i32 s2, s2, s1
	s_wait_alu 0xfffe
	s_mul_hi_u32 s2, s1, s2
	s_wait_alu 0xfffe
	s_add_co_i32 s1, s1, s2
	s_wait_alu 0xfffe
	s_mul_hi_u32 s1, s0, s1
	s_wait_alu 0xfffe
	s_mul_i32 s2, s1, s16
	s_wait_alu 0xfffe
	s_sub_co_i32 s0, s0, s2
	s_add_co_i32 s2, s1, 1
	s_wait_alu 0xfffe
	s_sub_co_i32 s3, s0, s16
	s_cmp_ge_u32 s0, s16
	s_cselect_b32 s1, s2, s1
	s_wait_alu 0xfffe
	s_cselect_b32 s0, s3, s0
	s_add_co_i32 s2, s1, 1
	s_wait_alu 0xfffe
	s_cmp_ge_u32 s0, s16
	s_cselect_b32 s38, s2, s1
.LBB70_13:                              ;   in Loop: Header=BB70_9 Depth=1
	v_readfirstlane_b32 s9, v0
	s_cmp_lg_u32 s20, s38
	s_mov_b32 s0, -1
                                        ; implicit-def: $sgpr21
                                        ; implicit-def: $vgpr6
                                        ; implicit-def: $vgpr7
                                        ; implicit-def: $sgpr17
                                        ; implicit-def: $sgpr27
	s_cbranch_scc1 .LBB70_16
; %bb.14:                               ;   in Loop: Header=BB70_9 Depth=1
	s_wait_alu 0xfffe
	s_and_not1_b32 vcc_lo, exec_lo, s0
	s_wait_alu 0xfffe
	s_cbranch_vccz .LBB70_19
.LBB70_15:                              ;   in Loop: Header=BB70_9 Depth=1
	s_and_not1_b32 vcc_lo, exec_lo, s21
	s_wait_alu 0xfffe
	s_cbranch_vccnz .LBB70_20
	s_branch .LBB70_23
.LBB70_16:                              ;   in Loop: Header=BB70_9 Depth=1
	s_add_co_i32 s0, s34, s16
	s_mov_b32 s1, s8
	s_wait_alu 0xfffe
	s_lshl_b32 s0, s0, 1
	v_max_num_f32_e64 v6, s26, s26
	s_wait_alu 0xfffe
	s_add_co_i32 s0, s0, s15
	s_mov_b32 s39, s8
	s_wait_alu 0xfffe
	s_lshl_b64 s[0:1], s[0:1], 3
	s_mul_u64 s[40:41], s[38:39], s[22:23]
	s_wait_alu 0xfffe
	s_add_nc_u64 s[0:1], s[10:11], s[0:1]
	s_mov_b32 s27, s20
	s_load_b64 s[36:37], s[0:1], 0x0
	v_readfirstlane_b32 s0, v6
	s_wait_kmcnt 0x0
	v_max_num_f32_e64 v7, s36, s36
	s_delay_alu instid0(VALU_DEP_1) | instskip(SKIP_2) | instid1(SALU_CYCLE_2)
	v_readfirstlane_b32 s1, v7
	s_max_num_f32 s9, s0, s1
	s_wait_alu 0xfffe
	s_sub_f32 s33, s26, s9
	s_sub_f32 s35, s36, s9
	s_wait_alu 0xfffe
	s_delay_alu instid0(SALU_CYCLE_1)
	s_cmp_nlt_f32 s33, 0xc2ce8ed0
	s_cselect_b32 s0, -1, 0
	s_cmp_ngt_f32 s33, 0x42b17218
	s_cselect_b32 s1, -1, 0
	s_cmp_ge_f32 s33, 0xc1a00000
	s_cselect_b32 s2, -1, 0
	s_cmp_nlt_f32 s35, 0xc2ce8ed0
	s_cselect_b32 s3, -1, 0
	s_cmp_ngt_f32 s35, 0x42b17218
	s_cselect_b32 s4, -1, 0
	s_cmp_ge_f32 s35, 0xc1a00000
	s_cselect_b32 s5, -1, 0
	s_add_co_i32 s17, s41, s38
	s_wait_alu 0xfffe
	s_lshr_b32 s17, s17, s13
	s_wait_alu 0xfffe
	s_mul_i32 s21, s17, s14
	s_delay_alu instid0(SALU_CYCLE_1)
	s_cmp_eq_u32 s21, s38
	s_cselect_b32 s21, -1, 0
	s_cmp_lt_u32 s17, s12
	s_cselect_b32 s17, -1, 0
	s_wait_alu 0xfffe
	s_or_b32 s17, s17, s21
	s_mov_b32 s21, -1
	s_wait_alu 0xfffe
	s_and_b32 vcc_lo, exec_lo, s17
	s_mov_b32 s17, s34
	s_wait_alu 0xfffe
	s_cbranch_vccnz .LBB70_18
; %bb.17:                               ;   in Loop: Header=BB70_9 Depth=1
	s_add_co_i32 s17, s34, -1
	s_mov_b32 s21, 0
	s_mov_b32 s27, s38
.LBB70_18:                              ;   in Loop: Header=BB70_9 Depth=1
	v_lshl_add_u32 v6, s34, 8, v0
	s_mul_f32 s36, s35, 0x3fb8aa3b
	s_mul_f32 s38, s33, 0x3fb8aa3b
	s_wait_alu 0xfffe
	s_delay_alu instid0(SALU_CYCLE_1)
	s_xor_b32 s39, s36, 0x80000000
	v_ashrrev_i32_e32 v7, 31, v6
	s_rndne_f32 s40, s36
	s_fmamk_f32 s39, s35, 0x3fb8aa3b, s39
	s_xor_b32 s41, s38, 0x80000000
	s_rndne_f32 s42, s38
	v_lshlrev_b64_e32 v[6:7], 2, v[6:7]
	s_sub_f32 s36, s36, s40
	s_fmamk_f32 s35, s35, 0x32a5705f, s39
	s_fmamk_f32 s39, s33, 0x3fb8aa3b, s41
	s_sub_f32 s38, s38, s42
	s_delay_alu instid0(VALU_DEP_1)
	v_add_co_u32 v6, vcc_lo, s24, v6
	s_wait_alu 0xfffd
	v_add_co_ci_u32_e64 v7, null, s25, v7, vcc_lo
	s_wait_alu 0xfffe
	s_add_f32 s35, s36, s35
	s_fmamk_f32 s33, s33, 0x32a5705f, s39
	s_cvt_i32_f32 s36, s40
	global_load_b32 v6, v[6:7], off
	s_wait_alu 0xfffe
	v_s_exp_f32 s35, s35
	s_add_f32 s33, s38, s33
	s_wait_alu 0xfffe
	s_delay_alu instid0(SALU_CYCLE_2) | instskip(NEXT) | instid1(TRANS32_DEP_2)
	v_s_exp_f32 s33, s33
	v_ldexp_f32 v7, s35, s36
	s_cvt_i32_f32 s35, s42
	s_wait_alu 0xf1fe
	s_delay_alu instid0(TRANS32_DEP_1) | instid1(SALU_CYCLE_2)
	v_ldexp_f32 v8, s33, s35
	s_delay_alu instid0(VALU_DEP_2) | instskip(NEXT) | instid1(VALU_DEP_2)
	v_cndmask_b32_e64 v7, 0, v7, s3
	v_cndmask_b32_e64 v8, 0, v8, s0
	s_delay_alu instid0(VALU_DEP_2) | instskip(NEXT) | instid1(VALU_DEP_2)
	v_cndmask_b32_e64 v7, 0x7f800000, v7, s4
	v_cndmask_b32_e64 v8, 0x7f800000, v8, s1
	;; [unrolled: 3-line block ×3, first 2 shown]
	s_wait_loadcnt 0x0
	s_delay_alu instid0(VALU_DEP_2) | instskip(SKIP_1) | instid1(VALU_DEP_1)
	v_mul_f32_e32 v6, v6, v7
	v_mul_f32_e32 v7, s37, v7
	v_fmac_f32_e32 v7, v5, v8
	s_delay_alu instid0(VALU_DEP_3)
	v_fmac_f32_e32 v6, v3, v8
	s_cbranch_execnz .LBB70_15
.LBB70_19:                              ;   in Loop: Header=BB70_9 Depth=1
	s_wait_loadcnt 0x0
	v_dual_mov_b32 v7, v5 :: v_dual_mov_b32 v6, v3
	s_add_co_i32 s17, s34, -1
	s_mov_b32 s27, s20
	s_mov_b32 s9, s26
	s_cbranch_execz .LBB70_23
.LBB70_20:                              ;   in Loop: Header=BB70_9 Depth=1
	v_mov_b32_e32 v5, v7
	s_wait_loadcnt 0x0
	v_mov_b32_e32 v3, v6
	s_wait_alu 0xfffe
	s_mov_b32 s20, s27
	s_mov_b32 s34, s17
	;; [unrolled: 1-line block ×3, first 2 shown]
	s_branch .LBB70_9
.LBB70_21:
                                        ; implicit-def: $sgpr20_sgpr21
	s_branch .LBB70_2
.LBB70_22:
                                        ; implicit-def: $sgpr10_sgpr11
	s_load_b96 s[12:14], s[0:1], 0x44
	s_branch .LBB70_5
.LBB70_23:
	v_div_scale_f32 v0, null, v7, v7, v6
	s_wait_loadcnt 0x0
	s_delay_alu instid0(VALU_DEP_1) | instskip(NEXT) | instid1(TRANS32_DEP_1)
	v_rcp_f32_e32 v3, v0
	v_fma_f32 v4, -v0, v3, 1.0
	s_delay_alu instid0(VALU_DEP_1) | instskip(SKIP_1) | instid1(VALU_DEP_1)
	v_fmac_f32_e32 v3, v4, v3
	v_div_scale_f32 v4, vcc_lo, v6, v7, v6
	v_mul_f32_e32 v5, v4, v3
	s_delay_alu instid0(VALU_DEP_1) | instskip(NEXT) | instid1(VALU_DEP_1)
	v_fma_f32 v8, -v0, v5, v4
	v_fmac_f32_e32 v5, v8, v3
	s_delay_alu instid0(VALU_DEP_1) | instskip(SKIP_1) | instid1(VALU_DEP_1)
	v_fma_f32 v0, -v0, v5, v4
	s_wait_alu 0xfffd
	v_div_fmas_f32 v0, v0, v3, v5
	s_delay_alu instid0(VALU_DEP_1)
	v_div_fixup_f32 v0, v0, v7, v6
	global_store_b32 v[1:2], v0, off
.LBB70_24:
	s_endpgm
	.section	.rodata,"a",@progbits
	.p2align	6, 0x0
	.amdhsa_kernel _ZL33flash_attn_stream_k_fixup_generalILi128ELi2ELi1EEvPfPK15HIP_vector_typeIfLj2EEiiiiS1_IjLj3EES5_S5_S5_
		.amdhsa_group_segment_fixed_size 0
		.amdhsa_private_segment_fixed_size 0
		.amdhsa_kernarg_size 336
		.amdhsa_user_sgpr_count 2
		.amdhsa_user_sgpr_dispatch_ptr 0
		.amdhsa_user_sgpr_queue_ptr 0
		.amdhsa_user_sgpr_kernarg_segment_ptr 1
		.amdhsa_user_sgpr_dispatch_id 0
		.amdhsa_user_sgpr_private_segment_size 0
		.amdhsa_wavefront_size32 1
		.amdhsa_uses_dynamic_stack 0
		.amdhsa_enable_private_segment 0
		.amdhsa_system_sgpr_workgroup_id_x 1
		.amdhsa_system_sgpr_workgroup_id_y 1
		.amdhsa_system_sgpr_workgroup_id_z 1
		.amdhsa_system_sgpr_workgroup_info 0
		.amdhsa_system_vgpr_workitem_id 0
		.amdhsa_next_free_vgpr 9
		.amdhsa_next_free_sgpr 44
		.amdhsa_reserve_vcc 1
		.amdhsa_float_round_mode_32 0
		.amdhsa_float_round_mode_16_64 0
		.amdhsa_float_denorm_mode_32 3
		.amdhsa_float_denorm_mode_16_64 3
		.amdhsa_fp16_overflow 0
		.amdhsa_workgroup_processor_mode 1
		.amdhsa_memory_ordered 1
		.amdhsa_forward_progress 1
		.amdhsa_inst_pref_size 28
		.amdhsa_round_robin_scheduling 0
		.amdhsa_exception_fp_ieee_invalid_op 0
		.amdhsa_exception_fp_denorm_src 0
		.amdhsa_exception_fp_ieee_div_zero 0
		.amdhsa_exception_fp_ieee_overflow 0
		.amdhsa_exception_fp_ieee_underflow 0
		.amdhsa_exception_fp_ieee_inexact 0
		.amdhsa_exception_int_div_zero 0
	.end_amdhsa_kernel
	.section	.text._ZL33flash_attn_stream_k_fixup_generalILi128ELi2ELi1EEvPfPK15HIP_vector_typeIfLj2EEiiiiS1_IjLj3EES5_S5_S5_,"axG",@progbits,_ZL33flash_attn_stream_k_fixup_generalILi128ELi2ELi1EEvPfPK15HIP_vector_typeIfLj2EEiiiiS1_IjLj3EES5_S5_S5_,comdat
.Lfunc_end70:
	.size	_ZL33flash_attn_stream_k_fixup_generalILi128ELi2ELi1EEvPfPK15HIP_vector_typeIfLj2EEiiiiS1_IjLj3EES5_S5_S5_, .Lfunc_end70-_ZL33flash_attn_stream_k_fixup_generalILi128ELi2ELi1EEvPfPK15HIP_vector_typeIfLj2EEiiiiS1_IjLj3EES5_S5_S5_
                                        ; -- End function
	.set _ZL33flash_attn_stream_k_fixup_generalILi128ELi2ELi1EEvPfPK15HIP_vector_typeIfLj2EEiiiiS1_IjLj3EES5_S5_S5_.num_vgpr, 9
	.set _ZL33flash_attn_stream_k_fixup_generalILi128ELi2ELi1EEvPfPK15HIP_vector_typeIfLj2EEiiiiS1_IjLj3EES5_S5_S5_.num_agpr, 0
	.set _ZL33flash_attn_stream_k_fixup_generalILi128ELi2ELi1EEvPfPK15HIP_vector_typeIfLj2EEiiiiS1_IjLj3EES5_S5_S5_.numbered_sgpr, 44
	.set _ZL33flash_attn_stream_k_fixup_generalILi128ELi2ELi1EEvPfPK15HIP_vector_typeIfLj2EEiiiiS1_IjLj3EES5_S5_S5_.num_named_barrier, 0
	.set _ZL33flash_attn_stream_k_fixup_generalILi128ELi2ELi1EEvPfPK15HIP_vector_typeIfLj2EEiiiiS1_IjLj3EES5_S5_S5_.private_seg_size, 0
	.set _ZL33flash_attn_stream_k_fixup_generalILi128ELi2ELi1EEvPfPK15HIP_vector_typeIfLj2EEiiiiS1_IjLj3EES5_S5_S5_.uses_vcc, 1
	.set _ZL33flash_attn_stream_k_fixup_generalILi128ELi2ELi1EEvPfPK15HIP_vector_typeIfLj2EEiiiiS1_IjLj3EES5_S5_S5_.uses_flat_scratch, 0
	.set _ZL33flash_attn_stream_k_fixup_generalILi128ELi2ELi1EEvPfPK15HIP_vector_typeIfLj2EEiiiiS1_IjLj3EES5_S5_S5_.has_dyn_sized_stack, 0
	.set _ZL33flash_attn_stream_k_fixup_generalILi128ELi2ELi1EEvPfPK15HIP_vector_typeIfLj2EEiiiiS1_IjLj3EES5_S5_S5_.has_recursion, 0
	.set _ZL33flash_attn_stream_k_fixup_generalILi128ELi2ELi1EEvPfPK15HIP_vector_typeIfLj2EEiiiiS1_IjLj3EES5_S5_S5_.has_indirect_call, 0
	.section	.AMDGPU.csdata,"",@progbits
; Kernel info:
; codeLenInByte = 3556
; TotalNumSgprs: 46
; NumVgprs: 9
; ScratchSize: 0
; MemoryBound: 0
; FloatMode: 240
; IeeeMode: 1
; LDSByteSize: 0 bytes/workgroup (compile time only)
; SGPRBlocks: 0
; VGPRBlocks: 1
; NumSGPRsForWavesPerEU: 46
; NumVGPRsForWavesPerEU: 9
; Occupancy: 16
; WaveLimiterHint : 0
; COMPUTE_PGM_RSRC2:SCRATCH_EN: 0
; COMPUTE_PGM_RSRC2:USER_SGPR: 2
; COMPUTE_PGM_RSRC2:TRAP_HANDLER: 0
; COMPUTE_PGM_RSRC2:TGID_X_EN: 1
; COMPUTE_PGM_RSRC2:TGID_Y_EN: 1
; COMPUTE_PGM_RSRC2:TGID_Z_EN: 1
; COMPUTE_PGM_RSRC2:TIDIG_COMP_CNT: 0
	.section	.text._ZL15flash_attn_tileILi128ELi128ELi8ELi8ELb1EEvPKcS1_S1_S1_S1_PKiPfP15HIP_vector_typeIfLj2EEffffjfiS5_IjLj3EEiiiiiiiiiiiliiliiiiil,"axG",@progbits,_ZL15flash_attn_tileILi128ELi128ELi8ELi8ELb1EEvPKcS1_S1_S1_S1_PKiPfP15HIP_vector_typeIfLj2EEffffjfiS5_IjLj3EEiiiiiiiiiiiliiliiiiil,comdat
	.globl	_ZL15flash_attn_tileILi128ELi128ELi8ELi8ELb1EEvPKcS1_S1_S1_S1_PKiPfP15HIP_vector_typeIfLj2EEffffjfiS5_IjLj3EEiiiiiiiiiiiliiliiiiil ; -- Begin function _ZL15flash_attn_tileILi128ELi128ELi8ELi8ELb1EEvPKcS1_S1_S1_S1_PKiPfP15HIP_vector_typeIfLj2EEffffjfiS5_IjLj3EEiiiiiiiiiiiliiliiiiil
	.p2align	8
	.type	_ZL15flash_attn_tileILi128ELi128ELi8ELi8ELb1EEvPKcS1_S1_S1_S1_PKiPfP15HIP_vector_typeIfLj2EEffffjfiS5_IjLj3EEiiiiiiiiiiiliiliiiiil,@function
_ZL15flash_attn_tileILi128ELi128ELi8ELi8ELb1EEvPKcS1_S1_S1_S1_PKiPfP15HIP_vector_typeIfLj2EEffffjfiS5_IjLj3EEiiiiiiiiiiiliiliiiiil: ; @_ZL15flash_attn_tileILi128ELi128ELi8ELi8ELb1EEvPKcS1_S1_S1_S1_PKiPfP15HIP_vector_typeIfLj2EEffffjfiS5_IjLj3EEiiiiiiiiiiiliiliiiiil
; %bb.0:
	s_clause 0x1
	s_load_b128 s[20:23], s[0:1], 0x5c
	s_load_b64 s[30:31], s[0:1], 0x80
	s_lshr_b32 s5, ttmp7, 16
	s_load_b64 s[38:39], s[0:1], 0xb8
	s_mov_b32 s37, 0
	s_mov_b64 s[34:35], 0
	s_wait_kmcnt 0x0
	s_ashr_i32 s2, s23, 31
	s_delay_alu instid0(SALU_CYCLE_1) | instskip(NEXT) | instid1(SALU_CYCLE_1)
	s_lshr_b32 s2, s2, 29
	s_add_co_i32 s2, s23, s2
	s_delay_alu instid0(SALU_CYCLE_1) | instskip(NEXT) | instid1(SALU_CYCLE_1)
	s_ashr_i32 s2, s2, 3
	s_cvt_f32_u32 s3, s2
	s_sub_co_i32 s4, 0, s2
	s_delay_alu instid0(SALU_CYCLE_2) | instskip(NEXT) | instid1(TRANS32_DEP_1)
	v_rcp_iflag_f32_e32 v1, s3
	v_readfirstlane_b32 s3, v1
	s_mul_f32 s3, s3, 0x4f7ffffe
	s_wait_alu 0xfffe
	s_delay_alu instid0(SALU_CYCLE_2) | instskip(SKIP_1) | instid1(SALU_CYCLE_2)
	s_cvt_u32_f32 s3, s3
	s_wait_alu 0xfffe
	s_mul_i32 s4, s4, s3
	s_delay_alu instid0(SALU_CYCLE_1) | instskip(NEXT) | instid1(SALU_CYCLE_1)
	s_mul_hi_u32 s4, s3, s4
	s_add_co_i32 s3, s3, s4
	s_wait_alu 0xfffe
	s_mul_hi_u32 s3, s5, s3
	s_wait_alu 0xfffe
	s_mul_i32 s4, s3, s2
	s_add_co_i32 s6, s3, 1
	s_sub_co_i32 s4, s5, s4
	s_delay_alu instid0(SALU_CYCLE_1)
	s_sub_co_i32 s7, s4, s2
	s_cmp_ge_u32 s4, s2
	s_cselect_b32 s3, s6, s3
	s_cselect_b32 s4, s7, s4
	s_wait_alu 0xfffe
	s_add_co_i32 s6, s3, 1
	s_cmp_ge_u32 s4, s2
	s_cselect_b32 s2, s6, s3
	s_abs_i32 s3, s31
	s_abs_i32 s8, s23
	s_wait_alu 0xfffe
	s_cvt_f32_u32 s4, s3
	s_sub_co_i32 s6, 0, s3
	s_lshl_b32 s5, s5, 3
	s_mul_i32 s7, s2, s23
	v_rcp_iflag_f32_e32 v1, s4
	s_sub_co_i32 s28, s5, s7
	s_xor_b32 s5, s23, s31
	s_wait_alu 0xfffe
	s_ashr_i32 s24, s5, 31
	s_delay_alu instid0(TRANS32_DEP_1) | instskip(SKIP_2) | instid1(SALU_CYCLE_2)
	v_readfirstlane_b32 s4, v1
	s_mul_f32 s4, s4, 0x4f7ffffe
	s_wait_alu 0xfffe
	s_cvt_u32_f32 s4, s4
	s_wait_alu 0xfffe
	s_delay_alu instid0(SALU_CYCLE_2) | instskip(NEXT) | instid1(SALU_CYCLE_1)
	s_mul_i32 s6, s6, s4
	s_mul_hi_u32 s6, s4, s6
	s_delay_alu instid0(SALU_CYCLE_1) | instskip(SKIP_4) | instid1(SALU_CYCLE_1)
	s_add_co_i32 s4, s4, s6
	s_wait_alu 0xfffe
	s_mul_hi_u32 s4, s8, s4
	s_wait_alu 0xfffe
	s_mul_i32 s6, s4, s3
	s_sub_co_i32 s5, s8, s6
	s_add_co_i32 s6, s4, 1
	s_wait_alu 0xfffe
	s_sub_co_i32 s7, s5, s3
	s_cmp_ge_u32 s5, s3
	s_cselect_b32 s4, s6, s4
	s_cselect_b32 s5, s7, s5
	s_wait_alu 0xfffe
	s_add_co_i32 s6, s4, 1
	s_cmp_ge_u32 s5, s3
	s_cselect_b32 s3, s6, s4
	s_load_b512 s[4:19], s[0:1], 0x0
	s_xor_b32 s3, s3, s24
	s_wait_alu 0xfffe
	s_sub_co_i32 s31, s3, s24
	s_delay_alu instid0(SALU_CYCLE_1) | instskip(NEXT) | instid1(SALU_CYCLE_1)
	s_abs_i32 s29, s31
	s_cvt_f32_u32 s3, s29
	s_wait_alu 0xfffe
	s_delay_alu instid0(SALU_CYCLE_2) | instskip(SKIP_2) | instid1(TRANS32_DEP_1)
	v_rcp_iflag_f32_e32 v1, s3
	s_wait_kmcnt 0x0
	s_cmp_eq_u64 s[10:11], 0
	v_readfirstlane_b32 s27, v1
	s_cbranch_scc1 .LBB71_2
; %bb.1:
	s_abs_i32 s3, s38
	s_wait_alu 0xfffe
	s_cvt_f32_u32 s24, s3
	s_delay_alu instid0(SALU_CYCLE_3) | instskip(NEXT) | instid1(TRANS32_DEP_1)
	v_rcp_iflag_f32_e32 v1, s24
	v_readfirstlane_b32 s24, v1
	s_mul_f32 s24, s24, 0x4f7ffffe
	s_wait_alu 0xfffe
	s_delay_alu instid0(SALU_CYCLE_2) | instskip(SKIP_2) | instid1(SALU_CYCLE_1)
	s_cvt_u32_f32 s26, s24
	s_sub_co_i32 s24, 0, s3
	s_wait_alu 0xfffe
	s_mul_i32 s24, s24, s26
	s_wait_alu 0xfffe
	s_mul_hi_u32 s33, s26, s24
	s_load_b64 s[24:25], s[0:1], 0xc8
	s_add_co_i32 s26, s26, s33
	s_delay_alu instid0(SALU_CYCLE_1) | instskip(NEXT) | instid1(SALU_CYCLE_1)
	s_mul_hi_u32 s26, s2, s26
	s_mul_i32 s26, s26, s3
	s_delay_alu instid0(SALU_CYCLE_1) | instskip(NEXT) | instid1(SALU_CYCLE_1)
	s_sub_co_i32 s26, s2, s26
	s_sub_co_i32 s33, s26, s3
	s_cmp_ge_u32 s26, s3
	s_cselect_b32 s26, s33, s26
	s_delay_alu instid0(SALU_CYCLE_1) | instskip(SKIP_2) | instid1(SALU_CYCLE_1)
	s_sub_co_i32 s33, s26, s3
	s_cmp_ge_u32 s26, s3
	s_cselect_b32 s34, s33, s26
	s_ashr_i32 s35, s34, 31
	s_wait_kmcnt 0x0
	s_mul_u64 s[24:25], s[24:25], s[34:35]
	s_wait_alu 0xfffe
	s_add_nc_u64 s[34:35], s[10:11], s[24:25]
.LBB71_2:
	v_bfe_u32 v1, v0, 10, 10
	s_load_b96 s[24:26], s[0:1], 0x70
	v_and_b32_e32 v25, 0x3ff, v0
	s_delay_alu instid0(VALU_DEP_2) | instskip(NEXT) | instid1(VALU_DEP_2)
	v_lshl_add_u32 v24, ttmp9, 3, v1
	v_lshlrev_b32_e32 v0, 4, v25
	s_delay_alu instid0(VALU_DEP_2) | instskip(NEXT) | instid1(VALU_DEP_1)
	v_mul_hi_u32 v2, s20, v24
	v_add_nc_u32_e32 v2, v24, v2
	s_wait_kmcnt 0x0
	s_ashr_i32 s11, s24, 31
	s_mov_b32 s10, s24
	s_delay_alu instid0(VALU_DEP_1)
	v_lshrrev_b32_e32 v2, s21, v2
	s_lshr_b64 s[20:21], s[10:11], 2
	s_lshr_b32 s3, s11, 2
	s_mul_i32 s40, s28, s25
	s_ashr_i32 s11, s25, 31
	v_mul_lo_u32 v2, v2, s22
	s_ashr_i32 s41, s40, 31
	s_mov_b32 s10, s25
	s_delay_alu instid0(VALU_DEP_1) | instskip(SKIP_1) | instid1(VALU_DEP_1)
	v_sub_nc_u32_e32 v2, v24, v2
	s_wait_alu 0xfffe
	v_mad_co_u64_u32 v[3:4], null, s20, v2, 0
	s_mul_i32 s20, s2, s26
	s_wait_alu 0xfffe
	s_ashr_i32 s21, s20, 31
	s_wait_alu 0xfffe
	s_add_nc_u64 s[4:5], s[4:5], s[20:21]
	s_and_b32 s20, s25, -4
	v_mad_co_u64_u32 v[4:5], null, s3, v2, v[4:5]
	s_wait_alu 0xfffe
	s_add_nc_u64 s[4:5], s[4:5], s[40:41]
	s_and_b32 s21, s11, 0x3fffffff
	s_lshr_b32 s3, s11, 2
	s_wait_alu 0xfffe
	s_lshl_b64 s[40:41], s[20:21], 2
	s_delay_alu instid0(VALU_DEP_1) | instskip(NEXT) | instid1(VALU_DEP_1)
	v_lshlrev_b64_e32 v[3:4], 2, v[3:4]
	v_add_co_u32 v3, vcc_lo, s4, v3
	s_delay_alu instid0(VALU_DEP_1)
	v_add_co_ci_u32_e64 v4, null, s5, v4, vcc_lo
	s_lshr_b64 s[4:5], s[10:11], 2
	v_add_co_u32 v20, vcc_lo, v3, v0
	s_wait_alu 0xfffd
	v_add_co_ci_u32_e64 v21, null, 0, v4, vcc_lo
	s_wait_alu 0xfffe
	s_lshl_b64 s[24:25], s[4:5], 3
	v_add_co_u32 v8, vcc_lo, v20, s20
	global_load_b128 v[4:7], v[20:21], off
	s_wait_alu 0xfffd
	v_add_co_ci_u32_e64 v9, null, s11, v21, vcc_lo
	v_mad_co_u64_u32 v[22:23], null, s4, 12, v[20:21]
	v_mad_co_u64_u32 v[30:31], null, s4, 20, v[20:21]
	global_load_b128 v[8:11], v[8:9], off
	v_mad_co_u64_u32 v[34:35], null, s4, 24, v[20:21]
	s_wait_alu 0xfffe
	v_add_co_u32 v12, vcc_lo, v20, s24
	s_wait_alu 0xfffd
	v_add_co_ci_u32_e64 v13, null, s25, v21, vcc_lo
	v_add_co_u32 v16, vcc_lo, v20, s40
	v_mov_b32_e32 v3, v23
	s_wait_alu 0xfffd
	v_add_co_ci_u32_e64 v17, null, s41, v21, vcc_lo
	v_mad_co_u64_u32 v[20:21], null, s4, 28, v[20:21]
	v_mov_b32_e32 v23, v31
	s_clause 0x1
	global_load_b128 v[12:15], v[12:13], off
	global_load_b128 v[16:19], v[16:17], off
	s_cmp_eq_u64 s[14:15], 0
	v_mad_co_u64_u32 v[36:37], null, s3, 28, v[21:22]
	s_wait_loadcnt 0x3
	v_mad_co_u64_u32 v[26:27], null, s3, 12, v[3:4]
	v_mov_b32_e32 v3, v35
	v_mad_co_u64_u32 v[27:28], null, s3, 20, v[23:24]
	s_delay_alu instid0(VALU_DEP_2)
	v_mad_co_u64_u32 v[32:33], null, s3, 24, v[3:4]
	s_load_b32 s3, s[0:1], 0x40
	v_lshlrev_b32_e32 v3, 3, v25
	v_mov_b32_e32 v23, v26
	s_wait_kmcnt 0x0
	v_fma_mixlo_f16 v5, s3, v5, 0
	v_fma_mixlo_f16 v4, s3, v4, 0
	;; [unrolled: 1-line block ×4, first 2 shown]
	v_mov_b32_e32 v31, v27
	v_lshlrev_b32_e32 v5, 16, v5
	v_and_b32_e32 v4, 0xffff, v4
	v_lshlrev_b32_e32 v7, 16, v7
	v_and_b32_e32 v6, 0xffff, v6
	s_wait_loadcnt 0x2
	v_fma_mixlo_f16 v8, s3, v8, 0
	v_fma_mixlo_f16 v9, s3, v9, 0
	v_mov_b32_e32 v35, v32
	v_fma_mixlo_f16 v11, s3, v11, 0
	v_mov_b32_e32 v21, v36
	s_clause 0x1
	global_load_b128 v[26:29], v[22:23], off
	global_load_b128 v[30:33], v[30:31], off
	v_or_b32_e32 v4, v5, v4
	v_or3_b32 v5, v7, v6, 0
	v_lshlrev_b32_e32 v6, 16, v9
	v_and_b32_e32 v7, 0xffff, v8
	v_lshlrev_b32_e32 v8, 16, v11
	s_clause 0x1
	global_load_b128 v[34:37], v[34:35], off
	global_load_b128 v[38:41], v[20:21], off
	v_fma_mixlo_f16 v10, s3, v10, 0
	s_wait_loadcnt 0x5
	v_fma_mixlo_f16 v12, s3, v12, 0
	v_fma_mixlo_f16 v13, s3, v13, 0
	;; [unrolled: 1-line block ×4, first 2 shown]
	s_wait_loadcnt 0x4
	v_fma_mixlo_f16 v16, s3, v16, 0
	v_fma_mixlo_f16 v17, s3, v17, 0
	;; [unrolled: 1-line block ×4, first 2 shown]
	v_and_b32_e32 v9, 0xffff, v10
	v_lshlrev_b32_e32 v10, 16, v13
	v_and_b32_e32 v11, 0xffff, v12
	v_lshlrev_b32_e32 v12, 16, v15
	v_and_b32_e32 v13, 0xffff, v14
	v_lshlrev_b32_e32 v14, 16, v17
	v_and_b32_e32 v15, 0xffff, v16
	v_lshlrev_b32_e32 v16, 16, v19
	v_and_b32_e32 v17, 0xffff, v18
	v_lshlrev_b32_e32 v21, 11, v1
	v_or_b32_e32 v6, v6, v7
	v_or3_b32 v7, v8, v9, 0
	v_or3_b32 v9, v12, v13, 0
	v_or_b32_e32 v8, v10, v11
	v_or_b32_e32 v10, v14, v15
	v_or3_b32 v11, v16, v17, 0
	v_add_nc_u32_e32 v20, v21, v3
	v_or3_b32 v4, 0, 0, v4
	v_or3_b32 v6, 0, 0, v6
	;; [unrolled: 1-line block ×4, first 2 shown]
	s_wait_loadcnt 0x3
	v_fma_mixlo_f16 v12, s3, v26, 0
	v_fma_mixlo_f16 v13, s3, v27, 0
	;; [unrolled: 1-line block ×4, first 2 shown]
	s_wait_loadcnt 0x2
	v_fma_mixlo_f16 v16, s3, v30, 0
	v_fma_mixlo_f16 v17, s3, v31, 0
	v_fma_mixlo_f16 v18, s3, v32, 0
	v_fma_mixlo_f16 v19, s3, v33, 0
	s_wait_loadcnt 0x1
	v_fma_mixlo_f16 v22, s3, v34, 0
	v_fma_mixlo_f16 v23, s3, v35, 0
	s_wait_loadcnt 0x0
	v_fma_mixlo_f16 v28, s3, v38, 0
	v_fma_mixlo_f16 v29, s3, v39, 0
	v_lshlrev_b32_e32 v13, 16, v13
	v_and_b32_e32 v12, 0xffff, v12
	v_lshlrev_b32_e32 v15, 16, v15
	v_and_b32_e32 v14, 0xffff, v14
	;; [unrolled: 2-line block ×3, first 2 shown]
	v_fma_mixlo_f16 v26, s3, v36, 0
	v_fma_mixlo_f16 v27, s3, v37, 0
	;; [unrolled: 1-line block ×4, first 2 shown]
	v_lshlrev_b32_e32 v19, 16, v19
	v_and_b32_e32 v18, 0xffff, v18
	v_lshlrev_b32_e32 v23, 16, v23
	v_and_b32_e32 v22, 0xffff, v22
	;; [unrolled: 2-line block ×3, first 2 shown]
	v_or_b32_e32 v12, v13, v12
	v_or3_b32 v13, v15, v14, 0
	v_or_b32_e32 v14, v17, v16
	v_lshlrev_b32_e32 v27, 16, v27
	v_and_b32_e32 v26, 0xffff, v26
	v_lshlrev_b32_e32 v31, 16, v31
	v_and_b32_e32 v30, 0xffff, v30
	v_or3_b32 v15, v19, v18, 0
	v_or_b32_e32 v16, v23, v22
	v_or_b32_e32 v18, v29, v28
	v_or3_b32 v12, 0, 0, v12
	v_or3_b32 v14, 0, 0, v14
	;; [unrolled: 1-line block ×6, first 2 shown]
	ds_store_2addr_b64 v20, v[4:5], v[6:7] offset1:32
	ds_store_2addr_b64 v20, v[8:9], v[12:13] offset0:64 offset1:96
	ds_store_2addr_b64 v20, v[10:11], v[14:15] offset0:128 offset1:160
	;; [unrolled: 1-line block ×3, first 2 shown]
	s_wait_dscnt 0x0
	s_barrier_signal -1
	s_barrier_wait -1
	global_inv scope:SCOPE_SE
	s_cbranch_scc1 .LBB71_4
; %bb.3:
	s_load_b32 s3, s[0:1], 0xd0
	s_mov_b32 s5, 0
	s_wait_kmcnt 0x0
	s_mul_i32 s3, s3, s2
	s_wait_alu 0xfffe
	s_add_co_i32 s4, s3, ttmp9
	s_wait_alu 0xfffe
	s_lshl_b64 s[4:5], s[4:5], 2
	s_wait_alu 0xfffe
	s_add_nc_u64 s[4:5], s[14:15], s[4:5]
	s_load_b32 s30, s[4:5], 0x0
.LBB71_4:
	s_and_b32 s4, ttmp7, 0xffff
	v_mbcnt_lo_u32_b32 v23, -1, 0
	s_wait_alu 0xfffe
	s_lshl_b32 s10, s4, 6
	s_wait_kmcnt 0x0
	s_wait_alu 0xfffe
	s_cmp_lt_i32 s10, s30
	s_cbranch_scc1 .LBB71_7
; %bb.5:
	v_mbcnt_lo_u32_b32 v8, -1, 0
	v_mov_b32_e32 v22, 32
	s_delay_alu instid0(VALU_DEP_2)
	v_xor_b32_e32 v67, 16, v8
	v_xor_b32_e32 v65, 8, v8
	;; [unrolled: 1-line block ×5, first 2 shown]
	v_lshlrev_b32_e32 v28, 2, v25
	s_mov_b32 s3, 0
	s_cbranch_execz .LBB71_8
; %bb.6:
	v_dual_mov_b32 v51, 0 :: v_dual_mov_b32 v6, 0xfeffffff
	v_dual_mov_b32 v75, 0 :: v_dual_mov_b32 v4, 0xfeffffff
	;; [unrolled: 1-line block ×16, first 2 shown]
	s_branch .LBB71_76
.LBB71_7:
                                        ; implicit-def: $vgpr8
                                        ; implicit-def: $vgpr22
                                        ; implicit-def: $vgpr67
                                        ; implicit-def: $vgpr65
                                        ; implicit-def: $vgpr64
                                        ; implicit-def: $vgpr63
                                        ; implicit-def: $vgpr61
	v_lshlrev_b32_e32 v28, 2, v25
	s_mov_b32 s3, 0
.LBB71_8:
	s_mul_f32 s5, s27, 0x4f7ffffe
	s_clause 0x1
	s_load_b128 s[24:27], s[0:1], 0x98
	s_load_b64 s[20:21], s[0:1], 0x8c
	s_sub_co_i32 s14, 0, s29
	v_lshrrev_b32_e32 v4, 3, v25
	s_cvt_u32_f32 s11, s5
	v_lshrrev_b32_e32 v7, 4, v25
	s_clause 0x1
	s_load_b32 s5, s[0:1], 0x54
	s_load_b64 s[40:41], s[0:1], 0xa8
	s_mul_i32 s14, s14, s11
	s_abs_i32 s36, s28
	s_mul_hi_u32 s14, s11, s14
	s_mov_b32 s15, s37
	s_add_co_i32 s14, s11, s14
	v_lshl_add_u32 v5, v1, 2, v4
	v_lshl_add_u32 v10, v1, 1, v7
	v_dual_mov_b32 v66, 0xfeffffff :: v_dual_and_b32 v15, 28, v28
	s_ashr_i32 s33, s28, 31
	s_ashr_i32 s11, s31, 31
	s_mul_u64 s[14:15], s[36:37], s[14:15]
	s_wait_kmcnt 0x0
	s_ashr_i32 s14, s26, 2
	s_ashr_i32 s20, s20, 2
	v_dual_mov_b32 v22, 32 :: v_dual_and_b32 v19, 60, v28
	s_wait_alu 0xfffe
	s_xor_b32 s11, s33, s11
	s_mul_i32 s33, s15, s29
	v_mul_lo_u32 v4, s20, v5
	v_mul_lo_u32 v8, s14, v10
	s_sub_co_i32 s26, s36, s33
	v_dual_mov_b32 v37, 0 :: v_dual_lshlrev_b32 v6, 2, v15
	s_ashr_i32 s31, s39, 1
	s_add_co_i32 s37, s15, 1
	s_sub_co_i32 s33, s26, s29
	v_dual_mov_b32 v38, 0 :: v_dual_lshlrev_b32 v11, 2, v19
	s_cmp_ge_u32 s26, s29
	v_mad_u32_u24 v9, 0x90, v5, v6
	s_cselect_b32 s15, s37, s15
	s_cselect_b32 s26, s33, s26
	s_wait_alu 0xfffe
	s_add_co_i32 s33, s15, 1
	v_lshl_add_u32 v6, s20, 5, v4
	v_lshl_or_b32 v11, v10, 8, v11
	v_lshl_add_u32 v10, s14, 4, v8
	s_cmp_ge_u32 s26, s29
	v_dual_mov_b32 v39, 0 :: v_dual_add_nc_u32 v26, 0x4000, v9
	s_cselect_b32 s15, s33, s15
	v_ashrrev_i32_e32 v5, 31, v4
	s_wait_alu 0xfffe
	s_xor_b32 s15, s15, s11
	v_dual_mov_b32 v40, 0 :: v_dual_add_nc_u32 v27, 0x5200, v9
	v_ashrrev_i32_e32 v7, 31, v6
	v_dual_mov_b32 v42, 0 :: v_dual_add_nc_u32 v31, 0x4000, v11
	v_ashrrev_i32_e32 v9, 31, v8
	;; [unrolled: 2-line block ×3, first 2 shown]
	v_lshl_add_u32 v30, v1, 10, 0x6400
	s_mul_u64 s[24:25], s[24:25], s[2:3]
	s_mul_u64 s[36:37], s[40:41], s[2:3]
	s_wait_alu 0xfffe
	s_sub_co_i32 s3, s15, s11
	v_mad_co_u64_u32 v[12:13], null, v2, s31, v[25:26]
	s_add_nc_u64 s[6:7], s[6:7], s[24:25]
	s_wait_alu 0xfffe
	s_mul_i32 s24, s3, s21
	s_mul_i32 s26, s3, s27
	s_movk_i32 s3, 0x4000
	v_lshlrev_b64_e32 v[13:14], 2, v[4:5]
	v_dual_mov_b32 v43, 0 :: v_dual_lshlrev_b32 v34, 2, v15
	v_lshlrev_b64_e32 v[15:16], 2, v[6:7]
	v_lshlrev_b64_e32 v[17:18], 2, v[8:9]
	v_dual_mov_b32 v45, 0 :: v_dual_lshlrev_b32 v36, 2, v19
	v_lshlrev_b64_e32 v[19:20], 2, v[10:11]
	s_wait_alu 0xfffe
	v_mad_u32_u24 v29, 0x90, v25, s3
	v_or_b32_e32 v33, 0x4000, v3
	v_dual_mov_b32 v44, 0 :: v_dual_add_nc_u32 v35, v30, v0
	v_dual_mov_b32 v46, 0 :: v_dual_mov_b32 v47, 0
	v_dual_mov_b32 v48, 0 :: v_dual_mov_b32 v49, 0
	;; [unrolled: 1-line block ×10, first 2 shown]
	v_mov_b32_e32 v10, 0
	v_mov_b32_e32 v8, 0
	s_add_nc_u64 s[8:9], s[8:9], s[36:37]
	s_ashr_i32 s25, s24, 31
	s_ashr_i32 s27, s26, 31
	s_wait_alu 0xfffe
	s_add_nc_u64 s[6:7], s[6:7], s[24:25]
	s_add_nc_u64 s[8:9], s[8:9], s[26:27]
	s_ashr_i32 s21, s20, 31
	s_ashr_i32 s15, s14, 31
	s_add_nc_u64 s[24:25], s[0:1], 0xd0
	s_mov_b32 s3, 0xbbbac73d
.LBB71_9:                               ; =>This Inner Loop Header: Depth=1
	s_ashr_i32 s11, s10, 31
	v_dual_mov_b32 v61, 0 :: v_dual_mov_b32 v70, 0
	s_wait_alu 0xfffe
	s_mul_u64 s[26:27], s[10:11], s[20:21]
	v_dual_mov_b32 v77, 0 :: v_dual_mov_b32 v6, 0
	s_wait_alu 0xfffe
	s_lshl_b64 s[26:27], s[26:27], 2
	v_dual_mov_b32 v75, 0 :: v_dual_mov_b32 v4, 0
	s_wait_alu 0xfffe
	s_add_nc_u64 s[26:27], s[6:7], s[26:27]
	v_mov_b32_e32 v73, 0
	s_wait_alu 0xfffe
	v_add_co_u32 v0, vcc_lo, s26, v13
	s_wait_alu 0xfffd
	v_add_co_ci_u32_e64 v1, null, s27, v14, vcc_lo
	v_add_co_u32 v2, vcc_lo, s26, v15
	s_wait_alu 0xfffd
	v_add_co_ci_u32_e64 v3, null, s27, v16, vcc_lo
	;; [unrolled: 3-line block ×4, first 2 shown]
	s_clause 0x1
	global_load_b128 v[78:81], v[0:1], off
	global_load_b128 v[82:85], v[2:3], off
	v_dual_mov_b32 v71, 0 :: v_dual_mov_b32 v76, 0
	v_dual_mov_b32 v63, 0 :: v_dual_mov_b32 v74, 0
	v_mov_b32_e32 v69, 0
	v_mov_b32_e32 v5, 0
	s_wait_loadcnt 0x1
	ds_store_b128 v26, v[78:81]
	s_wait_loadcnt 0x0
	ds_store_b128 v27, v[82:85]
	s_wait_dscnt 0x0
	s_barrier_signal -1
	s_barrier_wait -1
	global_inv scope:SCOPE_SE
	ds_load_b128 v[80:83], v29
	ds_load_b128 v[84:87], v21
	ds_load_b128 v[88:91], v21 offset:256
	ds_load_b128 v[92:95], v21 offset:512
	;; [unrolled: 1-line block ×8, first 2 shown]
	v_dual_mov_b32 v78, 0 :: v_dual_mov_b32 v79, 0
	v_mov_b32_e32 v72, 0
	s_wait_dscnt 0x8
	;;#ASMSTART
	v_dot2_f32_f16 v61, v80, v84, v61
	;;#ASMEND
	;;#ASMSTART
	v_dot2_f32_f16 v61, v81, v85, v61
	;;#ASMEND
	;;#ASMSTART
	v_dot2_f32_f16 v61, v82, v86, v61
	;;#ASMEND
	;;#ASMSTART
	v_dot2_f32_f16 v61, v83, v87, v61
	;;#ASMEND
	s_wait_dscnt 0x7
	;;#ASMSTART
	v_dot2_f32_f16 v77, v80, v88, v77
	;;#ASMEND
	;;#ASMSTART
	v_dot2_f32_f16 v77, v81, v89, v77
	;;#ASMEND
	;;#ASMSTART
	v_dot2_f32_f16 v77, v82, v90, v77
	;;#ASMEND
	;;#ASMSTART
	v_dot2_f32_f16 v77, v83, v91, v77
	;;#ASMEND
	;; [unrolled: 13-line block ×8, first 2 shown]
	;;#ASMSTART
	v_dot2_f32_f16 v63, v100, v84, v63
	;;#ASMEND
	;;#ASMSTART
	v_dot2_f32_f16 v63, v101, v85, v63
	;;#ASMEND
	;; [unrolled: 3-line block ×32, first 2 shown]
	ds_load_b128 v[80:83], v29 offset:16
	ds_load_b128 v[84:87], v21 offset:16
	;; [unrolled: 1-line block ×10, first 2 shown]
	s_wait_dscnt 0x8
	;;#ASMSTART
	v_dot2_f32_f16 v61, v80, v84, v61
	;;#ASMEND
	;;#ASMSTART
	v_dot2_f32_f16 v61, v81, v85, v61
	;;#ASMEND
	;;#ASMSTART
	v_dot2_f32_f16 v61, v82, v86, v61
	;;#ASMEND
	;;#ASMSTART
	v_dot2_f32_f16 v61, v83, v87, v61
	;;#ASMEND
	s_wait_dscnt 0x7
	;;#ASMSTART
	v_dot2_f32_f16 v77, v80, v88, v77
	;;#ASMEND
	;;#ASMSTART
	v_dot2_f32_f16 v77, v81, v89, v77
	;;#ASMEND
	;;#ASMSTART
	v_dot2_f32_f16 v77, v82, v90, v77
	;;#ASMEND
	;;#ASMSTART
	v_dot2_f32_f16 v77, v83, v91, v77
	;;#ASMEND
	s_wait_dscnt 0x6
	;;#ASMSTART
	v_dot2_f32_f16 v75, v80, v92, v75
	;;#ASMEND
	;;#ASMSTART
	v_dot2_f32_f16 v75, v81, v93, v75
	;;#ASMEND
	;;#ASMSTART
	v_dot2_f32_f16 v75, v82, v94, v75
	;;#ASMEND
	;;#ASMSTART
	v_dot2_f32_f16 v75, v83, v95, v75
	;;#ASMEND
	s_wait_dscnt 0x5
	;;#ASMSTART
	v_dot2_f32_f16 v73, v80, v96, v73
	;;#ASMEND
	;;#ASMSTART
	v_dot2_f32_f16 v73, v81, v97, v73
	;;#ASMEND
	;;#ASMSTART
	v_dot2_f32_f16 v73, v82, v98, v73
	;;#ASMEND
	;;#ASMSTART
	v_dot2_f32_f16 v73, v83, v99, v73
	;;#ASMEND
	s_wait_dscnt 0x3
	;;#ASMSTART
	v_dot2_f32_f16 v71, v80, v104, v71
	;;#ASMEND
	;;#ASMSTART
	v_dot2_f32_f16 v71, v81, v105, v71
	;;#ASMEND
	;;#ASMSTART
	v_dot2_f32_f16 v71, v82, v106, v71
	;;#ASMEND
	;;#ASMSTART
	v_dot2_f32_f16 v71, v83, v107, v71
	;;#ASMEND
	s_wait_dscnt 0x2
	;;#ASMSTART
	v_dot2_f32_f16 v70, v80, v108, v70
	;;#ASMEND
	;;#ASMSTART
	v_dot2_f32_f16 v70, v81, v109, v70
	;;#ASMEND
	;;#ASMSTART
	v_dot2_f32_f16 v70, v82, v110, v70
	;;#ASMEND
	;;#ASMSTART
	v_dot2_f32_f16 v70, v83, v111, v70
	;;#ASMEND
	s_wait_dscnt 0x1
	;;#ASMSTART
	v_dot2_f32_f16 v6, v80, v112, v6
	;;#ASMEND
	;;#ASMSTART
	v_dot2_f32_f16 v6, v81, v113, v6
	;;#ASMEND
	;;#ASMSTART
	v_dot2_f32_f16 v6, v82, v114, v6
	;;#ASMEND
	;;#ASMSTART
	v_dot2_f32_f16 v6, v83, v115, v6
	;;#ASMEND
	s_wait_dscnt 0x0
	;;#ASMSTART
	v_dot2_f32_f16 v4, v80, v116, v4
	;;#ASMEND
	;;#ASMSTART
	v_dot2_f32_f16 v4, v81, v117, v4
	;;#ASMEND
	;;#ASMSTART
	v_dot2_f32_f16 v4, v82, v118, v4
	;;#ASMEND
	;;#ASMSTART
	v_dot2_f32_f16 v4, v83, v119, v4
	;;#ASMEND
	;;#ASMSTART
	v_dot2_f32_f16 v63, v100, v84, v63
	;;#ASMEND
	;;#ASMSTART
	v_dot2_f32_f16 v63, v101, v85, v63
	;;#ASMEND
	;;#ASMSTART
	v_dot2_f32_f16 v63, v102, v86, v63
	;;#ASMEND
	;;#ASMSTART
	v_dot2_f32_f16 v63, v103, v87, v63
	;;#ASMEND
	;;#ASMSTART
	v_dot2_f32_f16 v79, v100, v88, v79
	;;#ASMEND
	;;#ASMSTART
	v_dot2_f32_f16 v79, v101, v89, v79
	;;#ASMEND
	;;#ASMSTART
	v_dot2_f32_f16 v79, v102, v90, v79
	;;#ASMEND
	;;#ASMSTART
	v_dot2_f32_f16 v79, v103, v91, v79
	;;#ASMEND
	;;#ASMSTART
	v_dot2_f32_f16 v78, v100, v92, v78
	;;#ASMEND
	;;#ASMSTART
	v_dot2_f32_f16 v78, v101, v93, v78
	;;#ASMEND
	;;#ASMSTART
	v_dot2_f32_f16 v78, v102, v94, v78
	;;#ASMEND
	;;#ASMSTART
	v_dot2_f32_f16 v78, v103, v95, v78
	;;#ASMEND
	;;#ASMSTART
	v_dot2_f32_f16 v76, v100, v96, v76
	;;#ASMEND
	;;#ASMSTART
	v_dot2_f32_f16 v76, v101, v97, v76
	;;#ASMEND
	;;#ASMSTART
	v_dot2_f32_f16 v76, v102, v98, v76
	;;#ASMEND
	;;#ASMSTART
	v_dot2_f32_f16 v76, v103, v99, v76
	;;#ASMEND
	;;#ASMSTART
	v_dot2_f32_f16 v74, v100, v104, v74
	;;#ASMEND
	;;#ASMSTART
	v_dot2_f32_f16 v74, v101, v105, v74
	;;#ASMEND
	;;#ASMSTART
	v_dot2_f32_f16 v74, v102, v106, v74
	;;#ASMEND
	;;#ASMSTART
	v_dot2_f32_f16 v74, v103, v107, v74
	;;#ASMEND
	;;#ASMSTART
	v_dot2_f32_f16 v72, v100, v108, v72
	;;#ASMEND
	;;#ASMSTART
	v_dot2_f32_f16 v72, v101, v109, v72
	;;#ASMEND
	;;#ASMSTART
	v_dot2_f32_f16 v72, v102, v110, v72
	;;#ASMEND
	;;#ASMSTART
	v_dot2_f32_f16 v72, v103, v111, v72
	;;#ASMEND
	;;#ASMSTART
	v_dot2_f32_f16 v69, v100, v112, v69
	;;#ASMEND
	;;#ASMSTART
	v_dot2_f32_f16 v69, v101, v113, v69
	;;#ASMEND
	;;#ASMSTART
	v_dot2_f32_f16 v69, v102, v114, v69
	;;#ASMEND
	;;#ASMSTART
	v_dot2_f32_f16 v69, v103, v115, v69
	;;#ASMEND
	;;#ASMSTART
	v_dot2_f32_f16 v5, v100, v116, v5
	;;#ASMEND
	;;#ASMSTART
	v_dot2_f32_f16 v5, v101, v117, v5
	;;#ASMEND
	;;#ASMSTART
	v_dot2_f32_f16 v5, v102, v118, v5
	;;#ASMEND
	;;#ASMSTART
	v_dot2_f32_f16 v5, v103, v119, v5
	;;#ASMEND
	ds_load_b128 v[80:83], v29 offset:32
	ds_load_b128 v[84:87], v21 offset:32
	;; [unrolled: 1-line block ×10, first 2 shown]
	s_wait_dscnt 0x8
	;;#ASMSTART
	v_dot2_f32_f16 v61, v80, v84, v61
	;;#ASMEND
	;;#ASMSTART
	v_dot2_f32_f16 v61, v81, v85, v61
	;;#ASMEND
	;;#ASMSTART
	v_dot2_f32_f16 v61, v82, v86, v61
	;;#ASMEND
	;;#ASMSTART
	v_dot2_f32_f16 v61, v83, v87, v61
	;;#ASMEND
	s_wait_dscnt 0x7
	;;#ASMSTART
	v_dot2_f32_f16 v77, v80, v88, v77
	;;#ASMEND
	;;#ASMSTART
	v_dot2_f32_f16 v77, v81, v89, v77
	;;#ASMEND
	;;#ASMSTART
	v_dot2_f32_f16 v77, v82, v90, v77
	;;#ASMEND
	;;#ASMSTART
	v_dot2_f32_f16 v77, v83, v91, v77
	;;#ASMEND
	;; [unrolled: 13-line block ×8, first 2 shown]
	;;#ASMSTART
	v_dot2_f32_f16 v63, v100, v84, v63
	;;#ASMEND
	;;#ASMSTART
	v_dot2_f32_f16 v63, v101, v85, v63
	;;#ASMEND
	;; [unrolled: 3-line block ×32, first 2 shown]
	ds_load_b128 v[80:83], v29 offset:48
	ds_load_b128 v[84:87], v21 offset:48
	;; [unrolled: 1-line block ×10, first 2 shown]
	s_wait_dscnt 0x8
	;;#ASMSTART
	v_dot2_f32_f16 v61, v80, v84, v61
	;;#ASMEND
	;;#ASMSTART
	v_dot2_f32_f16 v61, v81, v85, v61
	;;#ASMEND
	;;#ASMSTART
	v_dot2_f32_f16 v61, v82, v86, v61
	;;#ASMEND
	;;#ASMSTART
	v_dot2_f32_f16 v61, v83, v87, v61
	;;#ASMEND
	s_wait_dscnt 0x7
	;;#ASMSTART
	v_dot2_f32_f16 v77, v80, v88, v77
	;;#ASMEND
	;;#ASMSTART
	v_dot2_f32_f16 v77, v81, v89, v77
	;;#ASMEND
	;;#ASMSTART
	v_dot2_f32_f16 v77, v82, v90, v77
	;;#ASMEND
	;;#ASMSTART
	v_dot2_f32_f16 v77, v83, v91, v77
	;;#ASMEND
	;; [unrolled: 13-line block ×8, first 2 shown]
	;;#ASMSTART
	v_dot2_f32_f16 v63, v100, v84, v63
	;;#ASMEND
	;;#ASMSTART
	v_dot2_f32_f16 v63, v101, v85, v63
	;;#ASMEND
	;; [unrolled: 3-line block ×32, first 2 shown]
	ds_load_b128 v[80:83], v29 offset:64
	ds_load_b128 v[84:87], v21 offset:64
	;; [unrolled: 1-line block ×10, first 2 shown]
	s_wait_dscnt 0x8
	;;#ASMSTART
	v_dot2_f32_f16 v61, v80, v84, v61
	;;#ASMEND
	;;#ASMSTART
	v_dot2_f32_f16 v61, v81, v85, v61
	;;#ASMEND
	;;#ASMSTART
	v_dot2_f32_f16 v61, v82, v86, v61
	;;#ASMEND
	;;#ASMSTART
	v_dot2_f32_f16 v61, v83, v87, v61
	;;#ASMEND
	s_wait_dscnt 0x7
	;;#ASMSTART
	v_dot2_f32_f16 v77, v80, v88, v77
	;;#ASMEND
	;;#ASMSTART
	v_dot2_f32_f16 v77, v81, v89, v77
	;;#ASMEND
	;;#ASMSTART
	v_dot2_f32_f16 v77, v82, v90, v77
	;;#ASMEND
	;;#ASMSTART
	v_dot2_f32_f16 v77, v83, v91, v77
	;;#ASMEND
	;; [unrolled: 13-line block ×8, first 2 shown]
	;;#ASMSTART
	v_dot2_f32_f16 v63, v100, v84, v63
	;;#ASMEND
	;;#ASMSTART
	v_dot2_f32_f16 v63, v101, v85, v63
	;;#ASMEND
	;; [unrolled: 3-line block ×32, first 2 shown]
	ds_load_b128 v[80:83], v29 offset:80
	ds_load_b128 v[84:87], v21 offset:80
	;; [unrolled: 1-line block ×10, first 2 shown]
	s_wait_dscnt 0x8
	;;#ASMSTART
	v_dot2_f32_f16 v61, v80, v84, v61
	;;#ASMEND
	;;#ASMSTART
	v_dot2_f32_f16 v61, v81, v85, v61
	;;#ASMEND
	;;#ASMSTART
	v_dot2_f32_f16 v61, v82, v86, v61
	;;#ASMEND
	;;#ASMSTART
	v_dot2_f32_f16 v61, v83, v87, v61
	;;#ASMEND
	s_wait_dscnt 0x7
	;;#ASMSTART
	v_dot2_f32_f16 v77, v80, v88, v77
	;;#ASMEND
	;;#ASMSTART
	v_dot2_f32_f16 v77, v81, v89, v77
	;;#ASMEND
	;;#ASMSTART
	v_dot2_f32_f16 v77, v82, v90, v77
	;;#ASMEND
	;;#ASMSTART
	v_dot2_f32_f16 v77, v83, v91, v77
	;;#ASMEND
	;; [unrolled: 13-line block ×8, first 2 shown]
	;;#ASMSTART
	v_dot2_f32_f16 v63, v100, v84, v63
	;;#ASMEND
	;;#ASMSTART
	v_dot2_f32_f16 v63, v101, v85, v63
	;;#ASMEND
	;; [unrolled: 3-line block ×32, first 2 shown]
	ds_load_b128 v[80:83], v29 offset:96
	ds_load_b128 v[84:87], v21 offset:96
	;; [unrolled: 1-line block ×10, first 2 shown]
	s_wait_dscnt 0x8
	;;#ASMSTART
	v_dot2_f32_f16 v61, v80, v84, v61
	;;#ASMEND
	;;#ASMSTART
	v_dot2_f32_f16 v61, v81, v85, v61
	;;#ASMEND
	;;#ASMSTART
	v_dot2_f32_f16 v61, v82, v86, v61
	;;#ASMEND
	;;#ASMSTART
	v_dot2_f32_f16 v61, v83, v87, v61
	;;#ASMEND
	s_wait_dscnt 0x7
	;;#ASMSTART
	v_dot2_f32_f16 v77, v80, v88, v77
	;;#ASMEND
	;;#ASMSTART
	v_dot2_f32_f16 v77, v81, v89, v77
	;;#ASMEND
	;;#ASMSTART
	v_dot2_f32_f16 v77, v82, v90, v77
	;;#ASMEND
	;;#ASMSTART
	v_dot2_f32_f16 v77, v83, v91, v77
	;;#ASMEND
	;; [unrolled: 13-line block ×8, first 2 shown]
	;;#ASMSTART
	v_dot2_f32_f16 v63, v100, v84, v63
	;;#ASMEND
	;;#ASMSTART
	v_dot2_f32_f16 v63, v101, v85, v63
	;;#ASMEND
	;; [unrolled: 3-line block ×32, first 2 shown]
	ds_load_b128 v[80:83], v29 offset:112
	ds_load_b128 v[84:87], v21 offset:112
	;; [unrolled: 1-line block ×10, first 2 shown]
	s_wait_dscnt 0x8
	;;#ASMSTART
	v_dot2_f32_f16 v61, v80, v84, v61
	;;#ASMEND
	;;#ASMSTART
	v_dot2_f32_f16 v61, v81, v85, v61
	;;#ASMEND
	;;#ASMSTART
	v_dot2_f32_f16 v61, v82, v86, v61
	;;#ASMEND
	;;#ASMSTART
	v_dot2_f32_f16 v61, v83, v87, v61
	;;#ASMEND
	s_wait_dscnt 0x7
	;;#ASMSTART
	v_dot2_f32_f16 v77, v80, v88, v77
	;;#ASMEND
	;;#ASMSTART
	v_dot2_f32_f16 v77, v81, v89, v77
	;;#ASMEND
	;;#ASMSTART
	v_dot2_f32_f16 v77, v82, v90, v77
	;;#ASMEND
	;;#ASMSTART
	v_dot2_f32_f16 v77, v83, v91, v77
	;;#ASMEND
	;; [unrolled: 13-line block ×8, first 2 shown]
	;;#ASMSTART
	v_dot2_f32_f16 v63, v100, v84, v63
	;;#ASMEND
	;;#ASMSTART
	v_dot2_f32_f16 v63, v101, v85, v63
	;;#ASMEND
	;; [unrolled: 3-line block ×32, first 2 shown]
	s_wait_loadcnt 0x0
	s_barrier_signal -1
	s_barrier_wait -1
	global_inv scope:SCOPE_SE
	s_clause 0x1
	global_load_b128 v[80:83], v[0:1], off offset:128
	global_load_b128 v[0:3], v[2:3], off offset:128
	s_wait_loadcnt 0x1
	ds_store_b128 v26, v[80:83]
	s_wait_loadcnt 0x0
	ds_store_b128 v27, v[0:3]
	s_wait_dscnt 0x0
	s_barrier_signal -1
	s_barrier_wait -1
	global_inv scope:SCOPE_SE
	ds_load_b128 v[0:3], v29
	ds_load_b128 v[80:83], v21 offset:128
	ds_load_b128 v[84:87], v21 offset:384
	;; [unrolled: 1-line block ×9, first 2 shown]
	s_wait_dscnt 0x8
	;;#ASMSTART
	v_dot2_f32_f16 v61, v0, v80, v61
	;;#ASMEND
	;;#ASMSTART
	v_dot2_f32_f16 v61, v1, v81, v61
	;;#ASMEND
	;;#ASMSTART
	v_dot2_f32_f16 v61, v2, v82, v61
	;;#ASMEND
	;;#ASMSTART
	v_dot2_f32_f16 v61, v3, v83, v61
	;;#ASMEND
	s_wait_dscnt 0x7
	;;#ASMSTART
	v_dot2_f32_f16 v77, v0, v84, v77
	;;#ASMEND
	;;#ASMSTART
	v_dot2_f32_f16 v77, v1, v85, v77
	;;#ASMEND
	;;#ASMSTART
	v_dot2_f32_f16 v77, v2, v86, v77
	;;#ASMEND
	;;#ASMSTART
	v_dot2_f32_f16 v77, v3, v87, v77
	;;#ASMEND
	;; [unrolled: 13-line block ×8, first 2 shown]
	;;#ASMSTART
	v_dot2_f32_f16 v63, v96, v80, v63
	;;#ASMEND
	;;#ASMSTART
	v_dot2_f32_f16 v63, v97, v81, v63
	;;#ASMEND
	;; [unrolled: 3-line block ×32, first 2 shown]
	ds_load_b128 v[0:3], v29 offset:16
	ds_load_b128 v[80:83], v21 offset:144
	ds_load_b128 v[84:87], v21 offset:400
	ds_load_b128 v[88:91], v21 offset:656
	ds_load_b128 v[92:95], v21 offset:912
	ds_load_b128 v[96:99], v29 offset:4624
	ds_load_b128 v[100:103], v21 offset:1168
	ds_load_b128 v[104:107], v21 offset:1424
	ds_load_b128 v[108:111], v21 offset:1680
	ds_load_b128 v[112:115], v21 offset:1936
	s_wait_dscnt 0x8
	;;#ASMSTART
	v_dot2_f32_f16 v61, v0, v80, v61
	;;#ASMEND
	;;#ASMSTART
	v_dot2_f32_f16 v61, v1, v81, v61
	;;#ASMEND
	;;#ASMSTART
	v_dot2_f32_f16 v61, v2, v82, v61
	;;#ASMEND
	;;#ASMSTART
	v_dot2_f32_f16 v61, v3, v83, v61
	;;#ASMEND
	s_wait_dscnt 0x7
	;;#ASMSTART
	v_dot2_f32_f16 v77, v0, v84, v77
	;;#ASMEND
	;;#ASMSTART
	v_dot2_f32_f16 v77, v1, v85, v77
	;;#ASMEND
	;;#ASMSTART
	v_dot2_f32_f16 v77, v2, v86, v77
	;;#ASMEND
	;;#ASMSTART
	v_dot2_f32_f16 v77, v3, v87, v77
	;;#ASMEND
	;; [unrolled: 13-line block ×8, first 2 shown]
	;;#ASMSTART
	v_dot2_f32_f16 v63, v96, v80, v63
	;;#ASMEND
	;;#ASMSTART
	v_dot2_f32_f16 v63, v97, v81, v63
	;;#ASMEND
	;; [unrolled: 3-line block ×32, first 2 shown]
	ds_load_b128 v[0:3], v29 offset:32
	ds_load_b128 v[80:83], v21 offset:160
	;; [unrolled: 1-line block ×10, first 2 shown]
	s_wait_dscnt 0x8
	;;#ASMSTART
	v_dot2_f32_f16 v61, v0, v80, v61
	;;#ASMEND
	;;#ASMSTART
	v_dot2_f32_f16 v61, v1, v81, v61
	;;#ASMEND
	;;#ASMSTART
	v_dot2_f32_f16 v61, v2, v82, v61
	;;#ASMEND
	;;#ASMSTART
	v_dot2_f32_f16 v61, v3, v83, v61
	;;#ASMEND
	s_wait_dscnt 0x7
	;;#ASMSTART
	v_dot2_f32_f16 v77, v0, v84, v77
	;;#ASMEND
	;;#ASMSTART
	v_dot2_f32_f16 v77, v1, v85, v77
	;;#ASMEND
	;;#ASMSTART
	v_dot2_f32_f16 v77, v2, v86, v77
	;;#ASMEND
	;;#ASMSTART
	v_dot2_f32_f16 v77, v3, v87, v77
	;;#ASMEND
	s_wait_dscnt 0x6
	;;#ASMSTART
	v_dot2_f32_f16 v75, v0, v88, v75
	;;#ASMEND
	;;#ASMSTART
	v_dot2_f32_f16 v75, v1, v89, v75
	;;#ASMEND
	;;#ASMSTART
	v_dot2_f32_f16 v75, v2, v90, v75
	;;#ASMEND
	;;#ASMSTART
	v_dot2_f32_f16 v75, v3, v91, v75
	;;#ASMEND
	s_wait_dscnt 0x5
	;;#ASMSTART
	v_dot2_f32_f16 v73, v0, v92, v73
	;;#ASMEND
	;;#ASMSTART
	v_dot2_f32_f16 v73, v1, v93, v73
	;;#ASMEND
	;;#ASMSTART
	v_dot2_f32_f16 v73, v2, v94, v73
	;;#ASMEND
	;;#ASMSTART
	v_dot2_f32_f16 v73, v3, v95, v73
	;;#ASMEND
	s_wait_dscnt 0x3
	;;#ASMSTART
	v_dot2_f32_f16 v71, v0, v100, v71
	;;#ASMEND
	;;#ASMSTART
	v_dot2_f32_f16 v71, v1, v101, v71
	;;#ASMEND
	;;#ASMSTART
	v_dot2_f32_f16 v71, v2, v102, v71
	;;#ASMEND
	;;#ASMSTART
	v_dot2_f32_f16 v71, v3, v103, v71
	;;#ASMEND
	s_wait_dscnt 0x2
	;;#ASMSTART
	v_dot2_f32_f16 v70, v0, v104, v70
	;;#ASMEND
	;;#ASMSTART
	v_dot2_f32_f16 v70, v1, v105, v70
	;;#ASMEND
	;;#ASMSTART
	v_dot2_f32_f16 v70, v2, v106, v70
	;;#ASMEND
	;;#ASMSTART
	v_dot2_f32_f16 v70, v3, v107, v70
	;;#ASMEND
	s_wait_dscnt 0x1
	;;#ASMSTART
	v_dot2_f32_f16 v6, v0, v108, v6
	;;#ASMEND
	;;#ASMSTART
	v_dot2_f32_f16 v6, v1, v109, v6
	;;#ASMEND
	;;#ASMSTART
	v_dot2_f32_f16 v6, v2, v110, v6
	;;#ASMEND
	;;#ASMSTART
	v_dot2_f32_f16 v6, v3, v111, v6
	;;#ASMEND
	s_wait_dscnt 0x0
	;;#ASMSTART
	v_dot2_f32_f16 v4, v0, v112, v4
	;;#ASMEND
	;;#ASMSTART
	v_dot2_f32_f16 v4, v1, v113, v4
	;;#ASMEND
	;;#ASMSTART
	v_dot2_f32_f16 v4, v2, v114, v4
	;;#ASMEND
	;;#ASMSTART
	v_dot2_f32_f16 v4, v3, v115, v4
	;;#ASMEND
	;;#ASMSTART
	v_dot2_f32_f16 v63, v96, v80, v63
	;;#ASMEND
	;;#ASMSTART
	v_dot2_f32_f16 v63, v97, v81, v63
	;;#ASMEND
	;; [unrolled: 3-line block ×32, first 2 shown]
	ds_load_b128 v[0:3], v29 offset:48
	ds_load_b128 v[80:83], v21 offset:176
	;; [unrolled: 1-line block ×10, first 2 shown]
	s_wait_dscnt 0x8
	;;#ASMSTART
	v_dot2_f32_f16 v61, v0, v80, v61
	;;#ASMEND
	;;#ASMSTART
	v_dot2_f32_f16 v61, v1, v81, v61
	;;#ASMEND
	;;#ASMSTART
	v_dot2_f32_f16 v61, v2, v82, v61
	;;#ASMEND
	;;#ASMSTART
	v_dot2_f32_f16 v61, v3, v83, v61
	;;#ASMEND
	s_wait_dscnt 0x7
	;;#ASMSTART
	v_dot2_f32_f16 v77, v0, v84, v77
	;;#ASMEND
	;;#ASMSTART
	v_dot2_f32_f16 v77, v1, v85, v77
	;;#ASMEND
	;;#ASMSTART
	v_dot2_f32_f16 v77, v2, v86, v77
	;;#ASMEND
	;;#ASMSTART
	v_dot2_f32_f16 v77, v3, v87, v77
	;;#ASMEND
	;; [unrolled: 13-line block ×8, first 2 shown]
	;;#ASMSTART
	v_dot2_f32_f16 v63, v96, v80, v63
	;;#ASMEND
	;;#ASMSTART
	v_dot2_f32_f16 v63, v97, v81, v63
	;;#ASMEND
	;; [unrolled: 3-line block ×32, first 2 shown]
	ds_load_b128 v[0:3], v29 offset:64
	ds_load_b128 v[80:83], v21 offset:192
	;; [unrolled: 1-line block ×10, first 2 shown]
	s_wait_dscnt 0x8
	;;#ASMSTART
	v_dot2_f32_f16 v61, v0, v80, v61
	;;#ASMEND
	;;#ASMSTART
	v_dot2_f32_f16 v61, v1, v81, v61
	;;#ASMEND
	;;#ASMSTART
	v_dot2_f32_f16 v61, v2, v82, v61
	;;#ASMEND
	;;#ASMSTART
	v_dot2_f32_f16 v61, v3, v83, v61
	;;#ASMEND
	s_wait_dscnt 0x7
	;;#ASMSTART
	v_dot2_f32_f16 v77, v0, v84, v77
	;;#ASMEND
	;;#ASMSTART
	v_dot2_f32_f16 v77, v1, v85, v77
	;;#ASMEND
	;;#ASMSTART
	v_dot2_f32_f16 v77, v2, v86, v77
	;;#ASMEND
	;;#ASMSTART
	v_dot2_f32_f16 v77, v3, v87, v77
	;;#ASMEND
	s_wait_dscnt 0x6
	;;#ASMSTART
	v_dot2_f32_f16 v75, v0, v88, v75
	;;#ASMEND
	;;#ASMSTART
	v_dot2_f32_f16 v75, v1, v89, v75
	;;#ASMEND
	;;#ASMSTART
	v_dot2_f32_f16 v75, v2, v90, v75
	;;#ASMEND
	;;#ASMSTART
	v_dot2_f32_f16 v75, v3, v91, v75
	;;#ASMEND
	s_wait_dscnt 0x5
	;;#ASMSTART
	v_dot2_f32_f16 v73, v0, v92, v73
	;;#ASMEND
	;;#ASMSTART
	v_dot2_f32_f16 v73, v1, v93, v73
	;;#ASMEND
	;;#ASMSTART
	v_dot2_f32_f16 v73, v2, v94, v73
	;;#ASMEND
	;;#ASMSTART
	v_dot2_f32_f16 v73, v3, v95, v73
	;;#ASMEND
	s_wait_dscnt 0x3
	;;#ASMSTART
	v_dot2_f32_f16 v71, v0, v100, v71
	;;#ASMEND
	;;#ASMSTART
	v_dot2_f32_f16 v71, v1, v101, v71
	;;#ASMEND
	;;#ASMSTART
	v_dot2_f32_f16 v71, v2, v102, v71
	;;#ASMEND
	;;#ASMSTART
	v_dot2_f32_f16 v71, v3, v103, v71
	;;#ASMEND
	s_wait_dscnt 0x2
	;;#ASMSTART
	v_dot2_f32_f16 v70, v0, v104, v70
	;;#ASMEND
	;;#ASMSTART
	v_dot2_f32_f16 v70, v1, v105, v70
	;;#ASMEND
	;;#ASMSTART
	v_dot2_f32_f16 v70, v2, v106, v70
	;;#ASMEND
	;;#ASMSTART
	v_dot2_f32_f16 v70, v3, v107, v70
	;;#ASMEND
	s_wait_dscnt 0x1
	;;#ASMSTART
	v_dot2_f32_f16 v6, v0, v108, v6
	;;#ASMEND
	;;#ASMSTART
	v_dot2_f32_f16 v6, v1, v109, v6
	;;#ASMEND
	;;#ASMSTART
	v_dot2_f32_f16 v6, v2, v110, v6
	;;#ASMEND
	;;#ASMSTART
	v_dot2_f32_f16 v6, v3, v111, v6
	;;#ASMEND
	s_wait_dscnt 0x0
	;;#ASMSTART
	v_dot2_f32_f16 v4, v0, v112, v4
	;;#ASMEND
	;;#ASMSTART
	v_dot2_f32_f16 v4, v1, v113, v4
	;;#ASMEND
	;;#ASMSTART
	v_dot2_f32_f16 v4, v2, v114, v4
	;;#ASMEND
	;;#ASMSTART
	v_dot2_f32_f16 v4, v3, v115, v4
	;;#ASMEND
	;;#ASMSTART
	v_dot2_f32_f16 v63, v96, v80, v63
	;;#ASMEND
	;;#ASMSTART
	v_dot2_f32_f16 v63, v97, v81, v63
	;;#ASMEND
	;; [unrolled: 3-line block ×32, first 2 shown]
	ds_load_b128 v[0:3], v29 offset:80
	ds_load_b128 v[80:83], v21 offset:208
	;; [unrolled: 1-line block ×10, first 2 shown]
	s_wait_dscnt 0x8
	;;#ASMSTART
	v_dot2_f32_f16 v61, v0, v80, v61
	;;#ASMEND
	;;#ASMSTART
	v_dot2_f32_f16 v61, v1, v81, v61
	;;#ASMEND
	;;#ASMSTART
	v_dot2_f32_f16 v61, v2, v82, v61
	;;#ASMEND
	;;#ASMSTART
	v_dot2_f32_f16 v61, v3, v83, v61
	;;#ASMEND
	s_wait_dscnt 0x7
	;;#ASMSTART
	v_dot2_f32_f16 v77, v0, v84, v77
	;;#ASMEND
	;;#ASMSTART
	v_dot2_f32_f16 v77, v1, v85, v77
	;;#ASMEND
	;;#ASMSTART
	v_dot2_f32_f16 v77, v2, v86, v77
	;;#ASMEND
	;;#ASMSTART
	v_dot2_f32_f16 v77, v3, v87, v77
	;;#ASMEND
	s_wait_dscnt 0x6
	;;#ASMSTART
	v_dot2_f32_f16 v75, v0, v88, v75
	;;#ASMEND
	;;#ASMSTART
	v_dot2_f32_f16 v75, v1, v89, v75
	;;#ASMEND
	;;#ASMSTART
	v_dot2_f32_f16 v75, v2, v90, v75
	;;#ASMEND
	;;#ASMSTART
	v_dot2_f32_f16 v75, v3, v91, v75
	;;#ASMEND
	s_wait_dscnt 0x5
	;;#ASMSTART
	v_dot2_f32_f16 v73, v0, v92, v73
	;;#ASMEND
	;;#ASMSTART
	v_dot2_f32_f16 v73, v1, v93, v73
	;;#ASMEND
	;;#ASMSTART
	v_dot2_f32_f16 v73, v2, v94, v73
	;;#ASMEND
	;;#ASMSTART
	v_dot2_f32_f16 v73, v3, v95, v73
	;;#ASMEND
	s_wait_dscnt 0x3
	;;#ASMSTART
	v_dot2_f32_f16 v71, v0, v100, v71
	;;#ASMEND
	;;#ASMSTART
	v_dot2_f32_f16 v71, v1, v101, v71
	;;#ASMEND
	;;#ASMSTART
	v_dot2_f32_f16 v71, v2, v102, v71
	;;#ASMEND
	;;#ASMSTART
	v_dot2_f32_f16 v71, v3, v103, v71
	;;#ASMEND
	s_wait_dscnt 0x2
	;;#ASMSTART
	v_dot2_f32_f16 v70, v0, v104, v70
	;;#ASMEND
	;;#ASMSTART
	v_dot2_f32_f16 v70, v1, v105, v70
	;;#ASMEND
	;;#ASMSTART
	v_dot2_f32_f16 v70, v2, v106, v70
	;;#ASMEND
	;;#ASMSTART
	v_dot2_f32_f16 v70, v3, v107, v70
	;;#ASMEND
	s_wait_dscnt 0x1
	;;#ASMSTART
	v_dot2_f32_f16 v6, v0, v108, v6
	;;#ASMEND
	;;#ASMSTART
	v_dot2_f32_f16 v6, v1, v109, v6
	;;#ASMEND
	;;#ASMSTART
	v_dot2_f32_f16 v6, v2, v110, v6
	;;#ASMEND
	;;#ASMSTART
	v_dot2_f32_f16 v6, v3, v111, v6
	;;#ASMEND
	s_wait_dscnt 0x0
	;;#ASMSTART
	v_dot2_f32_f16 v4, v0, v112, v4
	;;#ASMEND
	;;#ASMSTART
	v_dot2_f32_f16 v4, v1, v113, v4
	;;#ASMEND
	;;#ASMSTART
	v_dot2_f32_f16 v4, v2, v114, v4
	;;#ASMEND
	;;#ASMSTART
	v_dot2_f32_f16 v4, v3, v115, v4
	;;#ASMEND
	;;#ASMSTART
	v_dot2_f32_f16 v63, v96, v80, v63
	;;#ASMEND
	;;#ASMSTART
	v_dot2_f32_f16 v63, v97, v81, v63
	;;#ASMEND
	;; [unrolled: 3-line block ×32, first 2 shown]
	ds_load_b128 v[0:3], v29 offset:96
	ds_load_b128 v[80:83], v21 offset:224
	;; [unrolled: 1-line block ×10, first 2 shown]
	s_wait_dscnt 0x8
	;;#ASMSTART
	v_dot2_f32_f16 v61, v0, v80, v61
	;;#ASMEND
	;;#ASMSTART
	v_dot2_f32_f16 v61, v1, v81, v61
	;;#ASMEND
	;;#ASMSTART
	v_dot2_f32_f16 v61, v2, v82, v61
	;;#ASMEND
	;;#ASMSTART
	v_dot2_f32_f16 v61, v3, v83, v61
	;;#ASMEND
	s_wait_dscnt 0x7
	;;#ASMSTART
	v_dot2_f32_f16 v77, v0, v84, v77
	;;#ASMEND
	;;#ASMSTART
	v_dot2_f32_f16 v77, v1, v85, v77
	;;#ASMEND
	;;#ASMSTART
	v_dot2_f32_f16 v77, v2, v86, v77
	;;#ASMEND
	;;#ASMSTART
	v_dot2_f32_f16 v77, v3, v87, v77
	;;#ASMEND
	s_wait_dscnt 0x6
	;;#ASMSTART
	v_dot2_f32_f16 v75, v0, v88, v75
	;;#ASMEND
	;;#ASMSTART
	v_dot2_f32_f16 v75, v1, v89, v75
	;;#ASMEND
	;;#ASMSTART
	v_dot2_f32_f16 v75, v2, v90, v75
	;;#ASMEND
	;;#ASMSTART
	v_dot2_f32_f16 v75, v3, v91, v75
	;;#ASMEND
	s_wait_dscnt 0x5
	;;#ASMSTART
	v_dot2_f32_f16 v73, v0, v92, v73
	;;#ASMEND
	;;#ASMSTART
	v_dot2_f32_f16 v73, v1, v93, v73
	;;#ASMEND
	;;#ASMSTART
	v_dot2_f32_f16 v73, v2, v94, v73
	;;#ASMEND
	;;#ASMSTART
	v_dot2_f32_f16 v73, v3, v95, v73
	;;#ASMEND
	s_wait_dscnt 0x3
	;;#ASMSTART
	v_dot2_f32_f16 v71, v0, v100, v71
	;;#ASMEND
	;;#ASMSTART
	v_dot2_f32_f16 v71, v1, v101, v71
	;;#ASMEND
	;;#ASMSTART
	v_dot2_f32_f16 v71, v2, v102, v71
	;;#ASMEND
	;;#ASMSTART
	v_dot2_f32_f16 v71, v3, v103, v71
	;;#ASMEND
	s_wait_dscnt 0x2
	;;#ASMSTART
	v_dot2_f32_f16 v70, v0, v104, v70
	;;#ASMEND
	;;#ASMSTART
	v_dot2_f32_f16 v70, v1, v105, v70
	;;#ASMEND
	;;#ASMSTART
	v_dot2_f32_f16 v70, v2, v106, v70
	;;#ASMEND
	;;#ASMSTART
	v_dot2_f32_f16 v70, v3, v107, v70
	;;#ASMEND
	s_wait_dscnt 0x1
	;;#ASMSTART
	v_dot2_f32_f16 v6, v0, v108, v6
	;;#ASMEND
	;;#ASMSTART
	v_dot2_f32_f16 v6, v1, v109, v6
	;;#ASMEND
	;;#ASMSTART
	v_dot2_f32_f16 v6, v2, v110, v6
	;;#ASMEND
	;;#ASMSTART
	v_dot2_f32_f16 v6, v3, v111, v6
	;;#ASMEND
	s_wait_dscnt 0x0
	;;#ASMSTART
	v_dot2_f32_f16 v4, v0, v112, v4
	;;#ASMEND
	;;#ASMSTART
	v_dot2_f32_f16 v4, v1, v113, v4
	;;#ASMEND
	;;#ASMSTART
	v_dot2_f32_f16 v4, v2, v114, v4
	;;#ASMEND
	;;#ASMSTART
	v_dot2_f32_f16 v4, v3, v115, v4
	;;#ASMEND
	;;#ASMSTART
	v_dot2_f32_f16 v63, v96, v80, v63
	;;#ASMEND
	;;#ASMSTART
	v_dot2_f32_f16 v63, v97, v81, v63
	;;#ASMEND
	;; [unrolled: 3-line block ×32, first 2 shown]
	ds_load_b128 v[0:3], v29 offset:112
	ds_load_b128 v[80:83], v21 offset:240
	;; [unrolled: 1-line block ×10, first 2 shown]
	s_wait_dscnt 0x8
	;;#ASMSTART
	v_dot2_f32_f16 v61, v0, v80, v61
	;;#ASMEND
	;;#ASMSTART
	v_dot2_f32_f16 v61, v1, v81, v61
	;;#ASMEND
	;;#ASMSTART
	v_dot2_f32_f16 v61, v2, v82, v61
	;;#ASMEND
	;;#ASMSTART
	v_dot2_f32_f16 v61, v3, v83, v61
	;;#ASMEND
	s_wait_dscnt 0x7
	;;#ASMSTART
	v_dot2_f32_f16 v77, v0, v84, v77
	;;#ASMEND
	;;#ASMSTART
	v_dot2_f32_f16 v77, v1, v85, v77
	;;#ASMEND
	;;#ASMSTART
	v_dot2_f32_f16 v77, v2, v86, v77
	;;#ASMEND
	;;#ASMSTART
	v_dot2_f32_f16 v77, v3, v87, v77
	;;#ASMEND
	s_wait_dscnt 0x6
	;;#ASMSTART
	v_dot2_f32_f16 v75, v0, v88, v75
	;;#ASMEND
	;;#ASMSTART
	v_dot2_f32_f16 v75, v1, v89, v75
	;;#ASMEND
	;;#ASMSTART
	v_dot2_f32_f16 v75, v2, v90, v75
	;;#ASMEND
	;;#ASMSTART
	v_dot2_f32_f16 v75, v3, v91, v75
	;;#ASMEND
	s_wait_dscnt 0x5
	;;#ASMSTART
	v_dot2_f32_f16 v73, v0, v92, v73
	;;#ASMEND
	;;#ASMSTART
	v_dot2_f32_f16 v73, v1, v93, v73
	;;#ASMEND
	;;#ASMSTART
	v_dot2_f32_f16 v73, v2, v94, v73
	;;#ASMEND
	;;#ASMSTART
	v_dot2_f32_f16 v73, v3, v95, v73
	;;#ASMEND
	s_wait_dscnt 0x3
	;;#ASMSTART
	v_dot2_f32_f16 v71, v0, v100, v71
	;;#ASMEND
	;;#ASMSTART
	v_dot2_f32_f16 v71, v1, v101, v71
	;;#ASMEND
	;;#ASMSTART
	v_dot2_f32_f16 v71, v2, v102, v71
	;;#ASMEND
	;;#ASMSTART
	v_dot2_f32_f16 v71, v3, v103, v71
	;;#ASMEND
	s_wait_dscnt 0x2
	;;#ASMSTART
	v_dot2_f32_f16 v70, v0, v104, v70
	;;#ASMEND
	;;#ASMSTART
	v_dot2_f32_f16 v70, v1, v105, v70
	;;#ASMEND
	;;#ASMSTART
	v_dot2_f32_f16 v70, v2, v106, v70
	;;#ASMEND
	;;#ASMSTART
	v_dot2_f32_f16 v70, v3, v107, v70
	;;#ASMEND
	s_wait_dscnt 0x1
	;;#ASMSTART
	v_dot2_f32_f16 v6, v0, v108, v6
	;;#ASMEND
	;;#ASMSTART
	v_dot2_f32_f16 v6, v1, v109, v6
	;;#ASMEND
	;;#ASMSTART
	v_dot2_f32_f16 v6, v2, v110, v6
	;;#ASMEND
	;;#ASMSTART
	v_dot2_f32_f16 v6, v3, v111, v6
	;;#ASMEND
	s_wait_dscnt 0x0
	;;#ASMSTART
	v_dot2_f32_f16 v4, v0, v112, v4
	;;#ASMEND
	;;#ASMSTART
	v_dot2_f32_f16 v4, v1, v113, v4
	;;#ASMEND
	;;#ASMSTART
	v_dot2_f32_f16 v4, v2, v114, v4
	;;#ASMEND
	;;#ASMSTART
	v_dot2_f32_f16 v4, v3, v115, v4
	;;#ASMEND
	;;#ASMSTART
	v_dot2_f32_f16 v63, v96, v80, v63
	;;#ASMEND
	;;#ASMSTART
	v_dot2_f32_f16 v63, v97, v81, v63
	;;#ASMEND
	;; [unrolled: 3-line block ×25, first 2 shown]
	v_cmp_ngt_f32_e64 s26, 0x3f200000, |v61|
	;;#ASMSTART
	v_dot2_f32_f16 v69, v97, v109, v69
	;;#ASMEND
	;;#ASMSTART
	v_dot2_f32_f16 v69, v98, v110, v69
	;;#ASMEND
	;; [unrolled: 3-line block ×7, first 2 shown]
                                        ; implicit-def: $vgpr2
	s_and_saveexec_b32 s27, s26
	s_wait_alu 0xfffe
	s_xor_b32 s26, exec_lo, s27
	s_cbranch_execz .LBB71_11
; %bb.10:                               ;   in Loop: Header=BB71_9 Depth=1
	v_add_f32_e64 v0, |v61|, |v61|
	s_delay_alu instid0(VALU_DEP_1) | instskip(SKIP_1) | instid1(VALU_DEP_2)
	v_mul_f32_e32 v1, 0x3fb8aa3b, v0
	v_cmp_ngt_f32_e32 vcc_lo, 0xc2ce8ed0, v0
	v_rndne_f32_e32 v2, v1
	v_fma_f32 v3, 0x3fb8aa3b, v0, -v1
	s_delay_alu instid0(VALU_DEP_2) | instskip(NEXT) | instid1(VALU_DEP_2)
	v_sub_f32_e32 v1, v1, v2
	v_fmac_f32_e32 v3, 0x32a5705f, v0
	v_cvt_i32_f32_e32 v2, v2
	s_delay_alu instid0(VALU_DEP_2) | instskip(NEXT) | instid1(VALU_DEP_1)
	v_add_f32_e32 v1, v1, v3
	v_exp_f32_e32 v1, v1
	s_delay_alu instid0(TRANS32_DEP_1) | instskip(SKIP_1) | instid1(VALU_DEP_1)
	v_ldexp_f32 v1, v1, v2
	s_wait_alu 0xfffd
	v_cndmask_b32_e32 v1, 0, v1, vcc_lo
	v_cmp_nlt_f32_e32 vcc_lo, 0x42b17218, v0
	s_wait_alu 0xfffd
	s_delay_alu instid0(VALU_DEP_2) | instskip(NEXT) | instid1(VALU_DEP_1)
	v_cndmask_b32_e32 v0, 0x7f800000, v1, vcc_lo
	v_add_f32_e32 v0, 1.0, v0
	s_delay_alu instid0(VALU_DEP_1) | instskip(NEXT) | instid1(TRANS32_DEP_1)
	v_rcp_f32_e32 v0, v0
	v_fma_f32 v2, v0, -2.0, 1.0
.LBB71_11:                              ;   in Loop: Header=BB71_9 Depth=1
	s_wait_alu 0xfffe
	s_and_not1_saveexec_b32 s26, s26
	s_cbranch_execz .LBB71_13
; %bb.12:                               ;   in Loop: Header=BB71_9 Depth=1
	v_mul_f32_e32 v0, v61, v61
	s_delay_alu instid0(VALU_DEP_1) | instskip(NEXT) | instid1(VALU_DEP_1)
	v_fmaak_f32 v1, s3, v0, 0x3ca908c9
	v_fmaak_f32 v1, v0, v1, 0xbd5c1c4e
	s_delay_alu instid0(VALU_DEP_1) | instskip(NEXT) | instid1(VALU_DEP_1)
	v_fmaak_f32 v1, v0, v1, 0x3e088382
	v_fmaak_f32 v1, v0, v1, 0xbeaaaa99
	s_delay_alu instid0(VALU_DEP_1) | instskip(NEXT) | instid1(VALU_DEP_1)
	v_mul_f32_e64 v1, |v61|, v1
	v_fma_f32 v2, v0, v1, |v61|
.LBB71_13:                              ;   in Loop: Header=BB71_9 Depth=1
	s_wait_alu 0xfffe
	s_or_b32 exec_lo, exec_lo, s26
	v_add_nc_u32_e32 v0, s10, v12
	v_cmp_ngt_f32_e64 s26, 0x3f200000, |v63|
                                        ; implicit-def: $vgpr64
	s_delay_alu instid0(VALU_DEP_2) | instskip(NEXT) | instid1(VALU_DEP_1)
	v_ashrrev_i32_e32 v1, 31, v0
	v_lshlrev_b64_e32 v[0:1], 1, v[0:1]
	s_delay_alu instid0(VALU_DEP_1) | instskip(SKIP_1) | instid1(VALU_DEP_2)
	v_add_co_u32 v0, vcc_lo, s34, v0
	s_wait_alu 0xfffd
	v_add_co_ci_u32_e64 v1, null, s35, v1, vcc_lo
	global_load_u16 v3, v[0:1], off
	s_and_saveexec_b32 s27, s26
	s_wait_alu 0xfffe
	s_xor_b32 s26, exec_lo, s27
	s_cbranch_execz .LBB71_15
; %bb.14:                               ;   in Loop: Header=BB71_9 Depth=1
	v_add_f32_e64 v64, |v63|, |v63|
	s_delay_alu instid0(VALU_DEP_1) | instskip(SKIP_1) | instid1(VALU_DEP_2)
	v_mul_f32_e32 v65, 0x3fb8aa3b, v64
	v_cmp_ngt_f32_e32 vcc_lo, 0xc2ce8ed0, v64
	v_rndne_f32_e32 v67, v65
	v_fma_f32 v80, 0x3fb8aa3b, v64, -v65
	s_delay_alu instid0(VALU_DEP_1) | instskip(SKIP_1) | instid1(VALU_DEP_2)
	v_dual_sub_f32 v65, v65, v67 :: v_dual_fmac_f32 v80, 0x32a5705f, v64
	v_cvt_i32_f32_e32 v67, v67
	v_add_f32_e32 v65, v65, v80
	s_delay_alu instid0(VALU_DEP_1) | instskip(NEXT) | instid1(TRANS32_DEP_1)
	v_exp_f32_e32 v65, v65
	v_ldexp_f32 v65, v65, v67
	s_wait_alu 0xfffd
	s_delay_alu instid0(VALU_DEP_1) | instskip(SKIP_2) | instid1(VALU_DEP_2)
	v_cndmask_b32_e32 v65, 0, v65, vcc_lo
	v_cmp_nlt_f32_e32 vcc_lo, 0x42b17218, v64
	s_wait_alu 0xfffd
	v_cndmask_b32_e32 v64, 0x7f800000, v65, vcc_lo
	s_delay_alu instid0(VALU_DEP_1) | instskip(NEXT) | instid1(VALU_DEP_1)
	v_add_f32_e32 v64, 1.0, v64
	v_rcp_f32_e32 v64, v64
	s_delay_alu instid0(TRANS32_DEP_1)
	v_fma_f32 v64, v64, -2.0, 1.0
.LBB71_15:                              ;   in Loop: Header=BB71_9 Depth=1
	s_wait_alu 0xfffe
	s_and_not1_saveexec_b32 s26, s26
	s_cbranch_execz .LBB71_17
; %bb.16:                               ;   in Loop: Header=BB71_9 Depth=1
	v_mul_f32_e32 v64, v63, v63
	s_delay_alu instid0(VALU_DEP_1) | instskip(NEXT) | instid1(VALU_DEP_1)
	v_fmaak_f32 v65, s3, v64, 0x3ca908c9
	v_fmaak_f32 v65, v64, v65, 0xbd5c1c4e
	s_delay_alu instid0(VALU_DEP_1) | instskip(NEXT) | instid1(VALU_DEP_1)
	v_fmaak_f32 v65, v64, v65, 0x3e088382
	v_fmaak_f32 v65, v64, v65, 0xbeaaaa99
	s_delay_alu instid0(VALU_DEP_1) | instskip(NEXT) | instid1(VALU_DEP_1)
	v_mul_f32_e64 v65, |v63|, v65
	v_fma_f32 v64, v64, v65, |v63|
.LBB71_17:                              ;   in Loop: Header=BB71_9 Depth=1
	s_wait_alu 0xfffe
	s_or_b32 exec_lo, exec_lo, s26
	global_load_u16 v80, v[0:1], off offset:64
	v_bfi_b32 v0, 0x7fffffff, v2, v61
	v_bfi_b32 v1, 0x7fffffff, v64, v63
	v_xor_b32_e32 v67, 16, v23
	v_xor_b32_e32 v65, 8, v23
	;; [unrolled: 1-line block ×3, first 2 shown]
	s_wait_loadcnt 0x1
	v_fma_mix_f32 v85, s5, v0, v3 op_sel_hi:[0,0,1]
	v_xor_b32_e32 v63, 2, v23
	v_cmp_gt_i32_e32 vcc_lo, 32, v67
	v_cmp_ngt_f32_e64 s26, 0x3f200000, |v77|
                                        ; implicit-def: $vgpr88
	s_wait_alu 0xfffd
	v_cndmask_b32_e32 v0, v23, v67, vcc_lo
	v_cmp_gt_i32_e32 vcc_lo, 32, v65
	s_wait_alu 0xfffd
	v_cndmask_b32_e32 v61, v23, v65, vcc_lo
	v_cmp_gt_i32_e32 vcc_lo, 32, v64
	s_delay_alu instid0(VALU_DEP_2) | instskip(SKIP_2) | instid1(VALU_DEP_1)
	v_lshlrev_b32_e32 v87, 2, v61
	s_wait_loadcnt 0x0
	v_fma_mix_f32 v86, s5, v1, v80 op_sel_hi:[0,0,1]
	v_dual_add_f32 v1, 0x40051340, v85 :: v_dual_add_f32 v2, 0x40051340, v86
	s_delay_alu instid0(VALU_DEP_1) | instskip(SKIP_4) | instid1(VALU_DEP_1)
	v_max3_num_f32 v1, v66, v1, v2
	v_lshlrev_b32_e32 v0, 2, v0
	ds_bpermute_b32 v2, v0, v1
	s_wait_dscnt 0x0
	v_max_num_f32_e32 v2, v2, v2
	v_max_num_f32_e32 v1, v1, v2
	ds_bpermute_b32 v2, v87, v1
	s_wait_alu 0xfffd
	v_cndmask_b32_e32 v61, v23, v64, vcc_lo
	v_cmp_gt_i32_e32 vcc_lo, 32, v63
	s_wait_dscnt 0x0
	v_max_num_f32_e32 v2, v2, v2
	s_delay_alu instid0(VALU_DEP_1) | instskip(SKIP_4) | instid1(VALU_DEP_1)
	v_dual_max_num_f32 v1, v1, v2 :: v_dual_lshlrev_b32 v84, 2, v61
	ds_bpermute_b32 v2, v84, v1
	s_wait_dscnt 0x0
	s_wait_alu 0xfffd
	v_dual_cndmask_b32 v61, v23, v63 :: v_dual_max_num_f32 v2, v2, v2
	v_lshlrev_b32_e32 v83, 2, v61
	v_xor_b32_e32 v61, 1, v23
	s_delay_alu instid0(VALU_DEP_1) | instskip(SKIP_2) | instid1(VALU_DEP_1)
	v_cmp_gt_i32_e32 vcc_lo, 32, v61
	s_wait_alu 0xfffd
	v_cndmask_b32_e32 v81, v23, v61, vcc_lo
	v_dual_max_num_f32 v1, v1, v2 :: v_dual_lshlrev_b32 v82, 2, v81
	ds_bpermute_b32 v2, v83, v1
	s_wait_dscnt 0x0
	v_max_num_f32_e32 v2, v2, v2
	s_delay_alu instid0(VALU_DEP_1)
	v_max_num_f32_e32 v1, v1, v2
	ds_bpermute_b32 v2, v82, v1
	s_and_saveexec_b32 s27, s26
	s_wait_alu 0xfffe
	s_xor_b32 s26, exec_lo, s27
	s_cbranch_execz .LBB71_19
; %bb.18:                               ;   in Loop: Header=BB71_9 Depth=1
	v_add_f32_e64 v81, |v77|, |v77|
	s_delay_alu instid0(VALU_DEP_1) | instskip(SKIP_1) | instid1(VALU_DEP_2)
	v_mul_f32_e32 v88, 0x3fb8aa3b, v81
	v_cmp_ngt_f32_e32 vcc_lo, 0xc2ce8ed0, v81
	v_rndne_f32_e32 v89, v88
	v_fma_f32 v90, 0x3fb8aa3b, v81, -v88
	s_delay_alu instid0(VALU_DEP_2) | instskip(NEXT) | instid1(VALU_DEP_2)
	v_sub_f32_e32 v88, v88, v89
	v_fmac_f32_e32 v90, 0x32a5705f, v81
	v_cvt_i32_f32_e32 v89, v89
	s_delay_alu instid0(VALU_DEP_2) | instskip(NEXT) | instid1(VALU_DEP_1)
	v_add_f32_e32 v88, v88, v90
	v_exp_f32_e32 v88, v88
	s_delay_alu instid0(TRANS32_DEP_1) | instskip(SKIP_1) | instid1(VALU_DEP_1)
	v_ldexp_f32 v88, v88, v89
	s_wait_alu 0xfffd
	v_cndmask_b32_e32 v88, 0, v88, vcc_lo
	v_cmp_nlt_f32_e32 vcc_lo, 0x42b17218, v81
	s_wait_alu 0xfffd
	s_delay_alu instid0(VALU_DEP_2) | instskip(NEXT) | instid1(VALU_DEP_1)
	v_cndmask_b32_e32 v81, 0x7f800000, v88, vcc_lo
	v_add_f32_e32 v81, 1.0, v81
	s_delay_alu instid0(VALU_DEP_1) | instskip(NEXT) | instid1(TRANS32_DEP_1)
	v_rcp_f32_e32 v81, v81
	v_fma_f32 v88, v81, -2.0, 1.0
.LBB71_19:                              ;   in Loop: Header=BB71_9 Depth=1
	s_wait_alu 0xfffe
	s_and_not1_saveexec_b32 s26, s26
	s_cbranch_execz .LBB71_21
; %bb.20:                               ;   in Loop: Header=BB71_9 Depth=1
	v_mul_f32_e32 v81, v77, v77
	s_delay_alu instid0(VALU_DEP_1) | instskip(NEXT) | instid1(VALU_DEP_1)
	v_fmaak_f32 v88, s3, v81, 0x3ca908c9
	v_fmaak_f32 v88, v81, v88, 0xbd5c1c4e
	s_delay_alu instid0(VALU_DEP_1) | instskip(NEXT) | instid1(VALU_DEP_1)
	v_fmaak_f32 v88, v81, v88, 0x3e088382
	v_fmaak_f32 v88, v81, v88, 0xbeaaaa99
	s_delay_alu instid0(VALU_DEP_1) | instskip(NEXT) | instid1(VALU_DEP_1)
	v_mul_f32_e64 v88, |v77|, v88
	v_fma_f32 v88, v81, v88, |v77|
.LBB71_21:                              ;   in Loop: Header=BB71_9 Depth=1
	s_wait_alu 0xfffe
	s_or_b32 exec_lo, exec_lo, s26
	v_cmp_ngt_f32_e64 s26, 0x3f200000, |v79|
                                        ; implicit-def: $vgpr89
	s_and_saveexec_b32 s27, s26
	s_wait_alu 0xfffe
	s_xor_b32 s26, exec_lo, s27
	s_cbranch_execz .LBB71_23
; %bb.22:                               ;   in Loop: Header=BB71_9 Depth=1
	v_add_f32_e64 v81, |v79|, |v79|
	s_delay_alu instid0(VALU_DEP_1) | instskip(SKIP_1) | instid1(VALU_DEP_2)
	v_mul_f32_e32 v89, 0x3fb8aa3b, v81
	v_cmp_ngt_f32_e32 vcc_lo, 0xc2ce8ed0, v81
	v_rndne_f32_e32 v90, v89
	v_fma_f32 v91, 0x3fb8aa3b, v81, -v89
	s_delay_alu instid0(VALU_DEP_2) | instskip(NEXT) | instid1(VALU_DEP_2)
	v_sub_f32_e32 v89, v89, v90
	v_fmac_f32_e32 v91, 0x32a5705f, v81
	v_cvt_i32_f32_e32 v90, v90
	s_delay_alu instid0(VALU_DEP_2) | instskip(NEXT) | instid1(VALU_DEP_1)
	v_add_f32_e32 v89, v89, v91
	v_exp_f32_e32 v89, v89
	s_delay_alu instid0(TRANS32_DEP_1) | instskip(SKIP_1) | instid1(VALU_DEP_1)
	v_ldexp_f32 v89, v89, v90
	s_wait_alu 0xfffd
	v_cndmask_b32_e32 v89, 0, v89, vcc_lo
	v_cmp_nlt_f32_e32 vcc_lo, 0x42b17218, v81
	s_wait_alu 0xfffd
	s_delay_alu instid0(VALU_DEP_2) | instskip(NEXT) | instid1(VALU_DEP_1)
	v_cndmask_b32_e32 v81, 0x7f800000, v89, vcc_lo
	v_add_f32_e32 v81, 1.0, v81
	s_delay_alu instid0(VALU_DEP_1) | instskip(NEXT) | instid1(TRANS32_DEP_1)
	v_rcp_f32_e32 v81, v81
	v_fma_f32 v89, v81, -2.0, 1.0
.LBB71_23:                              ;   in Loop: Header=BB71_9 Depth=1
	s_wait_alu 0xfffe
	s_and_not1_saveexec_b32 s26, s26
	s_cbranch_execz .LBB71_25
; %bb.24:                               ;   in Loop: Header=BB71_9 Depth=1
	v_mul_f32_e32 v81, v79, v79
	s_delay_alu instid0(VALU_DEP_1) | instskip(NEXT) | instid1(VALU_DEP_1)
	v_fmaak_f32 v89, s3, v81, 0x3ca908c9
	v_fmaak_f32 v89, v81, v89, 0xbd5c1c4e
	s_delay_alu instid0(VALU_DEP_1) | instskip(NEXT) | instid1(VALU_DEP_1)
	v_fmaak_f32 v89, v81, v89, 0x3e088382
	v_fmaak_f32 v89, v81, v89, 0xbeaaaa99
	s_delay_alu instid0(VALU_DEP_1) | instskip(NEXT) | instid1(VALU_DEP_1)
	v_mul_f32_e64 v89, |v79|, v89
	v_fma_f32 v89, v81, v89, |v79|
.LBB71_25:                              ;   in Loop: Header=BB71_9 Depth=1
	s_wait_alu 0xfffe
	s_or_b32 exec_lo, exec_lo, s26
	v_cvt_f32_f16_e32 v81, v3
	v_cvt_f32_f16_e32 v80, v80
	v_bfi_b32 v3, 0x7fffffff, v88, v77
	v_bfi_b32 v79, 0x7fffffff, v89, v79
	v_cmp_ngt_f32_e64 s26, 0x3f200000, |v75|
	s_delay_alu instid0(VALU_DEP_3) | instskip(NEXT) | instid1(VALU_DEP_3)
	v_fma_f32 v77, s5, v3, v81
	v_fma_f32 v79, s5, v79, v80
	s_delay_alu instid0(VALU_DEP_1) | instskip(NEXT) | instid1(VALU_DEP_1)
	v_dual_add_f32 v3, 0x40051340, v77 :: v_dual_add_f32 v88, 0x40051340, v79
	v_max3_num_f32 v3, v68, v3, v88
	ds_bpermute_b32 v88, v0, v3
	s_wait_dscnt 0x0
	v_max_num_f32_e32 v88, v88, v88
	s_delay_alu instid0(VALU_DEP_1) | instskip(SKIP_3) | instid1(VALU_DEP_1)
	v_max_num_f32_e32 v3, v3, v88
	ds_bpermute_b32 v88, v87, v3
	s_wait_dscnt 0x0
	v_max_num_f32_e32 v88, v88, v88
	v_max_num_f32_e32 v3, v3, v88
	ds_bpermute_b32 v88, v84, v3
	s_wait_dscnt 0x0
	v_max_num_f32_e32 v88, v88, v88
	s_delay_alu instid0(VALU_DEP_1) | instskip(SKIP_3) | instid1(VALU_DEP_1)
	v_max_num_f32_e32 v3, v3, v88
	ds_bpermute_b32 v88, v83, v3
	s_wait_dscnt 0x0
	v_max_num_f32_e32 v88, v88, v88
	v_max_num_f32_e32 v3, v3, v88
                                        ; implicit-def: $vgpr88
	ds_bpermute_b32 v93, v82, v3
	s_and_saveexec_b32 s27, s26
	s_wait_alu 0xfffe
	s_xor_b32 s26, exec_lo, s27
	s_cbranch_execz .LBB71_27
; %bb.26:                               ;   in Loop: Header=BB71_9 Depth=1
	v_add_f32_e64 v88, |v75|, |v75|
	s_delay_alu instid0(VALU_DEP_1) | instskip(SKIP_1) | instid1(VALU_DEP_2)
	v_mul_f32_e32 v89, 0x3fb8aa3b, v88
	v_cmp_ngt_f32_e32 vcc_lo, 0xc2ce8ed0, v88
	v_rndne_f32_e32 v90, v89
	v_fma_f32 v91, 0x3fb8aa3b, v88, -v89
	s_delay_alu instid0(VALU_DEP_2) | instskip(NEXT) | instid1(VALU_DEP_2)
	v_sub_f32_e32 v89, v89, v90
	v_fmac_f32_e32 v91, 0x32a5705f, v88
	v_cvt_i32_f32_e32 v90, v90
	s_delay_alu instid0(VALU_DEP_2) | instskip(NEXT) | instid1(VALU_DEP_1)
	v_add_f32_e32 v89, v89, v91
	v_exp_f32_e32 v89, v89
	s_delay_alu instid0(TRANS32_DEP_1) | instskip(SKIP_1) | instid1(VALU_DEP_1)
	v_ldexp_f32 v89, v89, v90
	s_wait_alu 0xfffd
	v_cndmask_b32_e32 v89, 0, v89, vcc_lo
	v_cmp_nlt_f32_e32 vcc_lo, 0x42b17218, v88
	s_wait_alu 0xfffd
	s_delay_alu instid0(VALU_DEP_2) | instskip(NEXT) | instid1(VALU_DEP_1)
	v_cndmask_b32_e32 v88, 0x7f800000, v89, vcc_lo
	v_add_f32_e32 v88, 1.0, v88
	s_delay_alu instid0(VALU_DEP_1) | instskip(NEXT) | instid1(TRANS32_DEP_1)
	v_rcp_f32_e32 v88, v88
	v_fma_f32 v88, v88, -2.0, 1.0
.LBB71_27:                              ;   in Loop: Header=BB71_9 Depth=1
	s_wait_alu 0xfffe
	s_and_not1_saveexec_b32 s26, s26
	s_cbranch_execz .LBB71_29
; %bb.28:                               ;   in Loop: Header=BB71_9 Depth=1
	v_mul_f32_e32 v88, v75, v75
	s_delay_alu instid0(VALU_DEP_1) | instskip(NEXT) | instid1(VALU_DEP_1)
	v_fmaak_f32 v89, s3, v88, 0x3ca908c9
	v_fmaak_f32 v89, v88, v89, 0xbd5c1c4e
	s_delay_alu instid0(VALU_DEP_1) | instskip(NEXT) | instid1(VALU_DEP_1)
	v_fmaak_f32 v89, v88, v89, 0x3e088382
	v_fmaak_f32 v89, v88, v89, 0xbeaaaa99
	s_delay_alu instid0(VALU_DEP_1) | instskip(NEXT) | instid1(VALU_DEP_1)
	v_mul_f32_e64 v89, |v75|, v89
	v_fma_f32 v88, v88, v89, |v75|
.LBB71_29:                              ;   in Loop: Header=BB71_9 Depth=1
	s_wait_alu 0xfffe
	s_or_b32 exec_lo, exec_lo, s26
	v_cmp_ngt_f32_e64 s26, 0x3f200000, |v78|
                                        ; implicit-def: $vgpr89
	s_and_saveexec_b32 s27, s26
	s_wait_alu 0xfffe
	s_xor_b32 s26, exec_lo, s27
	s_cbranch_execz .LBB71_31
; %bb.30:                               ;   in Loop: Header=BB71_9 Depth=1
	v_add_f32_e64 v89, |v78|, |v78|
	s_delay_alu instid0(VALU_DEP_1) | instskip(SKIP_1) | instid1(VALU_DEP_2)
	v_mul_f32_e32 v90, 0x3fb8aa3b, v89
	v_cmp_ngt_f32_e32 vcc_lo, 0xc2ce8ed0, v89
	v_rndne_f32_e32 v91, v90
	v_fma_f32 v92, 0x3fb8aa3b, v89, -v90
	s_delay_alu instid0(VALU_DEP_2) | instskip(NEXT) | instid1(VALU_DEP_2)
	v_sub_f32_e32 v90, v90, v91
	v_fmac_f32_e32 v92, 0x32a5705f, v89
	v_cvt_i32_f32_e32 v91, v91
	s_delay_alu instid0(VALU_DEP_2) | instskip(NEXT) | instid1(VALU_DEP_1)
	v_add_f32_e32 v90, v90, v92
	v_exp_f32_e32 v90, v90
	s_delay_alu instid0(TRANS32_DEP_1) | instskip(SKIP_1) | instid1(VALU_DEP_1)
	v_ldexp_f32 v90, v90, v91
	s_wait_alu 0xfffd
	v_cndmask_b32_e32 v90, 0, v90, vcc_lo
	v_cmp_nlt_f32_e32 vcc_lo, 0x42b17218, v89
	s_wait_alu 0xfffd
	s_delay_alu instid0(VALU_DEP_2) | instskip(NEXT) | instid1(VALU_DEP_1)
	v_cndmask_b32_e32 v89, 0x7f800000, v90, vcc_lo
	v_add_f32_e32 v89, 1.0, v89
	s_delay_alu instid0(VALU_DEP_1) | instskip(NEXT) | instid1(TRANS32_DEP_1)
	v_rcp_f32_e32 v89, v89
	v_fma_f32 v89, v89, -2.0, 1.0
.LBB71_31:                              ;   in Loop: Header=BB71_9 Depth=1
	s_wait_alu 0xfffe
	s_and_not1_saveexec_b32 s26, s26
	s_cbranch_execz .LBB71_33
; %bb.32:                               ;   in Loop: Header=BB71_9 Depth=1
	v_mul_f32_e32 v89, v78, v78
	s_delay_alu instid0(VALU_DEP_1) | instskip(NEXT) | instid1(VALU_DEP_1)
	v_fmaak_f32 v90, s3, v89, 0x3ca908c9
	v_fmaak_f32 v90, v89, v90, 0xbd5c1c4e
	s_delay_alu instid0(VALU_DEP_1) | instskip(NEXT) | instid1(VALU_DEP_1)
	v_fmaak_f32 v90, v89, v90, 0x3e088382
	v_fmaak_f32 v90, v89, v90, 0xbeaaaa99
	s_delay_alu instid0(VALU_DEP_1) | instskip(NEXT) | instid1(VALU_DEP_1)
	v_mul_f32_e64 v90, |v78|, v90
	v_fma_f32 v89, v89, v90, |v78|
.LBB71_33:                              ;   in Loop: Header=BB71_9 Depth=1
	s_wait_alu 0xfffe
	s_or_b32 exec_lo, exec_lo, s26
	v_bfi_b32 v75, 0x7fffffff, v88, v75
	s_delay_alu instid0(VALU_DEP_2) | instskip(SKIP_1) | instid1(VALU_DEP_3)
	v_bfi_b32 v88, 0x7fffffff, v89, v78
	v_cmp_ngt_f32_e64 s26, 0x3f200000, |v73|
	v_fma_f32 v78, s5, v75, v81
	s_delay_alu instid0(VALU_DEP_3) | instskip(NEXT) | instid1(VALU_DEP_2)
	v_fma_f32 v88, s5, v88, v80
	v_add_f32_e32 v75, 0x40051340, v78
	s_delay_alu instid0(VALU_DEP_2) | instskip(NEXT) | instid1(VALU_DEP_1)
	v_add_f32_e32 v89, 0x40051340, v88
	v_max3_num_f32 v75, v60, v75, v89
	ds_bpermute_b32 v89, v0, v75
	s_wait_dscnt 0x0
	v_max_num_f32_e32 v89, v89, v89
	s_delay_alu instid0(VALU_DEP_1) | instskip(SKIP_3) | instid1(VALU_DEP_1)
	v_max_num_f32_e32 v75, v75, v89
	ds_bpermute_b32 v89, v87, v75
	s_wait_dscnt 0x0
	v_max_num_f32_e32 v89, v89, v89
	v_max_num_f32_e32 v75, v75, v89
	ds_bpermute_b32 v89, v84, v75
	s_wait_dscnt 0x0
	v_max_num_f32_e32 v89, v89, v89
	s_delay_alu instid0(VALU_DEP_1) | instskip(SKIP_3) | instid1(VALU_DEP_1)
	v_max_num_f32_e32 v75, v75, v89
	ds_bpermute_b32 v89, v83, v75
	s_wait_dscnt 0x0
	v_max_num_f32_e32 v89, v89, v89
	v_max_num_f32_e32 v94, v75, v89
                                        ; implicit-def: $vgpr75
	ds_bpermute_b32 v95, v82, v94
	s_and_saveexec_b32 s27, s26
	s_wait_alu 0xfffe
	s_xor_b32 s26, exec_lo, s27
	s_cbranch_execz .LBB71_35
; %bb.34:                               ;   in Loop: Header=BB71_9 Depth=1
	v_add_f32_e64 v75, |v73|, |v73|
	s_delay_alu instid0(VALU_DEP_1) | instskip(SKIP_1) | instid1(VALU_DEP_2)
	v_mul_f32_e32 v89, 0x3fb8aa3b, v75
	v_cmp_ngt_f32_e32 vcc_lo, 0xc2ce8ed0, v75
	v_rndne_f32_e32 v90, v89
	v_fma_f32 v91, 0x3fb8aa3b, v75, -v89
	s_delay_alu instid0(VALU_DEP_2) | instskip(NEXT) | instid1(VALU_DEP_2)
	v_sub_f32_e32 v89, v89, v90
	v_fmac_f32_e32 v91, 0x32a5705f, v75
	v_cvt_i32_f32_e32 v90, v90
	s_delay_alu instid0(VALU_DEP_2) | instskip(NEXT) | instid1(VALU_DEP_1)
	v_add_f32_e32 v89, v89, v91
	v_exp_f32_e32 v89, v89
	s_delay_alu instid0(TRANS32_DEP_1) | instskip(SKIP_1) | instid1(VALU_DEP_1)
	v_ldexp_f32 v89, v89, v90
	s_wait_alu 0xfffd
	v_cndmask_b32_e32 v89, 0, v89, vcc_lo
	v_cmp_nlt_f32_e32 vcc_lo, 0x42b17218, v75
	s_wait_alu 0xfffd
	s_delay_alu instid0(VALU_DEP_2) | instskip(NEXT) | instid1(VALU_DEP_1)
	v_cndmask_b32_e32 v75, 0x7f800000, v89, vcc_lo
	v_add_f32_e32 v75, 1.0, v75
	s_delay_alu instid0(VALU_DEP_1) | instskip(NEXT) | instid1(TRANS32_DEP_1)
	v_rcp_f32_e32 v75, v75
	v_fma_f32 v75, v75, -2.0, 1.0
.LBB71_35:                              ;   in Loop: Header=BB71_9 Depth=1
	s_wait_alu 0xfffe
	s_and_not1_saveexec_b32 s26, s26
	s_cbranch_execz .LBB71_37
; %bb.36:                               ;   in Loop: Header=BB71_9 Depth=1
	v_mul_f32_e32 v75, v73, v73
	s_delay_alu instid0(VALU_DEP_1) | instskip(NEXT) | instid1(VALU_DEP_1)
	v_fmaak_f32 v89, s3, v75, 0x3ca908c9
	v_fmaak_f32 v89, v75, v89, 0xbd5c1c4e
	s_delay_alu instid0(VALU_DEP_1) | instskip(NEXT) | instid1(VALU_DEP_1)
	v_fmaak_f32 v89, v75, v89, 0x3e088382
	v_fmaak_f32 v89, v75, v89, 0xbeaaaa99
	s_delay_alu instid0(VALU_DEP_1) | instskip(NEXT) | instid1(VALU_DEP_1)
	v_mul_f32_e64 v89, |v73|, v89
	v_fma_f32 v75, v75, v89, |v73|
.LBB71_37:                              ;   in Loop: Header=BB71_9 Depth=1
	s_wait_alu 0xfffe
	s_or_b32 exec_lo, exec_lo, s26
	v_cmp_ngt_f32_e64 s26, 0x3f200000, |v76|
                                        ; implicit-def: $vgpr89
	s_and_saveexec_b32 s27, s26
	s_wait_alu 0xfffe
	s_xor_b32 s26, exec_lo, s27
	s_cbranch_execz .LBB71_39
; %bb.38:                               ;   in Loop: Header=BB71_9 Depth=1
	v_add_f32_e64 v89, |v76|, |v76|
	s_delay_alu instid0(VALU_DEP_1) | instskip(SKIP_1) | instid1(VALU_DEP_2)
	v_mul_f32_e32 v90, 0x3fb8aa3b, v89
	v_cmp_ngt_f32_e32 vcc_lo, 0xc2ce8ed0, v89
	v_rndne_f32_e32 v91, v90
	v_fma_f32 v92, 0x3fb8aa3b, v89, -v90
	s_delay_alu instid0(VALU_DEP_2) | instskip(NEXT) | instid1(VALU_DEP_2)
	v_sub_f32_e32 v90, v90, v91
	v_fmac_f32_e32 v92, 0x32a5705f, v89
	v_cvt_i32_f32_e32 v91, v91
	s_delay_alu instid0(VALU_DEP_2) | instskip(NEXT) | instid1(VALU_DEP_1)
	v_add_f32_e32 v90, v90, v92
	v_exp_f32_e32 v90, v90
	s_delay_alu instid0(TRANS32_DEP_1) | instskip(SKIP_1) | instid1(VALU_DEP_1)
	v_ldexp_f32 v90, v90, v91
	s_wait_alu 0xfffd
	v_cndmask_b32_e32 v90, 0, v90, vcc_lo
	v_cmp_nlt_f32_e32 vcc_lo, 0x42b17218, v89
	s_wait_alu 0xfffd
	s_delay_alu instid0(VALU_DEP_2) | instskip(NEXT) | instid1(VALU_DEP_1)
	v_cndmask_b32_e32 v89, 0x7f800000, v90, vcc_lo
	v_add_f32_e32 v89, 1.0, v89
	s_delay_alu instid0(VALU_DEP_1) | instskip(NEXT) | instid1(TRANS32_DEP_1)
	v_rcp_f32_e32 v89, v89
	v_fma_f32 v89, v89, -2.0, 1.0
.LBB71_39:                              ;   in Loop: Header=BB71_9 Depth=1
	s_wait_alu 0xfffe
	s_and_not1_saveexec_b32 s26, s26
	s_cbranch_execz .LBB71_41
; %bb.40:                               ;   in Loop: Header=BB71_9 Depth=1
	v_mul_f32_e32 v89, v76, v76
	s_delay_alu instid0(VALU_DEP_1) | instskip(NEXT) | instid1(VALU_DEP_1)
	v_fmaak_f32 v90, s3, v89, 0x3ca908c9
	v_fmaak_f32 v90, v89, v90, 0xbd5c1c4e
	s_delay_alu instid0(VALU_DEP_1) | instskip(NEXT) | instid1(VALU_DEP_1)
	v_fmaak_f32 v90, v89, v90, 0x3e088382
	v_fmaak_f32 v90, v89, v90, 0xbeaaaa99
	s_delay_alu instid0(VALU_DEP_1) | instskip(NEXT) | instid1(VALU_DEP_1)
	v_mul_f32_e64 v90, |v76|, v90
	v_fma_f32 v89, v89, v90, |v76|
.LBB71_41:                              ;   in Loop: Header=BB71_9 Depth=1
	s_wait_alu 0xfffe
	s_or_b32 exec_lo, exec_lo, s26
	v_bfi_b32 v73, 0x7fffffff, v75, v73
	s_delay_alu instid0(VALU_DEP_2) | instskip(SKIP_1) | instid1(VALU_DEP_3)
	v_bfi_b32 v76, 0x7fffffff, v89, v76
	v_cmp_ngt_f32_e64 s26, 0x3f200000, |v71|
	v_fma_f32 v75, s5, v73, v81
	s_delay_alu instid0(VALU_DEP_3) | instskip(NEXT) | instid1(VALU_DEP_1)
	v_fma_f32 v73, s5, v76, v80
	v_dual_add_f32 v76, 0x40051340, v75 :: v_dual_add_f32 v89, 0x40051340, v73
	s_delay_alu instid0(VALU_DEP_1) | instskip(SKIP_3) | instid1(VALU_DEP_1)
	v_max3_num_f32 v76, v59, v76, v89
	ds_bpermute_b32 v89, v0, v76
	s_wait_dscnt 0x0
	v_max_num_f32_e32 v89, v89, v89
	v_max_num_f32_e32 v76, v76, v89
	ds_bpermute_b32 v89, v87, v76
	s_wait_dscnt 0x0
	v_max_num_f32_e32 v89, v89, v89
	s_delay_alu instid0(VALU_DEP_1) | instskip(SKIP_3) | instid1(VALU_DEP_1)
	v_max_num_f32_e32 v76, v76, v89
	ds_bpermute_b32 v89, v84, v76
	s_wait_dscnt 0x0
	v_max_num_f32_e32 v89, v89, v89
	v_max_num_f32_e32 v76, v76, v89
	ds_bpermute_b32 v89, v83, v76
	s_wait_dscnt 0x0
	v_max_num_f32_e32 v89, v89, v89
	s_delay_alu instid0(VALU_DEP_1)
	v_max_num_f32_e32 v96, v76, v89
                                        ; implicit-def: $vgpr76
	ds_bpermute_b32 v97, v82, v96
	s_and_saveexec_b32 s27, s26
	s_wait_alu 0xfffe
	s_xor_b32 s26, exec_lo, s27
	s_cbranch_execz .LBB71_43
; %bb.42:                               ;   in Loop: Header=BB71_9 Depth=1
	v_add_f32_e64 v76, |v71|, |v71|
	s_delay_alu instid0(VALU_DEP_1) | instskip(SKIP_1) | instid1(VALU_DEP_2)
	v_mul_f32_e32 v89, 0x3fb8aa3b, v76
	v_cmp_ngt_f32_e32 vcc_lo, 0xc2ce8ed0, v76
	v_rndne_f32_e32 v90, v89
	v_fma_f32 v91, 0x3fb8aa3b, v76, -v89
	s_delay_alu instid0(VALU_DEP_2) | instskip(NEXT) | instid1(VALU_DEP_2)
	v_sub_f32_e32 v89, v89, v90
	v_fmac_f32_e32 v91, 0x32a5705f, v76
	v_cvt_i32_f32_e32 v90, v90
	s_delay_alu instid0(VALU_DEP_2) | instskip(NEXT) | instid1(VALU_DEP_1)
	v_add_f32_e32 v89, v89, v91
	v_exp_f32_e32 v89, v89
	s_delay_alu instid0(TRANS32_DEP_1) | instskip(SKIP_1) | instid1(VALU_DEP_1)
	v_ldexp_f32 v89, v89, v90
	s_wait_alu 0xfffd
	v_cndmask_b32_e32 v89, 0, v89, vcc_lo
	v_cmp_nlt_f32_e32 vcc_lo, 0x42b17218, v76
	s_wait_alu 0xfffd
	s_delay_alu instid0(VALU_DEP_2) | instskip(NEXT) | instid1(VALU_DEP_1)
	v_cndmask_b32_e32 v76, 0x7f800000, v89, vcc_lo
	v_add_f32_e32 v76, 1.0, v76
	s_delay_alu instid0(VALU_DEP_1) | instskip(NEXT) | instid1(TRANS32_DEP_1)
	v_rcp_f32_e32 v76, v76
	v_fma_f32 v76, v76, -2.0, 1.0
.LBB71_43:                              ;   in Loop: Header=BB71_9 Depth=1
	s_wait_alu 0xfffe
	s_and_not1_saveexec_b32 s26, s26
	s_cbranch_execz .LBB71_45
; %bb.44:                               ;   in Loop: Header=BB71_9 Depth=1
	v_mul_f32_e32 v76, v71, v71
	s_delay_alu instid0(VALU_DEP_1) | instskip(NEXT) | instid1(VALU_DEP_1)
	v_fmaak_f32 v89, s3, v76, 0x3ca908c9
	v_fmaak_f32 v89, v76, v89, 0xbd5c1c4e
	s_delay_alu instid0(VALU_DEP_1) | instskip(NEXT) | instid1(VALU_DEP_1)
	v_fmaak_f32 v89, v76, v89, 0x3e088382
	v_fmaak_f32 v89, v76, v89, 0xbeaaaa99
	s_delay_alu instid0(VALU_DEP_1) | instskip(NEXT) | instid1(VALU_DEP_1)
	v_mul_f32_e64 v89, |v71|, v89
	v_fma_f32 v76, v76, v89, |v71|
.LBB71_45:                              ;   in Loop: Header=BB71_9 Depth=1
	s_wait_alu 0xfffe
	s_or_b32 exec_lo, exec_lo, s26
	v_cmp_ngt_f32_e64 s26, 0x3f200000, |v74|
                                        ; implicit-def: $vgpr89
	s_and_saveexec_b32 s27, s26
	s_wait_alu 0xfffe
	s_xor_b32 s26, exec_lo, s27
	s_cbranch_execz .LBB71_47
; %bb.46:                               ;   in Loop: Header=BB71_9 Depth=1
	v_add_f32_e64 v89, |v74|, |v74|
	s_delay_alu instid0(VALU_DEP_1) | instskip(SKIP_1) | instid1(VALU_DEP_2)
	v_mul_f32_e32 v90, 0x3fb8aa3b, v89
	v_cmp_ngt_f32_e32 vcc_lo, 0xc2ce8ed0, v89
	v_rndne_f32_e32 v91, v90
	v_fma_f32 v92, 0x3fb8aa3b, v89, -v90
	s_delay_alu instid0(VALU_DEP_2) | instskip(NEXT) | instid1(VALU_DEP_2)
	v_sub_f32_e32 v90, v90, v91
	v_fmac_f32_e32 v92, 0x32a5705f, v89
	v_cvt_i32_f32_e32 v91, v91
	s_delay_alu instid0(VALU_DEP_2) | instskip(NEXT) | instid1(VALU_DEP_1)
	v_add_f32_e32 v90, v90, v92
	v_exp_f32_e32 v90, v90
	s_delay_alu instid0(TRANS32_DEP_1) | instskip(SKIP_1) | instid1(VALU_DEP_1)
	v_ldexp_f32 v90, v90, v91
	s_wait_alu 0xfffd
	v_cndmask_b32_e32 v90, 0, v90, vcc_lo
	v_cmp_nlt_f32_e32 vcc_lo, 0x42b17218, v89
	s_wait_alu 0xfffd
	s_delay_alu instid0(VALU_DEP_2) | instskip(NEXT) | instid1(VALU_DEP_1)
	v_cndmask_b32_e32 v89, 0x7f800000, v90, vcc_lo
	v_add_f32_e32 v89, 1.0, v89
	s_delay_alu instid0(VALU_DEP_1) | instskip(NEXT) | instid1(TRANS32_DEP_1)
	v_rcp_f32_e32 v89, v89
	v_fma_f32 v89, v89, -2.0, 1.0
.LBB71_47:                              ;   in Loop: Header=BB71_9 Depth=1
	s_wait_alu 0xfffe
	s_and_not1_saveexec_b32 s26, s26
	s_cbranch_execz .LBB71_49
; %bb.48:                               ;   in Loop: Header=BB71_9 Depth=1
	v_mul_f32_e32 v89, v74, v74
	s_delay_alu instid0(VALU_DEP_1) | instskip(NEXT) | instid1(VALU_DEP_1)
	v_fmaak_f32 v90, s3, v89, 0x3ca908c9
	v_fmaak_f32 v90, v89, v90, 0xbd5c1c4e
	s_delay_alu instid0(VALU_DEP_1) | instskip(NEXT) | instid1(VALU_DEP_1)
	v_fmaak_f32 v90, v89, v90, 0x3e088382
	v_fmaak_f32 v90, v89, v90, 0xbeaaaa99
	s_delay_alu instid0(VALU_DEP_1) | instskip(NEXT) | instid1(VALU_DEP_1)
	v_mul_f32_e64 v90, |v74|, v90
	v_fma_f32 v89, v89, v90, |v74|
.LBB71_49:                              ;   in Loop: Header=BB71_9 Depth=1
	s_wait_alu 0xfffe
	s_or_b32 exec_lo, exec_lo, s26
	v_bfi_b32 v71, 0x7fffffff, v76, v71
	s_delay_alu instid0(VALU_DEP_2) | instskip(SKIP_1) | instid1(VALU_DEP_3)
	v_bfi_b32 v74, 0x7fffffff, v89, v74
	v_cmp_ngt_f32_e64 s26, 0x3f200000, |v70|
	v_fma_f32 v76, s5, v71, v81
	s_delay_alu instid0(VALU_DEP_3) | instskip(NEXT) | instid1(VALU_DEP_2)
	v_fma_f32 v74, s5, v74, v80
	v_add_f32_e32 v71, 0x40051340, v76
	s_delay_alu instid0(VALU_DEP_2) | instskip(NEXT) | instid1(VALU_DEP_1)
	v_add_f32_e32 v89, 0x40051340, v74
	v_max3_num_f32 v71, v57, v71, v89
	ds_bpermute_b32 v89, v0, v71
	s_wait_dscnt 0x0
	v_max_num_f32_e32 v89, v89, v89
	s_delay_alu instid0(VALU_DEP_1) | instskip(SKIP_3) | instid1(VALU_DEP_1)
	v_max_num_f32_e32 v71, v71, v89
	ds_bpermute_b32 v89, v87, v71
	s_wait_dscnt 0x0
	v_max_num_f32_e32 v89, v89, v89
	v_max_num_f32_e32 v71, v71, v89
	ds_bpermute_b32 v89, v84, v71
	s_wait_dscnt 0x0
	v_max_num_f32_e32 v89, v89, v89
	s_delay_alu instid0(VALU_DEP_1) | instskip(SKIP_3) | instid1(VALU_DEP_1)
	v_max_num_f32_e32 v71, v71, v89
	ds_bpermute_b32 v89, v83, v71
	s_wait_dscnt 0x0
	v_max_num_f32_e32 v89, v89, v89
	v_max_num_f32_e32 v71, v71, v89
                                        ; implicit-def: $vgpr89
	ds_bpermute_b32 v98, v82, v71
	s_and_saveexec_b32 s27, s26
	s_wait_alu 0xfffe
	s_xor_b32 s26, exec_lo, s27
	s_cbranch_execz .LBB71_51
; %bb.50:                               ;   in Loop: Header=BB71_9 Depth=1
	v_add_f32_e64 v89, |v70|, |v70|
	s_delay_alu instid0(VALU_DEP_1) | instskip(SKIP_1) | instid1(VALU_DEP_2)
	v_mul_f32_e32 v90, 0x3fb8aa3b, v89
	v_cmp_ngt_f32_e32 vcc_lo, 0xc2ce8ed0, v89
	v_rndne_f32_e32 v91, v90
	v_fma_f32 v92, 0x3fb8aa3b, v89, -v90
	s_delay_alu instid0(VALU_DEP_2) | instskip(NEXT) | instid1(VALU_DEP_2)
	v_sub_f32_e32 v90, v90, v91
	v_fmac_f32_e32 v92, 0x32a5705f, v89
	v_cvt_i32_f32_e32 v91, v91
	s_delay_alu instid0(VALU_DEP_2) | instskip(NEXT) | instid1(VALU_DEP_1)
	v_add_f32_e32 v90, v90, v92
	v_exp_f32_e32 v90, v90
	s_delay_alu instid0(TRANS32_DEP_1) | instskip(SKIP_1) | instid1(VALU_DEP_1)
	v_ldexp_f32 v90, v90, v91
	s_wait_alu 0xfffd
	v_cndmask_b32_e32 v90, 0, v90, vcc_lo
	v_cmp_nlt_f32_e32 vcc_lo, 0x42b17218, v89
	s_wait_alu 0xfffd
	s_delay_alu instid0(VALU_DEP_2) | instskip(NEXT) | instid1(VALU_DEP_1)
	v_cndmask_b32_e32 v89, 0x7f800000, v90, vcc_lo
	v_add_f32_e32 v89, 1.0, v89
	s_delay_alu instid0(VALU_DEP_1) | instskip(NEXT) | instid1(TRANS32_DEP_1)
	v_rcp_f32_e32 v89, v89
	v_fma_f32 v89, v89, -2.0, 1.0
.LBB71_51:                              ;   in Loop: Header=BB71_9 Depth=1
	s_wait_alu 0xfffe
	s_and_not1_saveexec_b32 s26, s26
	s_cbranch_execz .LBB71_53
; %bb.52:                               ;   in Loop: Header=BB71_9 Depth=1
	v_mul_f32_e32 v89, v70, v70
	s_delay_alu instid0(VALU_DEP_1) | instskip(NEXT) | instid1(VALU_DEP_1)
	v_fmaak_f32 v90, s3, v89, 0x3ca908c9
	v_fmaak_f32 v90, v89, v90, 0xbd5c1c4e
	s_delay_alu instid0(VALU_DEP_1) | instskip(NEXT) | instid1(VALU_DEP_1)
	v_fmaak_f32 v90, v89, v90, 0x3e088382
	v_fmaak_f32 v90, v89, v90, 0xbeaaaa99
	s_delay_alu instid0(VALU_DEP_1) | instskip(NEXT) | instid1(VALU_DEP_1)
	v_mul_f32_e64 v90, |v70|, v90
	v_fma_f32 v89, v89, v90, |v70|
.LBB71_53:                              ;   in Loop: Header=BB71_9 Depth=1
	s_wait_alu 0xfffe
	s_or_b32 exec_lo, exec_lo, s26
	v_cmp_ngt_f32_e64 s26, 0x3f200000, |v72|
                                        ; implicit-def: $vgpr90
	s_and_saveexec_b32 s27, s26
	s_wait_alu 0xfffe
	s_xor_b32 s26, exec_lo, s27
	s_cbranch_execz .LBB71_55
; %bb.54:                               ;   in Loop: Header=BB71_9 Depth=1
	v_add_f32_e64 v90, |v72|, |v72|
	s_delay_alu instid0(VALU_DEP_1) | instskip(SKIP_1) | instid1(VALU_DEP_2)
	v_mul_f32_e32 v91, 0x3fb8aa3b, v90
	v_cmp_ngt_f32_e32 vcc_lo, 0xc2ce8ed0, v90
	v_rndne_f32_e32 v92, v91
	v_fma_f32 v99, 0x3fb8aa3b, v90, -v91
	s_delay_alu instid0(VALU_DEP_2) | instskip(NEXT) | instid1(VALU_DEP_2)
	v_sub_f32_e32 v91, v91, v92
	v_fmac_f32_e32 v99, 0x32a5705f, v90
	v_cvt_i32_f32_e32 v92, v92
	s_delay_alu instid0(VALU_DEP_2) | instskip(NEXT) | instid1(VALU_DEP_1)
	v_add_f32_e32 v91, v91, v99
	v_exp_f32_e32 v91, v91
	s_delay_alu instid0(TRANS32_DEP_1) | instskip(SKIP_1) | instid1(VALU_DEP_1)
	v_ldexp_f32 v91, v91, v92
	s_wait_alu 0xfffd
	v_cndmask_b32_e32 v91, 0, v91, vcc_lo
	v_cmp_nlt_f32_e32 vcc_lo, 0x42b17218, v90
	s_wait_alu 0xfffd
	s_delay_alu instid0(VALU_DEP_2) | instskip(NEXT) | instid1(VALU_DEP_1)
	v_cndmask_b32_e32 v90, 0x7f800000, v91, vcc_lo
	v_add_f32_e32 v90, 1.0, v90
	s_delay_alu instid0(VALU_DEP_1) | instskip(NEXT) | instid1(TRANS32_DEP_1)
	v_rcp_f32_e32 v90, v90
	v_fma_f32 v90, v90, -2.0, 1.0
.LBB71_55:                              ;   in Loop: Header=BB71_9 Depth=1
	s_wait_alu 0xfffe
	s_and_not1_saveexec_b32 s26, s26
	s_cbranch_execz .LBB71_57
; %bb.56:                               ;   in Loop: Header=BB71_9 Depth=1
	v_mul_f32_e32 v90, v72, v72
	s_delay_alu instid0(VALU_DEP_1) | instskip(NEXT) | instid1(VALU_DEP_1)
	v_fmaak_f32 v91, s3, v90, 0x3ca908c9
	v_fmaak_f32 v91, v90, v91, 0xbd5c1c4e
	s_delay_alu instid0(VALU_DEP_1) | instskip(NEXT) | instid1(VALU_DEP_1)
	v_fmaak_f32 v91, v90, v91, 0x3e088382
	v_fmaak_f32 v91, v90, v91, 0xbeaaaa99
	s_delay_alu instid0(VALU_DEP_1) | instskip(NEXT) | instid1(VALU_DEP_1)
	v_mul_f32_e64 v91, |v72|, v91
	v_fma_f32 v90, v90, v91, |v72|
.LBB71_57:                              ;   in Loop: Header=BB71_9 Depth=1
	s_wait_alu 0xfffe
	s_or_b32 exec_lo, exec_lo, s26
	v_bfi_b32 v70, 0x7fffffff, v89, v70
	s_delay_alu instid0(VALU_DEP_2) | instskip(SKIP_1) | instid1(VALU_DEP_3)
	v_bfi_b32 v72, 0x7fffffff, v90, v72
	v_cmp_ngt_f32_e64 s26, 0x3f200000, |v6|
                                        ; implicit-def: $vgpr91
	v_fma_f32 v90, s5, v70, v81
	s_delay_alu instid0(VALU_DEP_3) | instskip(NEXT) | instid1(VALU_DEP_2)
	v_fma_f32 v89, s5, v72, v80
	v_add_f32_e32 v70, 0x40051340, v90
	s_delay_alu instid0(VALU_DEP_2) | instskip(NEXT) | instid1(VALU_DEP_1)
	v_add_f32_e32 v72, 0x40051340, v89
	v_max3_num_f32 v70, v54, v70, v72
	ds_bpermute_b32 v72, v0, v70
	s_wait_dscnt 0x0
	v_max_num_f32_e32 v72, v72, v72
	s_delay_alu instid0(VALU_DEP_1) | instskip(SKIP_3) | instid1(VALU_DEP_1)
	v_max_num_f32_e32 v70, v70, v72
	ds_bpermute_b32 v72, v87, v70
	s_wait_dscnt 0x0
	v_max_num_f32_e32 v72, v72, v72
	v_max_num_f32_e32 v70, v70, v72
	ds_bpermute_b32 v72, v84, v70
	s_wait_dscnt 0x0
	v_max_num_f32_e32 v72, v72, v72
	s_delay_alu instid0(VALU_DEP_1) | instskip(SKIP_3) | instid1(VALU_DEP_1)
	v_max_num_f32_e32 v70, v70, v72
	ds_bpermute_b32 v72, v83, v70
	s_wait_dscnt 0x0
	v_max_num_f32_e32 v72, v72, v72
	v_max_num_f32_e32 v70, v70, v72
	ds_bpermute_b32 v72, v82, v70
	s_and_saveexec_b32 s27, s26
	s_wait_alu 0xfffe
	s_xor_b32 s26, exec_lo, s27
	s_cbranch_execz .LBB71_59
; %bb.58:                               ;   in Loop: Header=BB71_9 Depth=1
	v_add_f32_e64 v91, |v6|, |v6|
	s_delay_alu instid0(VALU_DEP_1) | instskip(SKIP_1) | instid1(VALU_DEP_2)
	v_mul_f32_e32 v92, 0x3fb8aa3b, v91
	v_cmp_ngt_f32_e32 vcc_lo, 0xc2ce8ed0, v91
	v_rndne_f32_e32 v99, v92
	v_fma_f32 v100, 0x3fb8aa3b, v91, -v92
	s_delay_alu instid0(VALU_DEP_2) | instskip(NEXT) | instid1(VALU_DEP_2)
	v_sub_f32_e32 v92, v92, v99
	v_fmac_f32_e32 v100, 0x32a5705f, v91
	v_cvt_i32_f32_e32 v99, v99
	s_delay_alu instid0(VALU_DEP_2) | instskip(NEXT) | instid1(VALU_DEP_1)
	v_add_f32_e32 v92, v92, v100
	v_exp_f32_e32 v92, v92
	s_delay_alu instid0(TRANS32_DEP_1) | instskip(SKIP_1) | instid1(VALU_DEP_1)
	v_ldexp_f32 v92, v92, v99
	s_wait_alu 0xfffd
	v_cndmask_b32_e32 v92, 0, v92, vcc_lo
	v_cmp_nlt_f32_e32 vcc_lo, 0x42b17218, v91
	s_wait_alu 0xfffd
	s_delay_alu instid0(VALU_DEP_2) | instskip(NEXT) | instid1(VALU_DEP_1)
	v_cndmask_b32_e32 v91, 0x7f800000, v92, vcc_lo
	v_add_f32_e32 v91, 1.0, v91
	s_delay_alu instid0(VALU_DEP_1) | instskip(NEXT) | instid1(TRANS32_DEP_1)
	v_rcp_f32_e32 v91, v91
	v_fma_f32 v91, v91, -2.0, 1.0
.LBB71_59:                              ;   in Loop: Header=BB71_9 Depth=1
	s_wait_alu 0xfffe
	s_and_not1_saveexec_b32 s26, s26
	s_cbranch_execz .LBB71_61
; %bb.60:                               ;   in Loop: Header=BB71_9 Depth=1
	v_mul_f32_e32 v91, v6, v6
	s_delay_alu instid0(VALU_DEP_1) | instskip(NEXT) | instid1(VALU_DEP_1)
	v_fmaak_f32 v92, s3, v91, 0x3ca908c9
	v_fmaak_f32 v92, v91, v92, 0xbd5c1c4e
	s_delay_alu instid0(VALU_DEP_1) | instskip(NEXT) | instid1(VALU_DEP_1)
	v_fmaak_f32 v92, v91, v92, 0x3e088382
	v_fmaak_f32 v92, v91, v92, 0xbeaaaa99
	s_delay_alu instid0(VALU_DEP_1) | instskip(NEXT) | instid1(VALU_DEP_1)
	v_mul_f32_e64 v92, |v6|, v92
	v_fma_f32 v91, v91, v92, |v6|
.LBB71_61:                              ;   in Loop: Header=BB71_9 Depth=1
	s_wait_alu 0xfffe
	s_or_b32 exec_lo, exec_lo, s26
	v_cmp_ngt_f32_e64 s26, 0x3f200000, |v69|
                                        ; implicit-def: $vgpr92
	s_and_saveexec_b32 s27, s26
	s_wait_alu 0xfffe
	s_xor_b32 s26, exec_lo, s27
	s_cbranch_execz .LBB71_63
; %bb.62:                               ;   in Loop: Header=BB71_9 Depth=1
	v_add_f32_e64 v92, |v69|, |v69|
	s_delay_alu instid0(VALU_DEP_1) | instskip(SKIP_1) | instid1(VALU_DEP_2)
	v_mul_f32_e32 v99, 0x3fb8aa3b, v92
	v_cmp_ngt_f32_e32 vcc_lo, 0xc2ce8ed0, v92
	v_rndne_f32_e32 v100, v99
	v_fma_f32 v101, 0x3fb8aa3b, v92, -v99
	s_delay_alu instid0(VALU_DEP_2) | instskip(NEXT) | instid1(VALU_DEP_2)
	v_sub_f32_e32 v99, v99, v100
	v_fmac_f32_e32 v101, 0x32a5705f, v92
	v_cvt_i32_f32_e32 v100, v100
	s_delay_alu instid0(VALU_DEP_2) | instskip(NEXT) | instid1(VALU_DEP_1)
	v_add_f32_e32 v99, v99, v101
	v_exp_f32_e32 v99, v99
	s_delay_alu instid0(TRANS32_DEP_1) | instskip(SKIP_1) | instid1(VALU_DEP_1)
	v_ldexp_f32 v99, v99, v100
	s_wait_alu 0xfffd
	v_cndmask_b32_e32 v99, 0, v99, vcc_lo
	v_cmp_nlt_f32_e32 vcc_lo, 0x42b17218, v92
	s_wait_alu 0xfffd
	s_delay_alu instid0(VALU_DEP_2) | instskip(NEXT) | instid1(VALU_DEP_1)
	v_cndmask_b32_e32 v92, 0x7f800000, v99, vcc_lo
	v_add_f32_e32 v92, 1.0, v92
	s_delay_alu instid0(VALU_DEP_1) | instskip(NEXT) | instid1(TRANS32_DEP_1)
	v_rcp_f32_e32 v92, v92
	v_fma_f32 v92, v92, -2.0, 1.0
.LBB71_63:                              ;   in Loop: Header=BB71_9 Depth=1
	s_wait_alu 0xfffe
	s_and_not1_saveexec_b32 s26, s26
	s_cbranch_execz .LBB71_65
; %bb.64:                               ;   in Loop: Header=BB71_9 Depth=1
	v_mul_f32_e32 v92, v69, v69
	s_delay_alu instid0(VALU_DEP_1) | instskip(NEXT) | instid1(VALU_DEP_1)
	v_fmaak_f32 v99, s3, v92, 0x3ca908c9
	v_fmaak_f32 v99, v92, v99, 0xbd5c1c4e
	s_delay_alu instid0(VALU_DEP_1) | instskip(NEXT) | instid1(VALU_DEP_1)
	v_fmaak_f32 v99, v92, v99, 0x3e088382
	v_fmaak_f32 v99, v92, v99, 0xbeaaaa99
	s_delay_alu instid0(VALU_DEP_1) | instskip(NEXT) | instid1(VALU_DEP_1)
	v_mul_f32_e64 v99, |v69|, v99
	v_fma_f32 v92, v92, v99, |v69|
.LBB71_65:                              ;   in Loop: Header=BB71_9 Depth=1
	s_wait_alu 0xfffe
	s_or_b32 exec_lo, exec_lo, s26
	v_bfi_b32 v6, 0x7fffffff, v91, v6
	s_delay_alu instid0(VALU_DEP_2) | instskip(SKIP_1) | instid1(VALU_DEP_3)
	v_bfi_b32 v69, 0x7fffffff, v92, v69
	v_cmp_ngt_f32_e64 s26, 0x3f200000, |v4|
                                        ; implicit-def: $vgpr99
	v_fma_f32 v92, s5, v6, v81
	s_delay_alu instid0(VALU_DEP_3) | instskip(NEXT) | instid1(VALU_DEP_1)
	v_fma_f32 v91, s5, v69, v80
	v_dual_add_f32 v6, 0x40051340, v92 :: v_dual_add_f32 v69, 0x40051340, v91
	s_delay_alu instid0(VALU_DEP_1) | instskip(SKIP_3) | instid1(VALU_DEP_1)
	v_max3_num_f32 v6, v53, v6, v69
	ds_bpermute_b32 v69, v0, v6
	s_wait_dscnt 0x0
	v_max_num_f32_e32 v69, v69, v69
	v_max_num_f32_e32 v6, v6, v69
	ds_bpermute_b32 v69, v87, v6
	s_wait_dscnt 0x0
	v_max_num_f32_e32 v69, v69, v69
	s_delay_alu instid0(VALU_DEP_1) | instskip(SKIP_3) | instid1(VALU_DEP_1)
	v_max_num_f32_e32 v6, v6, v69
	ds_bpermute_b32 v69, v84, v6
	s_wait_dscnt 0x0
	v_max_num_f32_e32 v69, v69, v69
	v_max_num_f32_e32 v6, v6, v69
	ds_bpermute_b32 v69, v83, v6
	s_wait_dscnt 0x0
	v_max_num_f32_e32 v69, v69, v69
	s_delay_alu instid0(VALU_DEP_1)
	v_max_num_f32_e32 v6, v6, v69
	ds_bpermute_b32 v69, v82, v6
	s_and_saveexec_b32 s27, s26
	s_wait_alu 0xfffe
	s_xor_b32 s26, exec_lo, s27
	s_cbranch_execz .LBB71_67
; %bb.66:                               ;   in Loop: Header=BB71_9 Depth=1
	v_add_f32_e64 v99, |v4|, |v4|
	s_delay_alu instid0(VALU_DEP_1) | instskip(SKIP_1) | instid1(VALU_DEP_2)
	v_mul_f32_e32 v100, 0x3fb8aa3b, v99
	v_cmp_ngt_f32_e32 vcc_lo, 0xc2ce8ed0, v99
	v_rndne_f32_e32 v101, v100
	v_fma_f32 v102, 0x3fb8aa3b, v99, -v100
	s_delay_alu instid0(VALU_DEP_2) | instskip(NEXT) | instid1(VALU_DEP_2)
	v_sub_f32_e32 v100, v100, v101
	v_fmac_f32_e32 v102, 0x32a5705f, v99
	v_cvt_i32_f32_e32 v101, v101
	s_delay_alu instid0(VALU_DEP_2) | instskip(NEXT) | instid1(VALU_DEP_1)
	v_add_f32_e32 v100, v100, v102
	v_exp_f32_e32 v100, v100
	s_delay_alu instid0(TRANS32_DEP_1) | instskip(SKIP_1) | instid1(VALU_DEP_1)
	v_ldexp_f32 v100, v100, v101
	s_wait_alu 0xfffd
	v_cndmask_b32_e32 v100, 0, v100, vcc_lo
	v_cmp_nlt_f32_e32 vcc_lo, 0x42b17218, v99
	s_wait_alu 0xfffd
	s_delay_alu instid0(VALU_DEP_2) | instskip(NEXT) | instid1(VALU_DEP_1)
	v_cndmask_b32_e32 v99, 0x7f800000, v100, vcc_lo
	v_add_f32_e32 v99, 1.0, v99
	s_delay_alu instid0(VALU_DEP_1) | instskip(NEXT) | instid1(TRANS32_DEP_1)
	v_rcp_f32_e32 v99, v99
	v_fma_f32 v99, v99, -2.0, 1.0
.LBB71_67:                              ;   in Loop: Header=BB71_9 Depth=1
	s_wait_alu 0xfffe
	s_and_not1_saveexec_b32 s26, s26
	s_cbranch_execz .LBB71_69
; %bb.68:                               ;   in Loop: Header=BB71_9 Depth=1
	v_mul_f32_e32 v99, v4, v4
	s_delay_alu instid0(VALU_DEP_1) | instskip(NEXT) | instid1(VALU_DEP_1)
	v_fmaak_f32 v100, s3, v99, 0x3ca908c9
	v_fmaak_f32 v100, v99, v100, 0xbd5c1c4e
	s_delay_alu instid0(VALU_DEP_1) | instskip(NEXT) | instid1(VALU_DEP_1)
	v_fmaak_f32 v100, v99, v100, 0x3e088382
	v_fmaak_f32 v100, v99, v100, 0xbeaaaa99
	s_delay_alu instid0(VALU_DEP_1) | instskip(NEXT) | instid1(VALU_DEP_1)
	v_mul_f32_e64 v100, |v4|, v100
	v_fma_f32 v99, v99, v100, |v4|
.LBB71_69:                              ;   in Loop: Header=BB71_9 Depth=1
	s_wait_alu 0xfffe
	s_or_b32 exec_lo, exec_lo, s26
	v_cmp_ngt_f32_e64 s26, 0x3f200000, |v5|
                                        ; implicit-def: $vgpr100
	s_and_saveexec_b32 s27, s26
	s_wait_alu 0xfffe
	s_xor_b32 s26, exec_lo, s27
	s_cbranch_execz .LBB71_71
; %bb.70:                               ;   in Loop: Header=BB71_9 Depth=1
	v_add_f32_e64 v100, |v5|, |v5|
	s_delay_alu instid0(VALU_DEP_1) | instskip(SKIP_1) | instid1(VALU_DEP_2)
	v_mul_f32_e32 v101, 0x3fb8aa3b, v100
	v_cmp_ngt_f32_e32 vcc_lo, 0xc2ce8ed0, v100
	v_rndne_f32_e32 v102, v101
	v_fma_f32 v103, 0x3fb8aa3b, v100, -v101
	s_delay_alu instid0(VALU_DEP_2) | instskip(NEXT) | instid1(VALU_DEP_2)
	v_sub_f32_e32 v101, v101, v102
	v_fmac_f32_e32 v103, 0x32a5705f, v100
	v_cvt_i32_f32_e32 v102, v102
	s_delay_alu instid0(VALU_DEP_2) | instskip(NEXT) | instid1(VALU_DEP_1)
	v_add_f32_e32 v101, v101, v103
	v_exp_f32_e32 v101, v101
	s_delay_alu instid0(TRANS32_DEP_1) | instskip(SKIP_1) | instid1(VALU_DEP_1)
	v_ldexp_f32 v101, v101, v102
	s_wait_alu 0xfffd
	v_cndmask_b32_e32 v101, 0, v101, vcc_lo
	v_cmp_nlt_f32_e32 vcc_lo, 0x42b17218, v100
	s_wait_alu 0xfffd
	s_delay_alu instid0(VALU_DEP_2) | instskip(NEXT) | instid1(VALU_DEP_1)
	v_cndmask_b32_e32 v100, 0x7f800000, v101, vcc_lo
	v_add_f32_e32 v100, 1.0, v100
	s_delay_alu instid0(VALU_DEP_1) | instskip(NEXT) | instid1(TRANS32_DEP_1)
	v_rcp_f32_e32 v100, v100
	v_fma_f32 v100, v100, -2.0, 1.0
.LBB71_71:                              ;   in Loop: Header=BB71_9 Depth=1
	s_wait_alu 0xfffe
	s_and_not1_saveexec_b32 s26, s26
	s_cbranch_execz .LBB71_73
; %bb.72:                               ;   in Loop: Header=BB71_9 Depth=1
	v_mul_f32_e32 v100, v5, v5
	s_delay_alu instid0(VALU_DEP_1) | instskip(NEXT) | instid1(VALU_DEP_1)
	v_fmaak_f32 v101, s3, v100, 0x3ca908c9
	v_fmaak_f32 v101, v100, v101, 0xbd5c1c4e
	s_delay_alu instid0(VALU_DEP_1) | instskip(NEXT) | instid1(VALU_DEP_1)
	v_fmaak_f32 v101, v100, v101, 0x3e088382
	v_fmaak_f32 v101, v100, v101, 0xbeaaaa99
	s_delay_alu instid0(VALU_DEP_1) | instskip(NEXT) | instid1(VALU_DEP_1)
	v_mul_f32_e64 v101, |v5|, v101
	v_fma_f32 v100, v100, v101, |v5|
.LBB71_73:                              ;   in Loop: Header=BB71_9 Depth=1
	s_wait_alu 0xfffe
	s_or_b32 exec_lo, exec_lo, s26
	v_bfi_b32 v4, 0x7fffffff, v99, v4
	s_delay_alu instid0(VALU_DEP_2) | instskip(SKIP_3) | instid1(VALU_DEP_3)
	v_bfi_b32 v5, 0x7fffffff, v100, v5
	v_dual_max_num_f32 v96, v96, v96 :: v_dual_max_num_f32 v93, v93, v93
	s_wait_dscnt 0x0
	v_dual_max_num_f32 v69, v69, v69 :: v_dual_max_num_f32 v6, v6, v6
	v_dual_fmac_f32 v81, s5, v4 :: v_dual_fmac_f32 v80, s5, v5
	v_dual_max_num_f32 v4, v72, v72 :: v_dual_max_num_f32 v5, v70, v70
	v_dual_max_num_f32 v70, v98, v98 :: v_dual_max_num_f32 v71, v71, v71
	s_delay_alu instid0(VALU_DEP_3) | instskip(NEXT) | instid1(VALU_DEP_4)
	v_dual_add_f32 v72, 0x40051340, v81 :: v_dual_max_num_f32 v95, v95, v95
	v_dual_add_f32 v98, 0x40051340, v80 :: v_dual_max_num_f32 v97, v97, v97
	s_delay_alu instid0(VALU_DEP_4) | instskip(SKIP_1) | instid1(VALU_DEP_3)
	v_dual_max_num_f32 v94, v94, v94 :: v_dual_max_num_f32 v5, v5, v4
	v_max_num_f32_e32 v99, v2, v2
	v_max3_num_f32 v72, v11, v72, v98
	v_max_num_f32_e32 v98, v3, v3
	v_dual_max_num_f32 v4, v71, v70 :: v_dual_max_num_f32 v3, v96, v97
	s_mul_u64 s[26:27], s[10:11], s[14:15]
	ds_bpermute_b32 v100, v0, v72
	v_max_num_f32_e32 v0, v1, v1
	s_wait_alu 0xfffe
	s_lshl_b64 s[26:27], s[26:27], 2
	s_wait_dscnt 0x0
	s_wait_alu 0xfffe
	s_add_nc_u64 s[26:27], s[8:9], s[26:27]
	s_barrier_signal -1
	s_barrier_wait -1
	global_inv scope:SCOPE_SE
	v_sub_f32_e32 v73, v73, v3
	v_dual_sub_f32 v59, v59, v3 :: v_dual_sub_f32 v74, v74, v4
	v_max_num_f32_e32 v71, v100, v100
	v_dual_max_num_f32 v1, v98, v93 :: v_dual_max_num_f32 v0, v0, v99
	v_max_num_f32_e32 v6, v6, v69
	s_wait_alu 0xfffe
	v_add_co_u32 v69, vcc_lo, s26, v17
	s_delay_alu instid0(VALU_DEP_3)
	v_dual_max_num_f32 v72, v72, v71 :: v_dual_sub_f32 v77, v77, v1
	v_dual_sub_f32 v66, v66, v0 :: v_dual_sub_f32 v79, v79, v1
	v_sub_f32_e32 v97, v85, v0
	ds_bpermute_b32 v85, v87, v72
	v_dual_mul_f32 v104, 0x3fb8aa3b, v77 :: v_dual_mul_f32 v103, 0x3fb8aa3b, v66
	s_wait_alu 0xfffd
	v_add_co_ci_u32_e64 v70, null, s27, v18, vcc_lo
	v_add_co_u32 v93, vcc_lo, s26, v19
	v_dual_max_num_f32 v2, v94, v95 :: v_dual_sub_f32 v99, v68, v1
	v_dual_sub_f32 v98, v86, v0 :: v_dual_mul_f32 v101, 0x3fb8aa3b, v97
	v_fma_f32 v111, 0x3fb8aa3b, v77, -v104
	s_wait_alu 0xfffd
	v_add_co_ci_u32_e64 v94, null, s27, v20, vcc_lo
	v_add_co_u32 v68, vcc_lo, v69, v36
	s_wait_alu 0xfffd
	v_add_co_ci_u32_e64 v69, null, 0, v70, vcc_lo
	v_add_co_u32 v70, vcc_lo, v93, v36
	v_dual_sub_f32 v100, v88, v2 :: v_dual_fmac_f32 v111, 0x32a5705f, v77
	v_mul_f32_e32 v102, 0x3fb8aa3b, v98
	s_wait_alu 0xfffd
	v_add_co_ci_u32_e64 v71, null, 0, v94, vcc_lo
	s_wait_dscnt 0x0
	v_dual_max_num_f32 v108, v85, v85 :: v_dual_mul_f32 v109, 0x3fb8aa3b, v100
	s_clause 0x1
	global_load_b128 v[85:88], v[68:69], off
	global_load_b128 v[93:96], v[70:71], off
	v_fma_f32 v71, 0x3fb8aa3b, v98, -v102
	v_fma_f32 v68, 0x3fb8aa3b, v97, -v101
	v_rndne_f32_e32 v70, v101
	v_dual_sub_f32 v78, v78, v2 :: v_dual_mul_f32 v105, 0x3fb8aa3b, v79
	s_delay_alu instid0(VALU_DEP_4) | instskip(NEXT) | instid1(VALU_DEP_4)
	v_fmac_f32_e32 v71, 0x32a5705f, v98
	v_dual_max_num_f32 v69, v72, v108 :: v_dual_fmac_f32 v68, 0x32a5705f, v97
	v_rndne_f32_e32 v72, v102
	v_sub_f32_e32 v101, v101, v70
	v_cvt_i32_f32_e32 v70, v70
	ds_bpermute_b32 v84, v84, v69
	v_fma_f32 v108, 0x3fb8aa3b, v66, -v103
	v_sub_f32_e32 v102, v102, v72
	v_add_f32_e32 v68, v101, v68
	v_rndne_f32_e32 v110, v103
	v_rndne_f32_e32 v114, v105
	v_cvt_i32_f32_e32 v72, v72
	v_add_f32_e32 v71, v102, v71
	v_exp_f32_e32 v68, v68
	v_cmp_ngt_f32_e32 vcc_lo, 0xc2ce8ed0, v97
	v_dual_mul_f32 v106, 0x3fb8aa3b, v99 :: v_dual_mul_f32 v107, 0x3fb8aa3b, v78
	s_delay_alu instid0(VALU_DEP_3)
	v_exp_f32_e32 v71, v71
	v_rndne_f32_e32 v112, v104
	v_fma_f32 v113, 0x3fb8aa3b, v79, -v105
	v_fmac_f32_e32 v108, 0x32a5705f, v66
	v_sub_f32_e32 v103, v103, v110
	v_sub_f32_e32 v105, v105, v114
	s_delay_alu instid0(TRANS32_DEP_2)
	v_ldexp_f32 v68, v68, v70
	v_fma_f32 v115, 0x3fb8aa3b, v99, -v106
	s_wait_dscnt 0x0
	v_max_num_f32_e32 v84, v84, v84
	v_rndne_f32_e32 v116, v106
	v_ldexp_f32 v70, v71, v72
	s_wait_alu 0xfffd
	v_cndmask_b32_e32 v68, 0, v68, vcc_lo
	v_cmp_ngt_f32_e32 vcc_lo, 0xc2ce8ed0, v98
	v_max_num_f32_e32 v69, v69, v84
	v_dual_sub_f32 v104, v104, v112 :: v_dual_fmac_f32 v113, 0x32a5705f, v79
	v_add_f32_e32 v84, v103, v108
	s_wait_alu 0xfffd
	v_cndmask_b32_e32 v70, 0, v70, vcc_lo
	ds_bpermute_b32 v83, v83, v69
	v_dual_fmac_f32 v115, 0x32a5705f, v99 :: v_dual_sub_f32 v106, v106, v116
	v_dual_add_f32 v101, v104, v111 :: v_dual_add_f32 v102, v105, v113
	v_exp_f32_e32 v84, v84
	v_cvt_i32_f32_e32 v104, v110
	s_delay_alu instid0(VALU_DEP_3) | instskip(NEXT) | instid1(VALU_DEP_3)
	v_add_f32_e32 v103, v106, v115
	v_exp_f32_e32 v101, v101
	v_exp_f32_e32 v102, v102
	v_cvt_i32_f32_e32 v105, v112
	v_cvt_i32_f32_e32 v106, v114
	v_cmp_ngt_f32_e32 vcc_lo, 0xc2ce8ed0, v66
	v_exp_f32_e32 v103, v103
	v_cvt_i32_f32_e32 v108, v116
	v_ldexp_f32 v71, v84, v104
	v_fma_f32 v117, 0x3fb8aa3b, v78, -v107
	s_or_b32 s26, s10, 32
	v_ldexp_f32 v72, v101, v105
	v_ldexp_f32 v84, v102, v106
	s_wait_dscnt 0x0
	v_max_num_f32_e32 v83, v83, v83
	s_wait_alu 0xfffd
	v_cndmask_b32_e32 v71, 0, v71, vcc_lo
	v_cmp_ngt_f32_e32 vcc_lo, 0xc2ce8ed0, v77
	v_ldexp_f32 v101, v103, v108
	s_wait_alu 0xfffe
	s_ashr_i32 s27, s26, 31
	v_max_num_f32_e32 v83, v69, v83
	s_wait_alu 0xfffe
	s_mul_u64 s[26:27], s[26:27], s[14:15]
	s_wait_alu 0xfffd
	v_cndmask_b32_e32 v69, 0, v72, vcc_lo
	v_cmp_ngt_f32_e32 vcc_lo, 0xc2ce8ed0, v79
	s_wait_alu 0xfffe
	s_lshl_b64 s[26:27], s[26:27], 2
	s_wait_alu 0xfffe
	s_add_nc_u64 s[26:27], s[8:9], s[26:27]
	s_wait_alu 0xfffd
	v_cndmask_b32_e32 v72, 0, v84, vcc_lo
	v_cmp_nlt_f32_e32 vcc_lo, 0x42b17218, v66
	s_wait_alu 0xfffd
	v_cndmask_b32_e32 v66, 0x7f800000, v71, vcc_lo
	v_cmp_ngt_f32_e32 vcc_lo, 0xc2ce8ed0, v99
	s_wait_alu 0xfffd
	v_cndmask_b32_e32 v71, 0, v101, vcc_lo
	v_cmp_nlt_f32_e32 vcc_lo, 0x42b17218, v97
	s_wait_alu 0xfffd
	v_cndmask_b32_e32 v68, 0x7f800000, v68, vcc_lo
	ds_bpermute_b32 v82, v82, v83
	v_cmp_nlt_f32_e32 vcc_lo, 0x42b17218, v98
	s_wait_alu 0xfffd
	v_cndmask_b32_e32 v70, 0x7f800000, v70, vcc_lo
	v_cmp_nlt_f32_e32 vcc_lo, 0x42b17218, v77
	s_wait_dscnt 0x0
	s_wait_alu 0xfffd
	v_dual_max_num_f32 v82, v82, v82 :: v_dual_cndmask_b32 v77, 0x7f800000, v69
	v_add_f32_e32 v69, v68, v70
	v_cvt_f16_f32_e32 v84, v66
	v_cmp_nlt_f32_e32 vcc_lo, 0x42b17218, v79
	v_cvt_f16_f32_e32 v79, v68
	v_cvt_f16_f32_e32 v97, v77
	s_delay_alu instid0(VALU_DEP_4)
	v_dual_fmac_f32 v69, v7, v66 :: v_dual_and_b32 v84, 0xffff, v84
	s_wait_alu 0xfffd
	v_dual_cndmask_b32 v72, 0x7f800000, v72 :: v_dual_max_num_f32 v7, v83, v82
	v_rndne_f32_e32 v82, v109
	v_cmp_nlt_f32_e32 vcc_lo, 0x42b17218, v99
	v_mul_u32_u24_e32 v84, 0x10001, v84
	s_delay_alu instid0(VALU_DEP_4) | instskip(SKIP_2) | instid1(VALU_DEP_3)
	v_cvt_f16_f32_e32 v98, v72
	s_wait_alu 0xfffd
	v_cndmask_b32_e32 v71, 0x7f800000, v71, vcc_lo
	v_pk_mul_f16 v66, v51, v84
	v_rndne_f32_e32 v51, v107
	v_cmp_ngt_f32_e32 vcc_lo, 0xc2ce8ed0, v78
	s_delay_alu instid0(VALU_DEP_2)
	v_sub_f32_e32 v83, v107, v51
	v_cvt_f16_f32_e32 v68, v70
	v_add_f32_e32 v70, v77, v72
	v_pk_mul_f16 v77, v52, v84
	v_fma_f32 v52, 0x3fb8aa3b, v100, -v109
	v_sub_f32_e32 v84, v109, v82
	v_cvt_f16_f32_e32 v72, v71
	v_fmac_f32_e32 v70, v62, v71
	v_cvt_i32_f32_e32 v51, v51
	v_dual_fmac_f32 v52, 0x32a5705f, v100 :: v_dual_fmac_f32 v117, 0x32a5705f, v78
	s_delay_alu instid0(VALU_DEP_4) | instskip(SKIP_1) | instid1(VALU_DEP_3)
	v_and_b32_e32 v62, 0xffff, v72
	v_cvt_i32_f32_e32 v82, v82
	v_dual_sub_f32 v11, v11, v7 :: v_dual_add_f32 v52, v84, v52
	s_delay_alu instid0(VALU_DEP_4) | instskip(NEXT) | instid1(VALU_DEP_4)
	v_dual_sub_f32 v60, v60, v2 :: v_dual_add_f32 v83, v83, v117
	v_mul_u32_u24_e32 v62, 0x10001, v62
	s_delay_alu instid0(VALU_DEP_3) | instskip(NEXT) | instid1(VALU_DEP_2)
	v_exp_f32_e32 v52, v52
	v_exp_f32_e32 v71, v83
	s_delay_alu instid0(VALU_DEP_1) | instskip(SKIP_1) | instid1(TRANS32_DEP_2)
	v_pk_mul_f16 v99, v49, v62
	v_pk_mul_f16 v62, v50, v62
	v_ldexp_f32 v50, v52, v82
	s_delay_alu instid0(TRANS32_DEP_1) | instskip(SKIP_1) | instid1(VALU_DEP_1)
	v_ldexp_f32 v49, v71, v51
	s_wait_alu 0xfffd
	v_dual_mul_f32 v84, 0x3fb8aa3b, v60 :: v_dual_cndmask_b32 v49, 0, v49
	v_cmp_ngt_f32_e32 vcc_lo, 0xc2ce8ed0, v100
	s_delay_alu instid0(VALU_DEP_2)
	v_rndne_f32_e32 v83, v84
	v_fma_f32 v72, 0x3fb8aa3b, v60, -v84
	s_wait_alu 0xfffd
	v_cndmask_b32_e32 v50, 0, v50, vcc_lo
	v_cmp_nlt_f32_e32 vcc_lo, 0x42b17218, v78
	v_sub_f32_e32 v84, v84, v83
	v_cvt_i32_f32_e32 v71, v83
	v_mul_f32_e32 v78, 0x3fb8aa3b, v73
	s_wait_alu 0xfffd
	v_cndmask_b32_e32 v49, 0x7f800000, v49, vcc_lo
	v_cmp_nlt_f32_e32 vcc_lo, 0x42b17218, v100
	s_delay_alu instid0(VALU_DEP_3) | instskip(SKIP_1) | instid1(VALU_DEP_4)
	v_fma_f32 v83, 0x3fb8aa3b, v73, -v78
	v_sub_f32_e32 v52, v75, v3
	v_cvt_f16_f32_e32 v75, v49
	s_wait_alu 0xfffd
	v_cndmask_b32_e32 v50, 0x7f800000, v50, vcc_lo
	v_fmac_f32_e32 v72, 0x32a5705f, v60
	v_cmp_ngt_f32_e32 vcc_lo, 0xc2ce8ed0, v60
	v_fmac_f32_e32 v83, 0x32a5705f, v73
	s_delay_alu instid0(VALU_DEP_3) | instskip(SKIP_1) | instid1(VALU_DEP_2)
	v_add_f32_e32 v51, v84, v72
	v_rndne_f32_e32 v84, v78
	v_exp_f32_e32 v51, v51
	s_delay_alu instid0(TRANS32_DEP_1) | instskip(SKIP_2) | instid1(VALU_DEP_2)
	v_ldexp_f32 v51, v51, v71
	v_add_f32_e32 v71, v49, v50
	s_wait_alu 0xfffd
	v_cndmask_b32_e32 v51, 0, v51, vcc_lo
	v_cmp_nlt_f32_e32 vcc_lo, 0x42b17218, v60
	v_sub_f32_e32 v60, v78, v84
	v_cvt_f16_f32_e32 v78, v50
	v_cvt_i32_f32_e32 v84, v84
	s_wait_alu 0xfffd
	v_cndmask_b32_e32 v51, 0x7f800000, v51, vcc_lo
	v_mul_f32_e32 v72, 0x3fb8aa3b, v52
	v_cmp_ngt_f32_e32 vcc_lo, 0xc2ce8ed0, v52
	s_delay_alu instid0(VALU_DEP_3) | instskip(NEXT) | instid1(VALU_DEP_3)
	v_fmac_f32_e32 v71, v58, v51
	v_fma_f32 v49, 0x3fb8aa3b, v52, -v72
	v_rndne_f32_e32 v82, v72
	v_cvt_f16_f32_e32 v50, v51
	s_delay_alu instid0(VALU_DEP_2) | instskip(SKIP_1) | instid1(VALU_DEP_2)
	v_dual_fmac_f32 v49, 0x32a5705f, v52 :: v_dual_sub_f32 v72, v72, v82
	v_cvt_i32_f32_e32 v82, v82
	v_dual_add_f32 v49, v72, v49 :: v_dual_and_b32 v50, 0xffff, v50
	v_mul_f32_e32 v72, 0x3fb8aa3b, v59
	s_delay_alu instid0(VALU_DEP_2) | instskip(NEXT) | instid1(VALU_DEP_3)
	v_mul_u32_u24_e32 v50, 0x10001, v50
	v_exp_f32_e32 v49, v49
	s_delay_alu instid0(VALU_DEP_2) | instskip(NEXT) | instid1(VALU_DEP_2)
	v_rndne_f32_e32 v100, v72
	v_pk_mul_f16 v58, v48, v50
	s_delay_alu instid0(TRANS32_DEP_1) | instskip(SKIP_3) | instid1(VALU_DEP_3)
	v_ldexp_f32 v49, v49, v82
	v_add_f32_e32 v60, v60, v83
	v_fma_f32 v83, 0x3fb8aa3b, v59, -v72
	s_wait_alu 0xfffd
	v_dual_sub_f32 v72, v72, v100 :: v_dual_cndmask_b32 v49, 0, v49
	s_delay_alu instid0(VALU_DEP_3) | instskip(NEXT) | instid1(VALU_DEP_2)
	v_exp_f32_e32 v60, v60
	v_fmac_f32_e32 v83, 0x32a5705f, v59
	v_cmp_ngt_f32_e32 vcc_lo, 0xc2ce8ed0, v73
	s_delay_alu instid0(VALU_DEP_2) | instskip(SKIP_1) | instid1(TRANS32_DEP_1)
	v_add_f32_e32 v51, v72, v83
	v_mul_f32_e32 v83, 0x3fb8aa3b, v74
	v_ldexp_f32 v48, v60, v84
	s_delay_alu instid0(VALU_DEP_3) | instskip(SKIP_2) | instid1(VALU_DEP_2)
	v_exp_f32_e32 v51, v51
	v_pk_mul_f16 v60, v47, v50
	s_wait_alu 0xfffd
	v_cndmask_b32_e32 v48, 0, v48, vcc_lo
	v_cmp_nlt_f32_e32 vcc_lo, 0x42b17218, v52
	v_cvt_i32_f32_e32 v52, v100
	v_rndne_f32_e32 v100, v83
	s_wait_alu 0xfffd
	v_cndmask_b32_e32 v49, 0x7f800000, v49, vcc_lo
	v_cmp_nlt_f32_e32 vcc_lo, 0x42b17218, v73
	v_ldexp_f32 v50, v51, v52
	v_sub_f32_e32 v51, v76, v4
	s_delay_alu instid0(VALU_DEP_4)
	v_cvt_f16_f32_e32 v47, v49
	s_wait_alu 0xfffd
	v_cndmask_b32_e32 v48, 0x7f800000, v48, vcc_lo
	v_cmp_ngt_f32_e32 vcc_lo, 0xc2ce8ed0, v59
	v_mul_f32_e32 v52, 0x3fb8aa3b, v51
	s_wait_alu 0xfffd
	v_cndmask_b32_e32 v50, 0, v50, vcc_lo
	v_cmp_nlt_f32_e32 vcc_lo, 0x42b17218, v59
	s_delay_alu instid0(VALU_DEP_3)
	v_fma_f32 v59, 0x3fb8aa3b, v51, -v52
	v_add_f32_e32 v72, v49, v48
	v_sub_f32_e32 v49, v57, v4
	v_rndne_f32_e32 v73, v52
	s_wait_alu 0xfffd
	v_cndmask_b32_e32 v50, 0x7f800000, v50, vcc_lo
	v_fmac_f32_e32 v59, 0x32a5705f, v51
	v_cmp_ngt_f32_e32 vcc_lo, 0xc2ce8ed0, v51
	v_mul_f32_e32 v57, 0x3fb8aa3b, v49
	v_sub_f32_e32 v52, v52, v73
	v_cvt_f16_f32_e32 v84, v50
	v_fmac_f32_e32 v72, v56, v50
	v_cvt_i32_f32_e32 v50, v73
	v_fma_f32 v76, 0x3fb8aa3b, v49, -v57
	v_rndne_f32_e32 v82, v57
	v_add_f32_e32 v52, v52, v59
	v_fma_f32 v59, 0x3fb8aa3b, v74, -v83
	s_delay_alu instid0(VALU_DEP_4) | instskip(NEXT) | instid1(VALU_DEP_4)
	v_dual_sub_f32 v83, v83, v100 :: v_dual_fmac_f32 v76, 0x32a5705f, v49
	v_sub_f32_e32 v57, v57, v82
	s_delay_alu instid0(VALU_DEP_4) | instskip(NEXT) | instid1(VALU_DEP_3)
	v_exp_f32_e32 v52, v52
	v_fmac_f32_e32 v59, 0x32a5705f, v74
	v_cvt_f16_f32_e32 v48, v48
	s_delay_alu instid0(VALU_DEP_3) | instskip(SKIP_1) | instid1(VALU_DEP_4)
	v_add_f32_e32 v57, v57, v76
	v_and_b32_e32 v76, 0xffff, v84
	v_add_f32_e32 v56, v83, v59
	v_cvt_i32_f32_e32 v59, v82
	v_pack_b32_f16 v48, v78, v48
	v_exp_f32_e32 v57, v57
	v_mul_u32_u24_e32 v76, 0x10001, v76
	s_delay_alu instid0(VALU_DEP_1) | instskip(SKIP_2) | instid1(TRANS32_DEP_1)
	v_pk_mul_f16 v82, v45, v76
	v_ldexp_f32 v45, v52, v50
	v_pk_mul_f16 v83, v46, v76
	v_ldexp_f32 v50, v57, v59
	s_wait_alu 0xfffd
	s_delay_alu instid0(VALU_DEP_3)
	v_cndmask_b32_e32 v45, 0, v45, vcc_lo
	v_cmp_ngt_f32_e32 vcc_lo, 0xc2ce8ed0, v49
	s_wait_alu 0xfffd
	v_cndmask_b32_e32 v50, 0, v50, vcc_lo
	v_cmp_nlt_f32_e32 vcc_lo, 0x42b17218, v51
	s_wait_alu 0xfffd
	v_cndmask_b32_e32 v45, 0x7f800000, v45, vcc_lo
	v_exp_f32_e32 v46, v56
	v_cvt_i32_f32_e32 v56, v100
	v_cmp_nlt_f32_e32 vcc_lo, 0x42b17218, v49
	v_sub_f32_e32 v52, v90, v5
	v_cvt_f16_f32_e32 v59, v45
	s_wait_alu 0xfffd
	v_cndmask_b32_e32 v49, 0x7f800000, v50, vcc_lo
	s_delay_alu instid0(VALU_DEP_3) | instskip(SKIP_1) | instid1(TRANS32_DEP_1)
	v_mul_f32_e32 v57, 0x3fb8aa3b, v52
	v_cmp_ngt_f32_e32 vcc_lo, 0xc2ce8ed0, v74
	v_ldexp_f32 v46, v46, v56
	s_delay_alu instid0(VALU_DEP_4) | instskip(NEXT) | instid1(VALU_DEP_4)
	v_cvt_f16_f32_e32 v56, v49
	v_fma_f32 v50, 0x3fb8aa3b, v52, -v57
	v_rndne_f32_e32 v51, v57
	s_wait_alu 0xfffd
	v_cndmask_b32_e32 v46, 0, v46, vcc_lo
	v_cmp_nlt_f32_e32 vcc_lo, 0x42b17218, v74
	s_wait_alu 0xfffd
	s_delay_alu instid0(VALU_DEP_2) | instskip(SKIP_2) | instid1(VALU_DEP_3)
	v_dual_sub_f32 v57, v57, v51 :: v_dual_cndmask_b32 v46, 0x7f800000, v46
	v_fmac_f32_e32 v50, 0x32a5705f, v52
	v_cmp_ngt_f32_e32 vcc_lo, 0xc2ce8ed0, v52
	v_dual_add_f32 v73, v45, v46 :: v_dual_and_b32 v56, 0xffff, v56
	s_delay_alu instid0(VALU_DEP_3) | instskip(SKIP_1) | instid1(VALU_DEP_3)
	v_add_f32_e32 v50, v57, v50
	v_sub_f32_e32 v57, v89, v5
	v_mul_u32_u24_e32 v45, 0x10001, v56
	v_sub_f32_e32 v89, v91, v6
	v_fmac_f32_e32 v73, v55, v49
	v_sub_f32_e32 v49, v54, v5
	v_cvt_f16_f32_e32 v76, v46
	v_exp_f32_e32 v46, v50
	v_pk_mul_f16 v55, v43, v45
	v_cvt_i32_f32_e32 v43, v51
	v_mul_f32_e32 v56, 0x3fb8aa3b, v49
	v_pk_mul_f16 v84, v44, v45
	s_delay_alu instid0(VALU_DEP_2)
	v_fma_f32 v45, 0x3fb8aa3b, v49, -v56
	s_delay_alu instid0(TRANS32_DEP_1) | instid1(VALU_DEP_4)
	v_ldexp_f32 v43, v46, v43
	v_rndne_f32_e32 v46, v56
	v_mul_f32_e32 v50, 0x3fb8aa3b, v57
	s_delay_alu instid0(VALU_DEP_4)
	v_fmac_f32_e32 v45, 0x32a5705f, v49
	s_wait_alu 0xfffd
	v_cndmask_b32_e32 v43, 0, v43, vcc_lo
	v_cmp_nlt_f32_e32 vcc_lo, 0x42b17218, v52
	v_fma_f32 v51, 0x3fb8aa3b, v57, -v50
	v_rndne_f32_e32 v54, v50
	s_wait_alu 0xfffd
	v_cndmask_b32_e32 v43, 0x7f800000, v43, vcc_lo
	s_delay_alu instid0(VALU_DEP_2)
	v_dual_fmac_f32 v51, 0x32a5705f, v57 :: v_dual_sub_f32 v44, v50, v54
	v_cvt_i32_f32_e32 v54, v54
	v_sub_f32_e32 v50, v92, v6
	v_cmp_ngt_f32_e32 vcc_lo, 0xc2ce8ed0, v57
	v_cvt_f16_f32_e32 v90, v43
	v_add_f32_e32 v44, v44, v51
	v_sub_f32_e32 v51, v56, v46
	v_cvt_i32_f32_e32 v46, v46
	s_delay_alu instid0(VALU_DEP_2) | instskip(NEXT) | instid1(VALU_DEP_4)
	v_add_f32_e32 v45, v51, v45
	v_exp_f32_e32 v44, v44
	s_delay_alu instid0(VALU_DEP_1) | instskip(NEXT) | instid1(TRANS32_DEP_2)
	v_exp_f32_e32 v45, v45
	v_ldexp_f32 v44, v44, v54
	s_delay_alu instid0(TRANS32_DEP_1) | instskip(SKIP_1) | instid1(VALU_DEP_2)
	v_ldexp_f32 v45, v45, v46
	s_wait_alu 0xfffd
	v_cndmask_b32_e32 v44, 0, v44, vcc_lo
	v_cmp_ngt_f32_e32 vcc_lo, 0xc2ce8ed0, v49
	s_wait_alu 0xfffd
	v_dual_mul_f32 v56, 0x3fb8aa3b, v50 :: v_dual_cndmask_b32 v45, 0, v45
	s_delay_alu instid0(VALU_DEP_1) | instskip(SKIP_2) | instid1(VALU_DEP_2)
	v_fma_f32 v51, 0x3fb8aa3b, v50, -v56
	v_rndne_f32_e32 v52, v56
	v_cmp_nlt_f32_e32 vcc_lo, 0x42b17218, v57
	v_dual_fmac_f32 v51, 0x32a5705f, v50 :: v_dual_sub_f32 v56, v56, v52
	v_mul_f32_e32 v74, 0x3fb8aa3b, v89
	v_cvt_i32_f32_e32 v52, v52
	s_delay_alu instid0(VALU_DEP_3) | instskip(NEXT) | instid1(VALU_DEP_3)
	v_add_f32_e32 v51, v56, v51
	v_fma_f32 v54, 0x3fb8aa3b, v89, -v74
	v_rndne_f32_e32 v56, v74
	s_delay_alu instid0(VALU_DEP_3) | instskip(NEXT) | instid1(VALU_DEP_1)
	v_exp_f32_e32 v46, v51
	v_dual_fmac_f32 v54, 0x32a5705f, v89 :: v_dual_sub_f32 v51, v74, v56
	s_wait_alu 0xfffd
	s_delay_alu instid0(VALU_DEP_1) | instskip(SKIP_1) | instid1(VALU_DEP_2)
	v_dual_add_f32 v51, v51, v54 :: v_dual_cndmask_b32 v44, 0x7f800000, v44
	v_cmp_nlt_f32_e32 vcc_lo, 0x42b17218, v49
	v_cvt_f16_f32_e32 v49, v44
	s_wait_alu 0xfffd
	v_cndmask_b32_e32 v54, 0x7f800000, v45, vcc_lo
	v_cmp_ngt_f32_e32 vcc_lo, 0xc2ce8ed0, v50
	v_add_f32_e32 v74, v43, v44
	v_ldexp_f32 v43, v46, v52
	v_exp_f32_e32 v44, v51
	v_cvt_i32_f32_e32 v51, v56
	v_cvt_f16_f32_e32 v45, v54
	v_pack_b32_f16 v49, v76, v49
	s_wait_alu 0xfffd
	v_cndmask_b32_e32 v43, 0, v43, vcc_lo
	v_cmp_nlt_f32_e32 vcc_lo, 0x42b17218, v50
	v_sub_f32_e32 v46, v53, v6
	s_wait_alu 0xfffd
	s_delay_alu instid0(VALU_DEP_3) | instskip(SKIP_1) | instid1(VALU_DEP_3)
	v_dual_fmac_f32 v74, v10, v54 :: v_dual_cndmask_b32 v53, 0x7f800000, v43
	v_ldexp_f32 v43, v44, v51
	v_mul_f32_e32 v44, 0x3fb8aa3b, v46
	v_cmp_ngt_f32_e32 vcc_lo, 0xc2ce8ed0, v89
	v_and_b32_e32 v56, 0xffff, v45
	v_cvt_f16_f32_e32 v50, v53
	s_delay_alu instid0(VALU_DEP_4)
	v_fma_f32 v51, 0x3fb8aa3b, v46, -v44
	v_sub_f32_e32 v52, v81, v7
	s_wait_alu 0xfffd
	v_cndmask_b32_e32 v43, 0, v43, vcc_lo
	v_cmp_nlt_f32_e32 vcc_lo, 0x42b17218, v89
	v_fmac_f32_e32 v51, 0x32a5705f, v46
	v_mul_f32_e32 v45, 0x3fb8aa3b, v52
	v_rndne_f32_e32 v91, v44
	s_wait_alu 0xfffd
	v_cndmask_b32_e32 v89, 0x7f800000, v43, vcc_lo
	v_cmp_ngt_f32_e32 vcc_lo, 0xc2ce8ed0, v52
	v_fma_f32 v57, 0x3fb8aa3b, v52, -v45
	v_sub_f32_e32 v80, v80, v7
	v_rndne_f32_e32 v81, v45
	v_sub_f32_e32 v44, v44, v91
	s_delay_alu instid0(VALU_DEP_4) | instskip(NEXT) | instid1(VALU_DEP_4)
	v_dual_add_f32 v76, v53, v89 :: v_dual_fmac_f32 v57, 0x32a5705f, v52
	v_mul_f32_e32 v43, 0x3fb8aa3b, v80
	s_delay_alu instid0(VALU_DEP_3) | instskip(SKIP_2) | instid1(VALU_DEP_4)
	v_dual_sub_f32 v45, v45, v81 :: v_dual_add_f32 v44, v44, v51
	v_cvt_i32_f32_e32 v51, v81
	v_cvt_f16_f32_e32 v81, v89
	v_fma_f32 v92, 0x3fb8aa3b, v80, -v43
	s_delay_alu instid0(VALU_DEP_4)
	v_add_f32_e32 v45, v45, v57
	v_rndne_f32_e32 v100, v43
	v_mul_f32_e32 v57, 0x3fb8aa3b, v11
	v_exp_f32_e32 v44, v44
	v_fmac_f32_e32 v92, 0x32a5705f, v80
	v_exp_f32_e32 v45, v45
	v_sub_f32_e32 v43, v43, v100
	v_fma_f32 v101, 0x3fb8aa3b, v11, -v57
	v_rndne_f32_e32 v102, v57
	s_delay_alu instid0(VALU_DEP_2) | instskip(NEXT) | instid1(VALU_DEP_2)
	v_fmac_f32_e32 v101, 0x32a5705f, v11
	v_sub_f32_e32 v57, v57, v102
	s_delay_alu instid0(TRANS32_DEP_1) | instskip(NEXT) | instid1(VALU_DEP_2)
	v_ldexp_f32 v45, v45, v51
	v_add_f32_e32 v51, v57, v101
	v_cvt_i32_f32_e32 v57, v91
	s_wait_alu 0xfffd
	s_delay_alu instid0(VALU_DEP_3)
	v_cndmask_b32_e32 v45, 0, v45, vcc_lo
	v_cmp_nlt_f32_e32 vcc_lo, 0x42b17218, v52
	v_add_f32_e32 v43, v43, v92
	v_cvt_i32_f32_e32 v91, v100
	v_exp_f32_e32 v51, v51
	v_ldexp_f32 v44, v44, v57
	s_wait_alu 0xfffd
	v_cndmask_b32_e32 v52, 0x7f800000, v45, vcc_lo
	v_exp_f32_e32 v43, v43
	v_cmp_ngt_f32_e32 vcc_lo, 0xc2ce8ed0, v80
	v_cvt_i32_f32_e32 v45, v102
	s_delay_alu instid0(TRANS32_DEP_2) | instid1(VALU_DEP_1)
	v_ldexp_f32 v45, v51, v45
	v_cvt_f16_f32_e32 v51, v52
	s_delay_alu instid0(TRANS32_DEP_1) | instskip(SKIP_1) | instid1(VALU_DEP_1)
	v_ldexp_f32 v43, v43, v91
	s_wait_alu 0xfffd
	v_cndmask_b32_e32 v43, 0, v43, vcc_lo
	v_cmp_ngt_f32_e32 vcc_lo, 0xc2ce8ed0, v46
	s_wait_alu 0xfffd
	v_cndmask_b32_e32 v44, 0, v44, vcc_lo
	v_cmp_nlt_f32_e32 vcc_lo, 0x42b17218, v80
	s_wait_alu 0xfffd
	v_cndmask_b32_e32 v57, 0x7f800000, v43, vcc_lo
	v_cmp_ngt_f32_e32 vcc_lo, 0xc2ce8ed0, v11
	s_delay_alu instid0(VALU_DEP_2)
	v_cvt_f16_f32_e32 v91, v57
	s_wait_alu 0xfffd
	v_cndmask_b32_e32 v43, 0, v45, vcc_lo
	v_cmp_nlt_f32_e32 vcc_lo, 0x42b17218, v46
	v_pack_b32_f16 v46, v50, v51
	v_pack_b32_f16 v45, v59, v90
	;; [unrolled: 1-line block ×3, first 2 shown]
	v_mul_u32_u24_e32 v51, 0x10001, v56
	s_wait_alu 0xfffd
	v_cndmask_b32_e32 v80, 0x7f800000, v44, vcc_lo
	v_cmp_nlt_f32_e32 vcc_lo, 0x42b17218, v11
	v_pack_b32_f16 v44, v75, v47
	v_pack_b32_f16 v47, v68, v98
	v_add_f32_e32 v75, v52, v57
	v_cvt_f16_f32_e32 v56, v80
	s_wait_alu 0xfffd
	v_cndmask_b32_e32 v11, 0x7f800000, v43, vcc_lo
	v_pack_b32_f16 v43, v79, v97
	ds_store_b128 v35, v[43:46]
	ds_store_b128 v35, v[47:50] offset:512
	s_wait_loadcnt 0x1
	ds_store_b128 v31, v[85:88]
	s_wait_loadcnt 0x0
	ds_store_b128 v32, v[93:96]
	v_cvt_f16_f32_e32 v59, v11
	s_wait_dscnt 0x0
	s_barrier_signal -1
	s_barrier_wait -1
	global_inv scope:SCOPE_SE
	ds_load_b128 v[43:46], v30
	v_and_b32_e32 v47, 0xffff, v56
	v_and_b32_e32 v10, 0xffff, v59
	v_pk_mul_f16 v41, v41, v51
	v_pk_mul_f16 v42, v42, v51
	v_fmac_f32_e32 v76, v9, v80
	v_mul_u32_u24_e32 v47, 0x10001, v47
	v_mul_u32_u24_e32 v10, 0x10001, v10
	v_fmac_f32_e32 v75, v8, v11
	s_delay_alu instid0(VALU_DEP_3) | instskip(SKIP_1) | instid1(VALU_DEP_4)
	v_pk_mul_f16 v56, v39, v47
	v_pk_mul_f16 v57, v40, v47
	;; [unrolled: 1-line block ×4, first 2 shown]
	ds_load_2addr_b64 v[8:11], v33 offset1:32
	ds_load_b128 v[37:40], v30 offset:16
	ds_load_b128 v[47:50], v30 offset:32
	;; [unrolled: 1-line block ×3, first 2 shown]
	s_wait_dscnt 0x4
	v_lshrrev_b32_e32 v78, 16, v43
	v_and_b32_e32 v43, 0xffff, v43
	v_lshrrev_b32_e32 v79, 16, v44
	v_lshrrev_b32_e32 v80, 16, v45
	;; [unrolled: 1-line block ×3, first 2 shown]
	v_and_b32_e32 v44, 0xffff, v44
	v_and_b32_e32 v45, 0xffff, v45
	;; [unrolled: 1-line block ×3, first 2 shown]
	v_mul_u32_u24_e32 v43, 0x10001, v43
	v_mul_u32_u24_e32 v78, 0x10001, v78
	;; [unrolled: 1-line block ×8, first 2 shown]
	s_wait_dscnt 0x3
	v_pk_fma_f16 v66, v8, v43, v66
	v_pk_fma_f16 v85, v8, v78, v99
	;; [unrolled: 1-line block ×16, first 2 shown]
	s_wait_dscnt 0x2
	v_lshrrev_b32_e32 v57, 16, v37
	v_and_b32_e32 v37, 0xffff, v37
	v_lshrrev_b32_e32 v62, 16, v38
	v_lshrrev_b32_e32 v68, 16, v39
	;; [unrolled: 1-line block ×3, first 2 shown]
	v_and_b32_e32 v38, 0xffff, v38
	v_and_b32_e32 v39, 0xffff, v39
	;; [unrolled: 1-line block ×3, first 2 shown]
	v_mul_u32_u24_e32 v37, 0x10001, v37
	v_mul_u32_u24_e32 v57, 0x10001, v57
	;; [unrolled: 1-line block ×8, first 2 shown]
	v_pk_fma_f16 v66, v10, v37, v66
	v_pk_fma_f16 v79, v10, v57, v85
	;; [unrolled: 1-line block ×11, first 2 shown]
	ds_load_2addr_b64 v[37:40], v33 offset0:64 offset1:96
	v_pk_fma_f16 v43, v11, v57, v59
	v_pk_fma_f16 v57, v11, v62, v60
	;; [unrolled: 1-line block ×5, first 2 shown]
	s_wait_dscnt 0x2
	v_lshrrev_b32_e32 v11, 16, v47
	v_and_b32_e32 v47, 0xffff, v47
	v_lshrrev_b32_e32 v59, 16, v48
	v_lshrrev_b32_e32 v60, 16, v49
	;; [unrolled: 1-line block ×3, first 2 shown]
	v_and_b32_e32 v48, 0xffff, v48
	v_and_b32_e32 v49, 0xffff, v49
	;; [unrolled: 1-line block ×3, first 2 shown]
	v_mul_u32_u24_e32 v47, 0x10001, v47
	v_mul_u32_u24_e32 v11, 0x10001, v11
	;; [unrolled: 1-line block ×8, first 2 shown]
	s_wait_dscnt 0x0
	v_pk_fma_f16 v66, v37, v47, v66
	v_pk_fma_f16 v68, v37, v11, v79
	v_pk_fma_f16 v58, v37, v48, v58
	v_pk_fma_f16 v77, v37, v59, v80
	v_pk_fma_f16 v55, v37, v49, v55
	v_pk_fma_f16 v41, v37, v60, v41
	v_pk_fma_f16 v56, v37, v50, v56
	v_pk_fma_f16 v37, v37, v62, v8
	v_pk_fma_f16 v47, v38, v47, v10
	v_pk_fma_f16 v43, v38, v11, v43
	v_pk_fma_f16 v44, v38, v48, v44
	v_pk_fma_f16 v48, v38, v59, v57
	v_pk_fma_f16 v45, v38, v49, v45
	v_pk_fma_f16 v42, v38, v60, v42
	v_pk_fma_f16 v46, v38, v50, v46
	v_pk_fma_f16 v38, v38, v62, v9
	v_lshrrev_b32_e32 v8, 16, v51
	v_and_b32_e32 v9, 0xffff, v51
	v_lshrrev_b32_e32 v10, 16, v52
	v_lshrrev_b32_e32 v11, 16, v53
	v_and_b32_e32 v50, 0xffff, v52
	v_mul_u32_u24_e32 v52, 0x10001, v8
	v_mul_u32_u24_e32 v51, 0x10001, v9
	v_and_b32_e32 v9, 0xffff, v53
	v_and_b32_e32 v8, 0xffff, v54
	v_lshrrev_b32_e32 v49, 16, v54
	v_mul_u32_u24_e32 v53, 0x10001, v10
	v_mul_u32_u24_e32 v57, 0x10001, v11
	;; [unrolled: 1-line block ×4, first 2 shown]
	ds_load_b128 v[8:11], v30 offset:64
	v_mul_u32_u24_e32 v50, 0x10001, v50
	v_mul_u32_u24_e32 v49, 0x10001, v49
	v_pk_fma_f16 v60, v39, v51, v66
	v_pk_fma_f16 v62, v39, v52, v68
	;; [unrolled: 1-line block ×14, first 2 shown]
	ds_load_2addr_b64 v[41:44], v33 offset0:128 offset1:160
	v_pk_fma_f16 v46, v40, v59, v46
	v_pk_fma_f16 v49, v40, v49, v38
	ds_load_b128 v[37:40], v30 offset:80
	s_wait_dscnt 0x2
	v_lshrrev_b32_e32 v53, 16, v8
	v_and_b32_e32 v8, 0xffff, v8
	v_lshrrev_b32_e32 v54, 16, v9
	v_and_b32_e32 v9, 0xffff, v9
	v_lshrrev_b32_e32 v57, 16, v10
	v_lshrrev_b32_e32 v59, 16, v11
	v_mul_u32_u24_e32 v8, 0x10001, v8
	v_and_b32_e32 v10, 0xffff, v10
	v_and_b32_e32 v11, 0xffff, v11
	v_mul_u32_u24_e32 v9, 0x10001, v9
	v_mul_u32_u24_e32 v53, 0x10001, v53
	v_mul_u32_u24_e32 v54, 0x10001, v54
	v_mul_u32_u24_e32 v10, 0x10001, v10
	v_mul_u32_u24_e32 v57, 0x10001, v57
	v_mul_u32_u24_e32 v11, 0x10001, v11
	v_mul_u32_u24_e32 v59, 0x10001, v59
	s_wait_dscnt 0x1
	v_pk_fma_f16 v60, v41, v8, v60
	v_pk_fma_f16 v58, v41, v9, v58
	;; [unrolled: 1-line block ×4, first 2 shown]
	s_wait_dscnt 0x0
	v_lshrrev_b32_e32 v8, 16, v37
	v_and_b32_e32 v9, 0xffff, v37
	v_pk_fma_f16 v55, v41, v10, v55
	v_pk_fma_f16 v56, v41, v11, v56
	;; [unrolled: 1-line block ×8, first 2 shown]
	v_lshrrev_b32_e32 v10, 16, v38
	v_lshrrev_b32_e32 v11, 16, v39
	v_mul_u32_u24_e32 v49, 0x10001, v9
	v_and_b32_e32 v9, 0xffff, v39
	v_mul_u32_u24_e32 v39, 0x10001, v8
	v_and_b32_e32 v8, 0xffff, v40
	v_pk_fma_f16 v62, v41, v53, v62
	v_pk_fma_f16 v66, v41, v54, v66
	v_pk_fma_f16 v68, v41, v57, v68
	v_lshrrev_b32_e32 v37, 16, v40
	v_and_b32_e32 v38, 0xffff, v38
	v_mul_u32_u24_e32 v40, 0x10001, v10
	v_mul_u32_u24_e32 v53, 0x10001, v9
	;; [unrolled: 1-line block ×4, first 2 shown]
	ds_load_b128 v[8:11], v30 offset:96
	v_pk_fma_f16 v41, v41, v59, v77
	v_mul_u32_u24_e32 v38, 0x10001, v38
	v_mul_u32_u24_e32 v59, 0x10001, v37
	v_pk_fma_f16 v60, v43, v49, v60
	v_pk_fma_f16 v62, v43, v39, v62
	;; [unrolled: 1-line block ×14, first 2 shown]
	ds_load_2addr_b64 v[37:40], v33 offset0:192 offset1:224
	v_pk_fma_f16 v46, v44, v57, v46
	v_pk_fma_f16 v52, v44, v59, v42
	ds_load_b128 v[41:44], v30 offset:112
	s_wait_dscnt 0x2
	v_lshrrev_b32_e32 v53, 16, v8
	v_and_b32_e32 v8, 0xffff, v8
	v_lshrrev_b32_e32 v54, 16, v9
	v_and_b32_e32 v9, 0xffff, v9
	v_lshrrev_b32_e32 v57, 16, v10
	v_lshrrev_b32_e32 v59, 16, v11
	v_mul_u32_u24_e32 v8, 0x10001, v8
	v_and_b32_e32 v10, 0xffff, v10
	v_and_b32_e32 v11, 0xffff, v11
	v_mul_u32_u24_e32 v9, 0x10001, v9
	v_mul_u32_u24_e32 v53, 0x10001, v53
	;; [unrolled: 1-line block ×7, first 2 shown]
	s_wait_dscnt 0x1
	v_pk_fma_f16 v60, v37, v8, v60
	v_pk_fma_f16 v58, v37, v9, v58
	;; [unrolled: 1-line block ×4, first 2 shown]
	s_wait_dscnt 0x0
	v_lshrrev_b32_e32 v8, 16, v41
	v_and_b32_e32 v9, 0xffff, v41
	v_pk_fma_f16 v55, v37, v10, v55
	v_pk_fma_f16 v56, v37, v11, v56
	;; [unrolled: 1-line block ×8, first 2 shown]
	v_lshrrev_b32_e32 v10, 16, v42
	v_lshrrev_b32_e32 v11, 16, v43
	;; [unrolled: 1-line block ×3, first 2 shown]
	v_and_b32_e32 v42, 0xffff, v42
	v_mul_u32_u24_e32 v52, 0x10001, v9
	v_and_b32_e32 v9, 0xffff, v43
	v_mul_u32_u24_e32 v43, 0x10001, v8
	v_and_b32_e32 v8, 0xffff, v44
	v_pk_fma_f16 v62, v37, v53, v62
	v_pk_fma_f16 v66, v37, v54, v66
	;; [unrolled: 1-line block ×4, first 2 shown]
	v_mul_u32_u24_e32 v42, 0x10001, v42
	v_mul_u32_u24_e32 v44, 0x10001, v10
	;; [unrolled: 1-line block ×6, first 2 shown]
	ds_load_b128 v[8:11], v30 offset:128
	v_pk_fma_f16 v60, v39, v52, v60
	v_pk_fma_f16 v62, v39, v43, v62
	;; [unrolled: 1-line block ×8, first 2 shown]
	v_add_nc_u32_e32 v37, 0x800, v33
	v_pk_fma_f16 v52, v40, v52, v47
	v_pk_fma_f16 v49, v40, v43, v49
	;; [unrolled: 1-line block ×6, first 2 shown]
	ds_load_2addr_b64 v[41:44], v37 offset1:32
	v_pk_fma_f16 v54, v40, v57, v46
	ds_load_b128 v[45:48], v30 offset:144
	v_pk_fma_f16 v38, v40, v59, v38
	s_wait_dscnt 0x2
	v_lshrrev_b32_e32 v40, 16, v8
	v_and_b32_e32 v8, 0xffff, v8
	v_lshrrev_b32_e32 v57, 16, v9
	v_lshrrev_b32_e32 v59, 16, v10
	;; [unrolled: 1-line block ×3, first 2 shown]
	v_and_b32_e32 v9, 0xffff, v9
	v_and_b32_e32 v10, 0xffff, v10
	;; [unrolled: 1-line block ×3, first 2 shown]
	v_mul_u32_u24_e32 v8, 0x10001, v8
	v_mul_u32_u24_e32 v40, 0x10001, v40
	;; [unrolled: 1-line block ×8, first 2 shown]
	s_wait_dscnt 0x1
	v_pk_fma_f16 v60, v41, v8, v60
	v_pk_fma_f16 v62, v41, v40, v62
	;; [unrolled: 1-line block ×11, first 2 shown]
	s_wait_dscnt 0x0
	v_lshrrev_b32_e32 v8, 16, v45
	v_and_b32_e32 v9, 0xffff, v45
	v_pk_fma_f16 v52, v42, v10, v53
	v_pk_fma_f16 v53, v42, v11, v54
	v_lshrrev_b32_e32 v10, 16, v46
	v_lshrrev_b32_e32 v11, 16, v47
	v_and_b32_e32 v45, 0xffff, v46
	v_mul_u32_u24_e32 v46, 0x10001, v9
	v_and_b32_e32 v9, 0xffff, v47
	v_mul_u32_u24_e32 v47, 0x10001, v8
	v_and_b32_e32 v8, 0xffff, v48
	v_pk_fma_f16 v50, v42, v57, v77
	v_pk_fma_f16 v51, v42, v59, v51
	;; [unrolled: 1-line block ×3, first 2 shown]
	v_lshrrev_b32_e32 v38, 16, v48
	v_mul_u32_u24_e32 v48, 0x10001, v10
	v_mul_u32_u24_e32 v54, 0x10001, v9
	;; [unrolled: 1-line block ×4, first 2 shown]
	ds_load_b128 v[8:11], v30 offset:160
	v_mul_u32_u24_e32 v45, 0x10001, v45
	v_mul_u32_u24_e32 v77, 0x10001, v38
	v_pk_fma_f16 v60, v43, v46, v60
	v_pk_fma_f16 v62, v43, v47, v62
	;; [unrolled: 1-line block ×14, first 2 shown]
	ds_load_2addr_b64 v[38:41], v37 offset0:64 offset1:96
	v_pk_fma_f16 v52, v44, v59, v53
	v_pk_fma_f16 v53, v44, v77, v42
	ds_load_b128 v[42:45], v30 offset:176
	s_wait_dscnt 0x2
	v_lshrrev_b32_e32 v54, 16, v8
	v_and_b32_e32 v8, 0xffff, v8
	v_lshrrev_b32_e32 v57, 16, v9
	v_and_b32_e32 v9, 0xffff, v9
	v_lshrrev_b32_e32 v59, 16, v10
	v_lshrrev_b32_e32 v77, 16, v11
	v_mul_u32_u24_e32 v8, 0x10001, v8
	v_and_b32_e32 v10, 0xffff, v10
	v_and_b32_e32 v11, 0xffff, v11
	v_mul_u32_u24_e32 v9, 0x10001, v9
	v_mul_u32_u24_e32 v54, 0x10001, v54
	v_mul_u32_u24_e32 v57, 0x10001, v57
	v_mul_u32_u24_e32 v10, 0x10001, v10
	v_mul_u32_u24_e32 v59, 0x10001, v59
	v_mul_u32_u24_e32 v11, 0x10001, v11
	v_mul_u32_u24_e32 v77, 0x10001, v77
	s_wait_dscnt 0x1
	v_pk_fma_f16 v60, v38, v8, v60
	v_pk_fma_f16 v58, v38, v9, v58
	;; [unrolled: 1-line block ×4, first 2 shown]
	s_wait_dscnt 0x0
	v_lshrrev_b32_e32 v8, 16, v42
	v_and_b32_e32 v9, 0xffff, v42
	v_pk_fma_f16 v55, v38, v10, v55
	v_pk_fma_f16 v56, v38, v11, v56
	;; [unrolled: 1-line block ×8, first 2 shown]
	v_lshrrev_b32_e32 v10, 16, v43
	v_lshrrev_b32_e32 v11, 16, v44
	v_mul_u32_u24_e32 v53, 0x10001, v9
	v_and_b32_e32 v9, 0xffff, v44
	v_mul_u32_u24_e32 v44, 0x10001, v8
	v_and_b32_e32 v8, 0xffff, v45
	v_pk_fma_f16 v62, v38, v54, v62
	v_pk_fma_f16 v66, v38, v57, v66
	;; [unrolled: 1-line block ×3, first 2 shown]
	v_lshrrev_b32_e32 v42, 16, v45
	v_and_b32_e32 v43, 0xffff, v43
	v_mul_u32_u24_e32 v45, 0x10001, v10
	v_mul_u32_u24_e32 v54, 0x10001, v9
	;; [unrolled: 1-line block ×4, first 2 shown]
	ds_load_b128 v[8:11], v30 offset:192
	v_pk_fma_f16 v38, v38, v77, v78
	v_mul_u32_u24_e32 v43, 0x10001, v43
	v_mul_u32_u24_e32 v77, 0x10001, v42
	v_pk_fma_f16 v60, v40, v53, v60
	v_pk_fma_f16 v62, v40, v44, v62
	;; [unrolled: 1-line block ×14, first 2 shown]
	ds_load_2addr_b64 v[42:45], v37 offset0:128 offset1:160
	v_pk_fma_f16 v52, v41, v59, v52
	v_pk_fma_f16 v53, v41, v77, v39
	ds_load_b128 v[38:41], v30 offset:208
	s_wait_dscnt 0x2
	v_lshrrev_b32_e32 v54, 16, v8
	v_and_b32_e32 v8, 0xffff, v8
	v_lshrrev_b32_e32 v57, 16, v9
	v_and_b32_e32 v9, 0xffff, v9
	v_lshrrev_b32_e32 v59, 16, v10
	v_lshrrev_b32_e32 v77, 16, v11
	v_mul_u32_u24_e32 v8, 0x10001, v8
	v_and_b32_e32 v10, 0xffff, v10
	v_and_b32_e32 v11, 0xffff, v11
	v_mul_u32_u24_e32 v9, 0x10001, v9
	v_mul_u32_u24_e32 v54, 0x10001, v54
	;; [unrolled: 1-line block ×7, first 2 shown]
	s_wait_dscnt 0x1
	v_pk_fma_f16 v60, v42, v8, v60
	v_pk_fma_f16 v58, v42, v9, v58
	;; [unrolled: 1-line block ×4, first 2 shown]
	s_wait_dscnt 0x0
	v_lshrrev_b32_e32 v8, 16, v38
	v_and_b32_e32 v9, 0xffff, v38
	v_pk_fma_f16 v55, v42, v10, v55
	v_pk_fma_f16 v56, v42, v11, v56
	;; [unrolled: 1-line block ×8, first 2 shown]
	v_lshrrev_b32_e32 v10, 16, v39
	v_lshrrev_b32_e32 v11, 16, v40
	v_mul_u32_u24_e32 v53, 0x10001, v9
	v_and_b32_e32 v9, 0xffff, v40
	v_mul_u32_u24_e32 v40, 0x10001, v8
	v_and_b32_e32 v8, 0xffff, v41
	v_pk_fma_f16 v62, v42, v54, v62
	v_pk_fma_f16 v66, v42, v57, v66
	;; [unrolled: 1-line block ×3, first 2 shown]
	v_lshrrev_b32_e32 v38, 16, v41
	v_and_b32_e32 v39, 0xffff, v39
	v_mul_u32_u24_e32 v41, 0x10001, v10
	v_mul_u32_u24_e32 v54, 0x10001, v9
	;; [unrolled: 1-line block ×4, first 2 shown]
	ds_load_b128 v[8:11], v30 offset:224
	v_pk_fma_f16 v42, v42, v77, v78
	v_mul_u32_u24_e32 v39, 0x10001, v39
	v_mul_u32_u24_e32 v77, 0x10001, v38
	v_pk_fma_f16 v60, v44, v53, v60
	v_pk_fma_f16 v62, v44, v40, v62
	;; [unrolled: 1-line block ×14, first 2 shown]
	ds_load_2addr_b64 v[38:41], v37 offset0:192 offset1:224
	v_pk_fma_f16 v52, v45, v59, v52
	v_pk_fma_f16 v53, v45, v77, v43
	ds_load_b128 v[42:45], v30 offset:240
	s_wait_dscnt 0x2
	v_lshrrev_b32_e32 v54, 16, v8
	v_and_b32_e32 v8, 0xffff, v8
	v_lshrrev_b32_e32 v57, 16, v9
	v_and_b32_e32 v9, 0xffff, v9
	v_lshrrev_b32_e32 v59, 16, v10
	v_lshrrev_b32_e32 v77, 16, v11
	v_mul_u32_u24_e32 v8, 0x10001, v8
	v_and_b32_e32 v10, 0xffff, v10
	v_and_b32_e32 v11, 0xffff, v11
	v_mul_u32_u24_e32 v9, 0x10001, v9
	v_mul_u32_u24_e32 v54, 0x10001, v54
	;; [unrolled: 1-line block ×7, first 2 shown]
	s_wait_dscnt 0x1
	v_pk_fma_f16 v60, v38, v8, v60
	v_pk_fma_f16 v58, v38, v9, v58
	;; [unrolled: 1-line block ×4, first 2 shown]
	s_wait_dscnt 0x0
	v_lshrrev_b32_e32 v8, 16, v42
	v_and_b32_e32 v9, 0xffff, v42
	v_pk_fma_f16 v55, v38, v10, v55
	v_pk_fma_f16 v56, v38, v11, v56
	;; [unrolled: 1-line block ×8, first 2 shown]
	v_lshrrev_b32_e32 v10, 16, v43
	v_lshrrev_b32_e32 v11, 16, v44
	;; [unrolled: 1-line block ×3, first 2 shown]
	v_and_b32_e32 v43, 0xffff, v43
	v_mul_u32_u24_e32 v53, 0x10001, v9
	v_and_b32_e32 v9, 0xffff, v44
	v_mul_u32_u24_e32 v44, 0x10001, v8
	v_and_b32_e32 v8, 0xffff, v45
	v_pk_fma_f16 v62, v38, v54, v62
	v_pk_fma_f16 v66, v38, v57, v66
	;; [unrolled: 1-line block ×4, first 2 shown]
	v_mul_u32_u24_e32 v43, 0x10001, v43
	v_mul_u32_u24_e32 v45, 0x10001, v10
	;; [unrolled: 1-line block ×6, first 2 shown]
	ds_load_b128 v[8:11], v30 offset:256
	v_pk_fma_f16 v60, v40, v53, v60
	v_pk_fma_f16 v62, v40, v44, v62
	;; [unrolled: 1-line block ×8, first 2 shown]
	v_add_nc_u32_e32 v38, 0x1000, v33
	v_pk_fma_f16 v53, v41, v53, v46
	v_pk_fma_f16 v78, v41, v44, v47
	;; [unrolled: 1-line block ×4, first 2 shown]
	ds_load_2addr_b64 v[42:45], v38 offset1:32
	ds_load_b128 v[46:49], v30 offset:272
	v_pk_fma_f16 v50, v41, v54, v50
	v_pk_fma_f16 v51, v41, v57, v51
	;; [unrolled: 1-line block ×4, first 2 shown]
	s_wait_dscnt 0x2
	v_lshrrev_b32_e32 v41, 16, v8
	v_and_b32_e32 v8, 0xffff, v8
	v_lshrrev_b32_e32 v54, 16, v9
	v_lshrrev_b32_e32 v57, 16, v10
	v_lshrrev_b32_e32 v59, 16, v11
	v_and_b32_e32 v9, 0xffff, v9
	v_and_b32_e32 v10, 0xffff, v10
	;; [unrolled: 1-line block ×3, first 2 shown]
	v_mul_u32_u24_e32 v8, 0x10001, v8
	v_mul_u32_u24_e32 v41, 0x10001, v41
	;; [unrolled: 1-line block ×8, first 2 shown]
	s_wait_dscnt 0x1
	v_pk_fma_f16 v60, v42, v8, v60
	v_pk_fma_f16 v62, v42, v41, v62
	;; [unrolled: 1-line block ×10, first 2 shown]
	s_wait_dscnt 0x0
	v_lshrrev_b32_e32 v8, 16, v46
	v_and_b32_e32 v9, 0xffff, v46
	v_pk_fma_f16 v50, v43, v10, v50
	v_pk_fma_f16 v52, v43, v11, v52
	v_lshrrev_b32_e32 v10, 16, v47
	v_lshrrev_b32_e32 v11, 16, v48
	v_and_b32_e32 v46, 0xffff, v47
	v_mul_u32_u24_e32 v47, 0x10001, v9
	v_and_b32_e32 v9, 0xffff, v48
	v_mul_u32_u24_e32 v48, 0x10001, v8
	v_and_b32_e32 v8, 0xffff, v49
	v_pk_fma_f16 v41, v43, v41, v78
	v_pk_fma_f16 v54, v43, v54, v80
	;; [unrolled: 1-line block ×4, first 2 shown]
	v_lshrrev_b32_e32 v39, 16, v49
	v_mul_u32_u24_e32 v49, 0x10001, v10
	v_mul_u32_u24_e32 v57, 0x10001, v9
	;; [unrolled: 1-line block ×4, first 2 shown]
	ds_load_b128 v[8:11], v30 offset:288
	v_mul_u32_u24_e32 v46, 0x10001, v46
	v_mul_u32_u24_e32 v78, 0x10001, v39
	v_pk_fma_f16 v60, v44, v47, v60
	v_pk_fma_f16 v62, v44, v48, v62
	;; [unrolled: 1-line block ×14, first 2 shown]
	ds_load_2addr_b64 v[39:42], v38 offset0:64 offset1:96
	v_pk_fma_f16 v52, v45, v77, v52
	v_pk_fma_f16 v54, v45, v78, v43
	ds_load_b128 v[43:46], v30 offset:304
	s_wait_dscnt 0x2
	v_lshrrev_b32_e32 v77, 16, v10
	v_lshrrev_b32_e32 v78, 16, v11
	v_and_b32_e32 v10, 0xffff, v10
	v_and_b32_e32 v11, 0xffff, v11
	v_lshrrev_b32_e32 v57, 16, v8
	v_and_b32_e32 v8, 0xffff, v8
	v_lshrrev_b32_e32 v59, 16, v9
	v_and_b32_e32 v9, 0xffff, v9
	v_mul_u32_u24_e32 v10, 0x10001, v10
	v_mul_u32_u24_e32 v11, 0x10001, v11
	;; [unrolled: 1-line block ×8, first 2 shown]
	s_wait_dscnt 0x1
	v_pk_fma_f16 v55, v39, v10, v55
	v_pk_fma_f16 v56, v39, v11, v56
	;; [unrolled: 1-line block ×4, first 2 shown]
	s_wait_dscnt 0x0
	v_lshrrev_b32_e32 v11, 16, v43
	v_and_b32_e32 v43, 0xffff, v43
	v_pk_fma_f16 v60, v39, v8, v60
	v_pk_fma_f16 v58, v39, v9, v58
	;; [unrolled: 1-line block ×8, first 2 shown]
	v_lshrrev_b32_e32 v51, 16, v44
	v_lshrrev_b32_e32 v52, 16, v45
	v_and_b32_e32 v44, 0xffff, v44
	v_mul_u32_u24_e32 v54, 0x10001, v43
	v_and_b32_e32 v43, 0xffff, v45
	v_and_b32_e32 v45, 0xffff, v46
	v_pk_fma_f16 v62, v39, v57, v62
	v_pk_fma_f16 v66, v39, v59, v66
	;; [unrolled: 1-line block ×3, first 2 shown]
	v_lshrrev_b32_e32 v53, 16, v46
	v_mul_u32_u24_e32 v57, 0x10001, v44
	v_mul_u32_u24_e32 v59, 0x10001, v43
	;; [unrolled: 1-line block ×3, first 2 shown]
	ds_load_b128 v[43:46], v30 offset:320
	v_pk_fma_f16 v39, v39, v78, v79
	v_mul_u32_u24_e32 v11, 0x10001, v11
	v_mul_u32_u24_e32 v51, 0x10001, v51
	;; [unrolled: 1-line block ×4, first 2 shown]
	v_pk_fma_f16 v60, v41, v54, v60
	v_pk_fma_f16 v62, v41, v11, v62
	;; [unrolled: 1-line block ×14, first 2 shown]
	ds_load_2addr_b64 v[8:11], v38 offset0:128 offset1:160
	v_pk_fma_f16 v50, v42, v77, v50
	v_pk_fma_f16 v52, v42, v53, v40
	ds_load_b128 v[39:42], v30 offset:336
	s_wait_dscnt 0x2
	v_lshrrev_b32_e32 v53, 16, v43
	v_and_b32_e32 v43, 0xffff, v43
	v_lshrrev_b32_e32 v59, 16, v44
	v_lshrrev_b32_e32 v77, 16, v45
	;; [unrolled: 1-line block ×3, first 2 shown]
	v_and_b32_e32 v44, 0xffff, v44
	v_and_b32_e32 v45, 0xffff, v45
	;; [unrolled: 1-line block ×3, first 2 shown]
	v_mul_u32_u24_e32 v43, 0x10001, v43
	v_mul_u32_u24_e32 v53, 0x10001, v53
	v_mul_u32_u24_e32 v44, 0x10001, v44
	v_mul_u32_u24_e32 v59, 0x10001, v59
	v_mul_u32_u24_e32 v45, 0x10001, v45
	v_mul_u32_u24_e32 v77, 0x10001, v77
	v_mul_u32_u24_e32 v46, 0x10001, v46
	v_mul_u32_u24_e32 v79, 0x10001, v79
	s_wait_dscnt 0x1
	v_pk_fma_f16 v60, v8, v43, v60
	v_pk_fma_f16 v62, v8, v53, v62
	;; [unrolled: 1-line block ×8, first 2 shown]
	s_wait_dscnt 0x0
	v_lshrrev_b32_e32 v8, 16, v39
	v_and_b32_e32 v39, 0xffff, v39
	v_pk_fma_f16 v131, v9, v59, v48
	s_wait_alu 0xfffe
	v_add_co_u32 v59, vcc_lo, s26, v17
	v_pk_fma_f16 v128, v9, v43, v54
	v_mul_u32_u24_e32 v135, 0x10001, v39
	v_lshrrev_b32_e32 v43, 16, v40
	v_and_b32_e32 v40, 0xffff, v40
	v_mul_u32_u24_e32 v136, 0x10001, v8
	v_and_b32_e32 v8, 0xffff, v42
	v_pk_fma_f16 v143, v10, v135, v60
	s_wait_alu 0xfffd
	v_add_co_ci_u32_e64 v60, null, s27, v18, vcc_lo
	v_add_co_u32 v117, vcc_lo, s26, v19
	s_wait_alu 0xfffd
	v_add_co_ci_u32_e64 v118, null, s27, v20, vcc_lo
	v_add_co_u32 v59, vcc_lo, v59, v36
	;; [unrolled: 3-line block ×3, first 2 shown]
	v_pk_fma_f16 v130, v9, v44, v57
	v_pk_fma_f16 v132, v9, v45, v51
	v_lshrrev_b32_e32 v44, 16, v41
	v_lshrrev_b32_e32 v45, 16, v42
	v_and_b32_e32 v39, 0xffff, v41
	v_mul_u32_u24_e32 v137, 0x10001, v40
	v_mul_u32_u24_e32 v141, 0x10001, v8
	v_add_nc_u32_e32 v8, 0x1800, v33
	s_wait_alu 0xfffd
	v_add_co_ci_u32_e64 v122, null, 0, v118, vcc_lo
	v_pk_fma_f16 v129, v9, v53, v47
	v_pk_fma_f16 v133, v9, v77, v49
	;; [unrolled: 1-line block ×4, first 2 shown]
	v_mul_u32_u24_e32 v138, 0x10001, v43
	v_mul_u32_u24_e32 v139, 0x10001, v39
	v_mul_u32_u24_e32 v140, 0x10001, v44
	v_mul_u32_u24_e32 v142, 0x10001, v45
	v_pk_fma_f16 v144, v10, v137, v58
	ds_load_2addr_b64 v[39:42], v38 offset0:192 offset1:224
	ds_load_b128 v[43:46], v30 offset:352
	ds_load_b128 v[47:50], v30 offset:368
	ds_load_2addr_b64 v[51:54], v8 offset1:32
	ds_load_b128 v[55:58], v30 offset:384
	ds_load_b128 v[77:80], v30 offset:400
	ds_load_2addr_b64 v[81:84], v8 offset0:64 offset1:96
	ds_load_b128 v[85:88], v30 offset:416
	ds_load_b128 v[89:92], v30 offset:432
	ds_load_2addr_b64 v[93:96], v8 offset0:128 offset1:160
	ds_load_b128 v[97:100], v30 offset:448
	ds_load_b128 v[101:104], v30 offset:464
	ds_load_2addr_b64 v[105:108], v8 offset0:192 offset1:224
	ds_load_b128 v[109:112], v30 offset:480
	ds_load_b128 v[113:116], v30 offset:496
	s_wait_loadcnt_dscnt 0x0
	s_barrier_signal -1
	s_barrier_wait -1
	global_inv scope:SCOPE_SE
	s_clause 0x1
	global_load_b128 v[117:120], v[59:60], off
	global_load_b128 v[121:124], v[121:122], off
	v_pk_fma_f16 v62, v10, v136, v62
	v_pk_fma_f16 v59, v10, v138, v66
	v_pk_fma_f16 v60, v10, v139, v125
	v_pk_fma_f16 v66, v10, v140, v68
	v_pk_fma_f16 v68, v10, v141, v126
	v_pk_fma_f16 v10, v10, v142, v127
	v_pk_fma_f16 v125, v11, v135, v128
	v_pk_fma_f16 v126, v11, v136, v129
	v_pk_fma_f16 v127, v11, v137, v130
	v_pk_fma_f16 v128, v11, v138, v131
	v_pk_fma_f16 v129, v11, v139, v132
	v_pk_fma_f16 v130, v11, v140, v133
	v_pk_fma_f16 v131, v11, v141, v134
	v_pk_fma_f16 v9, v11, v142, v9
	v_lshrrev_b32_e32 v11, 16, v43
	v_and_b32_e32 v43, 0xffff, v43
	v_lshrrev_b32_e32 v132, 16, v44
	v_lshrrev_b32_e32 v133, 16, v45
	;; [unrolled: 1-line block ×3, first 2 shown]
	v_and_b32_e32 v44, 0xffff, v44
	v_and_b32_e32 v45, 0xffff, v45
	;; [unrolled: 1-line block ×3, first 2 shown]
	v_mul_u32_u24_e32 v43, 0x10001, v43
	v_mul_u32_u24_e32 v11, 0x10001, v11
	;; [unrolled: 1-line block ×8, first 2 shown]
	v_pk_fma_f16 v135, v39, v43, v143
	v_pk_fma_f16 v62, v39, v11, v62
	;; [unrolled: 1-line block ×16, first 2 shown]
	v_lshrrev_b32_e32 v40, 16, v47
	v_and_b32_e32 v47, 0xffff, v47
	v_lshrrev_b32_e32 v126, 16, v48
	v_lshrrev_b32_e32 v127, 16, v49
	;; [unrolled: 1-line block ×3, first 2 shown]
	v_and_b32_e32 v48, 0xffff, v48
	v_and_b32_e32 v49, 0xffff, v49
	;; [unrolled: 1-line block ×3, first 2 shown]
	v_mul_u32_u24_e32 v47, 0x10001, v47
	v_mul_u32_u24_e32 v40, 0x10001, v40
	;; [unrolled: 1-line block ×8, first 2 shown]
	v_pk_fma_f16 v129, v41, v47, v135
	v_pk_fma_f16 v62, v41, v40, v62
	;; [unrolled: 1-line block ×16, first 2 shown]
	v_lshrrev_b32_e32 v42, 16, v55
	v_and_b32_e32 v46, 0xffff, v55
	v_lshrrev_b32_e32 v47, 16, v56
	v_lshrrev_b32_e32 v48, 16, v57
	v_and_b32_e32 v50, 0xffff, v56
	v_and_b32_e32 v55, 0xffff, v57
	;; [unrolled: 1-line block ×3, first 2 shown]
	v_lshrrev_b32_e32 v49, 16, v58
	v_mul_u32_u24_e32 v46, 0x10001, v46
	v_mul_u32_u24_e32 v42, 0x10001, v42
	v_mul_u32_u24_e32 v50, 0x10001, v50
	v_mul_u32_u24_e32 v55, 0x10001, v55
	v_mul_u32_u24_e32 v48, 0x10001, v48
	v_mul_u32_u24_e32 v56, 0x10001, v56
	v_mul_u32_u24_e32 v47, 0x10001, v47
	v_mul_u32_u24_e32 v49, 0x10001, v49
	v_pk_fma_f16 v57, v51, v46, v129
	v_pk_fma_f16 v58, v51, v42, v62
	;; [unrolled: 1-line block ×9, first 2 shown]
	v_lshrrev_b32_e32 v45, 16, v77
	v_and_b32_e32 v46, 0xffff, v77
	v_and_b32_e32 v50, 0xffff, v78
	v_pk_fma_f16 v59, v51, v47, v59
	v_pk_fma_f16 v60, v51, v55, v60
	;; [unrolled: 1-line block ×7, first 2 shown]
	v_lshrrev_b32_e32 v47, 16, v78
	v_mul_u32_u24_e32 v46, 0x10001, v46
	v_and_b32_e32 v51, 0xffff, v79
	v_mul_u32_u24_e32 v45, 0x10001, v45
	v_and_b32_e32 v52, 0xffff, v80
	v_mul_u32_u24_e32 v50, 0x10001, v50
	v_lshrrev_b32_e32 v48, 16, v79
	v_lshrrev_b32_e32 v49, 16, v80
	v_mul_u32_u24_e32 v47, 0x10001, v47
	v_mul_u32_u24_e32 v51, 0x10001, v51
	;; [unrolled: 1-line block ×3, first 2 shown]
	v_pk_fma_f16 v55, v53, v46, v57
	v_pk_fma_f16 v56, v53, v45, v58
	v_pk_fma_f16 v57, v53, v50, v62
	v_pk_fma_f16 v39, v54, v46, v39
	v_pk_fma_f16 v11, v54, v45, v11
	v_pk_fma_f16 v40, v54, v50, v40
	v_lshrrev_b32_e32 v45, 16, v85
	v_and_b32_e32 v46, 0xffff, v85
	v_and_b32_e32 v50, 0xffff, v86
	v_mul_u32_u24_e32 v48, 0x10001, v48
	v_mul_u32_u24_e32 v49, 0x10001, v49
	v_pk_fma_f16 v58, v53, v47, v59
	v_pk_fma_f16 v59, v53, v51, v60
	v_pk_fma_f16 v62, v53, v52, v68
	v_pk_fma_f16 v41, v54, v47, v41
	v_pk_fma_f16 v42, v54, v51, v42
	v_pk_fma_f16 v44, v54, v52, v44
	v_lshrrev_b32_e32 v47, 16, v86
	v_mul_u32_u24_e32 v46, 0x10001, v46
	v_and_b32_e32 v51, 0xffff, v87
	v_mul_u32_u24_e32 v45, 0x10001, v45
	v_and_b32_e32 v52, 0xffff, v88
	v_mul_u32_u24_e32 v50, 0x10001, v50
	v_pk_fma_f16 v60, v53, v48, v66
	v_pk_fma_f16 v10, v53, v49, v10
	;; [unrolled: 1-line block ×4, first 2 shown]
	v_mul_u32_u24_e32 v47, 0x10001, v47
	v_mul_u32_u24_e32 v51, 0x10001, v51
	;; [unrolled: 1-line block ×3, first 2 shown]
	v_pk_fma_f16 v53, v81, v46, v55
	v_pk_fma_f16 v54, v81, v45, v56
	;; [unrolled: 1-line block ×6, first 2 shown]
	v_lshrrev_b32_e32 v45, 16, v89
	v_and_b32_e32 v46, 0xffff, v89
	v_and_b32_e32 v50, 0xffff, v90
	v_lshrrev_b32_e32 v48, 16, v87
	v_lshrrev_b32_e32 v49, 16, v88
	v_pk_fma_f16 v56, v81, v47, v58
	v_pk_fma_f16 v57, v81, v51, v59
	v_pk_fma_f16 v59, v81, v52, v62
	v_pk_fma_f16 v41, v82, v47, v41
	v_pk_fma_f16 v42, v82, v51, v42
	v_pk_fma_f16 v44, v82, v52, v44
	v_lshrrev_b32_e32 v47, 16, v90
	v_mul_u32_u24_e32 v46, 0x10001, v46
	v_and_b32_e32 v51, 0xffff, v91
	v_mul_u32_u24_e32 v45, 0x10001, v45
	v_and_b32_e32 v52, 0xffff, v92
	v_mul_u32_u24_e32 v50, 0x10001, v50
	v_mul_u32_u24_e32 v48, 0x10001, v48
	v_mul_u32_u24_e32 v49, 0x10001, v49
	v_mul_u32_u24_e32 v47, 0x10001, v47
	v_mul_u32_u24_e32 v51, 0x10001, v51
	v_mul_u32_u24_e32 v52, 0x10001, v52
	v_pk_fma_f16 v53, v83, v46, v53
	v_pk_fma_f16 v54, v83, v45, v54
	v_pk_fma_f16 v55, v83, v50, v55
	v_pk_fma_f16 v39, v84, v46, v39
	v_pk_fma_f16 v11, v84, v45, v11
	v_pk_fma_f16 v40, v84, v50, v40
	v_lshrrev_b32_e32 v45, 16, v97
	v_and_b32_e32 v46, 0xffff, v97
	v_and_b32_e32 v50, 0xffff, v98
	v_pk_fma_f16 v58, v81, v48, v60
	v_pk_fma_f16 v10, v81, v49, v10
	v_pk_fma_f16 v43, v82, v48, v43
	v_pk_fma_f16 v9, v82, v49, v9
	v_lshrrev_b32_e32 v48, 16, v91
	v_lshrrev_b32_e32 v49, 16, v92
	v_pk_fma_f16 v56, v83, v47, v56
	v_pk_fma_f16 v57, v83, v51, v57
	v_pk_fma_f16 v59, v83, v52, v59
	v_pk_fma_f16 v41, v84, v47, v41
	v_pk_fma_f16 v42, v84, v51, v42
	v_pk_fma_f16 v44, v84, v52, v44
	v_lshrrev_b32_e32 v47, 16, v98
	v_mul_u32_u24_e32 v46, 0x10001, v46
	v_and_b32_e32 v51, 0xffff, v99
	v_mul_u32_u24_e32 v45, 0x10001, v45
	v_and_b32_e32 v52, 0xffff, v100
	v_mul_u32_u24_e32 v50, 0x10001, v50
	v_mul_u32_u24_e32 v48, 0x10001, v48
	v_mul_u32_u24_e32 v49, 0x10001, v49
	v_mul_u32_u24_e32 v47, 0x10001, v47
	v_mul_u32_u24_e32 v51, 0x10001, v51
	v_mul_u32_u24_e32 v52, 0x10001, v52
	v_pk_fma_f16 v53, v93, v46, v53
	v_pk_fma_f16 v54, v93, v45, v54
	v_pk_fma_f16 v55, v93, v50, v55
	v_pk_fma_f16 v39, v94, v46, v39
	v_pk_fma_f16 v11, v94, v45, v11
	v_pk_fma_f16 v40, v94, v50, v40
	v_lshrrev_b32_e32 v45, 16, v101
	v_and_b32_e32 v46, 0xffff, v101
	v_and_b32_e32 v50, 0xffff, v102
	v_pk_fma_f16 v58, v83, v48, v58
	v_pk_fma_f16 v10, v83, v49, v10
	v_pk_fma_f16 v43, v84, v48, v43
	v_pk_fma_f16 v9, v84, v49, v9
	v_lshrrev_b32_e32 v48, 16, v99
	v_lshrrev_b32_e32 v49, 16, v100
	v_pk_fma_f16 v56, v93, v47, v56
	v_pk_fma_f16 v57, v93, v51, v57
	v_pk_fma_f16 v59, v93, v52, v59
	v_pk_fma_f16 v41, v94, v47, v41
	v_pk_fma_f16 v42, v94, v51, v42
	v_pk_fma_f16 v44, v94, v52, v44
	v_lshrrev_b32_e32 v47, 16, v102
	v_mul_u32_u24_e32 v46, 0x10001, v46
	v_and_b32_e32 v51, 0xffff, v103
	v_mul_u32_u24_e32 v45, 0x10001, v45
	v_and_b32_e32 v52, 0xffff, v104
	v_mul_u32_u24_e32 v50, 0x10001, v50
	v_mul_u32_u24_e32 v48, 0x10001, v48
	v_mul_u32_u24_e32 v49, 0x10001, v49
	v_mul_u32_u24_e32 v47, 0x10001, v47
	v_mul_u32_u24_e32 v51, 0x10001, v51
	v_mul_u32_u24_e32 v52, 0x10001, v52
	v_pk_fma_f16 v53, v95, v46, v53
	v_pk_fma_f16 v54, v95, v45, v54
	v_pk_fma_f16 v55, v95, v50, v55
	v_pk_fma_f16 v39, v96, v46, v39
	v_pk_fma_f16 v11, v96, v45, v11
	v_pk_fma_f16 v40, v96, v50, v40
	v_lshrrev_b32_e32 v45, 16, v109
	v_and_b32_e32 v46, 0xffff, v109
	v_and_b32_e32 v50, 0xffff, v110
	v_pk_fma_f16 v58, v93, v48, v58
	v_pk_fma_f16 v10, v93, v49, v10
	v_pk_fma_f16 v43, v94, v48, v43
	v_pk_fma_f16 v9, v94, v49, v9
	v_lshrrev_b32_e32 v48, 16, v103
	v_lshrrev_b32_e32 v49, 16, v104
	v_pk_fma_f16 v56, v95, v47, v56
	v_pk_fma_f16 v57, v95, v51, v57
	;; [unrolled: 1-line block ×6, first 2 shown]
	v_lshrrev_b32_e32 v47, 16, v110
	v_mul_u32_u24_e32 v46, 0x10001, v46
	v_and_b32_e32 v51, 0xffff, v111
	v_mul_u32_u24_e32 v45, 0x10001, v45
	v_and_b32_e32 v52, 0xffff, v112
	v_mul_u32_u24_e32 v50, 0x10001, v50
	v_mul_u32_u24_e32 v48, 0x10001, v48
	;; [unrolled: 1-line block ×6, first 2 shown]
	v_pk_fma_f16 v53, v105, v46, v53
	v_pk_fma_f16 v54, v105, v45, v54
	v_pk_fma_f16 v46, v106, v46, v39
	v_pk_fma_f16 v11, v106, v45, v11
	v_pk_fma_f16 v45, v106, v50, v40
	v_lshrrev_b32_e32 v39, 16, v113
	v_and_b32_e32 v40, 0xffff, v113
	v_pk_fma_f16 v58, v95, v48, v58
	v_pk_fma_f16 v10, v95, v49, v10
	;; [unrolled: 1-line block ×4, first 2 shown]
	v_lshrrev_b32_e32 v48, 16, v111
	v_lshrrev_b32_e32 v49, 16, v112
	v_pk_fma_f16 v55, v105, v50, v55
	v_pk_fma_f16 v56, v105, v47, v56
	;; [unrolled: 1-line block ×7, first 2 shown]
	v_lshrrev_b32_e32 v41, 16, v114
	v_lshrrev_b32_e32 v42, 16, v115
	v_mul_u32_u24_e32 v51, 0x10001, v40
	v_and_b32_e32 v40, 0xffff, v115
	v_mul_u32_u24_e32 v52, 0x10001, v39
	v_and_b32_e32 v39, 0xffff, v116
	v_mul_u32_u24_e32 v48, 0x10001, v48
	v_mul_u32_u24_e32 v49, 0x10001, v49
	;; [unrolled: 1-line block ×6, first 2 shown]
	s_wait_loadcnt 0x1
	ds_store_b128 v31, v[117:120]
	s_wait_loadcnt 0x0
	ds_store_b128 v32, v[121:124]
	s_wait_dscnt 0x0
	s_barrier_signal -1
	s_barrier_wait -1
	global_inv scope:SCOPE_SE
	ds_load_b128 v[39:42], v30 offset:512
	v_pk_fma_f16 v58, v105, v48, v58
	v_pk_fma_f16 v10, v105, v49, v10
	;; [unrolled: 1-line block ×4, first 2 shown]
	v_lshrrev_b32_e32 v48, 16, v116
	v_and_b32_e32 v49, 0xffff, v114
	v_pk_fma_f16 v77, v107, v51, v53
	v_pk_fma_f16 v78, v107, v52, v54
	;; [unrolled: 1-line block ×3, first 2 shown]
	v_mul_u32_u24_e32 v48, 0x10001, v48
	v_mul_u32_u24_e32 v49, 0x10001, v49
	v_pk_fma_f16 v81, v107, v62, v57
	v_pk_fma_f16 v82, v107, v66, v58
	;; [unrolled: 1-line block ×13, first 2 shown]
	ds_load_2addr_b64 v[43:46], v33 offset1:32
	ds_load_b128 v[47:50], v30 offset:528
	ds_load_b128 v[51:54], v30 offset:544
	;; [unrolled: 1-line block ×3, first 2 shown]
	s_wait_dscnt 0x4
	v_lshrrev_b32_e32 v85, 16, v39
	v_and_b32_e32 v39, 0xffff, v39
	v_lshrrev_b32_e32 v86, 16, v40
	v_lshrrev_b32_e32 v87, 16, v41
	;; [unrolled: 1-line block ×3, first 2 shown]
	v_and_b32_e32 v40, 0xffff, v40
	v_and_b32_e32 v41, 0xffff, v41
	;; [unrolled: 1-line block ×3, first 2 shown]
	v_mul_u32_u24_e32 v39, 0x10001, v39
	v_mul_u32_u24_e32 v85, 0x10001, v85
	;; [unrolled: 1-line block ×8, first 2 shown]
	s_wait_dscnt 0x3
	v_pk_fma_f16 v77, v43, v39, v77
	v_pk_fma_f16 v78, v43, v85, v78
	;; [unrolled: 1-line block ×16, first 2 shown]
	s_wait_dscnt 0x2
	v_lshrrev_b32_e32 v42, 16, v47
	v_and_b32_e32 v44, 0xffff, v47
	v_lshrrev_b32_e32 v47, 16, v48
	v_lshrrev_b32_e32 v66, 16, v49
	;; [unrolled: 1-line block ×3, first 2 shown]
	v_and_b32_e32 v48, 0xffff, v48
	v_and_b32_e32 v49, 0xffff, v49
	v_and_b32_e32 v50, 0xffff, v50
	v_mul_u32_u24_e32 v44, 0x10001, v44
	v_mul_u32_u24_e32 v42, 0x10001, v42
	;; [unrolled: 1-line block ×8, first 2 shown]
	v_pk_fma_f16 v77, v45, v44, v77
	v_pk_fma_f16 v78, v45, v42, v78
	;; [unrolled: 1-line block ×13, first 2 shown]
	ds_load_2addr_b64 v[39:42], v33 offset0:64 offset1:96
	v_pk_fma_f16 v48, v46, v66, v60
	v_pk_fma_f16 v49, v46, v50, v62
	;; [unrolled: 1-line block ×3, first 2 shown]
	s_wait_dscnt 0x2
	v_lshrrev_b32_e32 v46, 16, v51
	v_and_b32_e32 v50, 0xffff, v51
	v_lshrrev_b32_e32 v51, 16, v52
	v_lshrrev_b32_e32 v60, 16, v53
	;; [unrolled: 1-line block ×3, first 2 shown]
	v_and_b32_e32 v52, 0xffff, v52
	v_and_b32_e32 v53, 0xffff, v53
	v_mul_u32_u24_e32 v46, 0x10001, v46
	v_and_b32_e32 v54, 0xffff, v54
	v_mul_u32_u24_e32 v51, 0x10001, v51
	v_mul_u32_u24_e32 v50, 0x10001, v50
	;; [unrolled: 1-line block ×7, first 2 shown]
	s_wait_dscnt 0x0
	v_pk_fma_f16 v68, v39, v46, v78
	v_pk_fma_f16 v78, v39, v51, v80
	;; [unrolled: 1-line block ×3, first 2 shown]
	v_and_b32_e32 v43, 0xffff, v55
	v_pk_fma_f16 v66, v39, v50, v77
	v_pk_fma_f16 v77, v39, v52, v79
	;; [unrolled: 1-line block ×10, first 2 shown]
	v_lshrrev_b32_e32 v44, 16, v56
	v_lshrrev_b32_e32 v45, 16, v57
	v_and_b32_e32 v46, 0xffff, v56
	v_mul_u32_u24_e32 v53, 0x10001, v43
	v_and_b32_e32 v43, 0xffff, v57
	v_pk_fma_f16 v48, v40, v60, v48
	v_pk_fma_f16 v52, v40, v54, v49
	;; [unrolled: 1-line block ×3, first 2 shown]
	v_lshrrev_b32_e32 v40, 16, v55
	v_lshrrev_b32_e32 v49, 16, v58
	v_and_b32_e32 v54, 0xffff, v58
	v_mul_u32_u24_e32 v55, 0x10001, v46
	v_mul_u32_u24_e32 v56, 0x10001, v44
	;; [unrolled: 1-line block ×4, first 2 shown]
	ds_load_b128 v[43:46], v30 offset:576
	v_mul_u32_u24_e32 v40, 0x10001, v40
	v_mul_u32_u24_e32 v54, 0x10001, v54
	;; [unrolled: 1-line block ×3, first 2 shown]
	v_pk_fma_f16 v62, v41, v53, v66
	v_pk_fma_f16 v53, v42, v53, v39
	;; [unrolled: 1-line block ×14, first 2 shown]
	ds_load_2addr_b64 v[47:50], v33 offset0:128 offset1:160
	v_pk_fma_f16 v52, v42, v54, v52
	v_pk_fma_f16 v9, v42, v60, v9
	ds_load_b128 v[39:42], v30 offset:592
	s_wait_dscnt 0x2
	v_lshrrev_b32_e32 v80, 16, v46
	v_and_b32_e32 v46, 0xffff, v46
	v_lshrrev_b32_e32 v54, 16, v43
	v_and_b32_e32 v43, 0xffff, v43
	v_lshrrev_b32_e32 v58, 16, v44
	v_lshrrev_b32_e32 v60, 16, v45
	v_and_b32_e32 v44, 0xffff, v44
	v_and_b32_e32 v45, 0xffff, v45
	v_mul_u32_u24_e32 v46, 0x10001, v46
	v_mul_u32_u24_e32 v43, 0x10001, v43
	;; [unrolled: 1-line block ×8, first 2 shown]
	s_wait_dscnt 0x1
	v_pk_fma_f16 v59, v47, v46, v59
	v_pk_fma_f16 v52, v48, v46, v52
	;; [unrolled: 1-line block ×3, first 2 shown]
	s_wait_dscnt 0x0
	v_lshrrev_b32_e32 v46, 16, v39
	v_and_b32_e32 v39, 0xffff, v39
	v_pk_fma_f16 v66, v47, v54, v66
	v_pk_fma_f16 v68, v47, v44, v68
	v_pk_fma_f16 v77, v47, v58, v77
	v_pk_fma_f16 v78, v47, v45, v78
	v_pk_fma_f16 v79, v47, v60, v79
	v_pk_fma_f16 v10, v47, v80, v10
	v_pk_fma_f16 v43, v48, v43, v53
	v_pk_fma_f16 v11, v48, v54, v11
	v_pk_fma_f16 v44, v48, v44, v55
	v_pk_fma_f16 v47, v48, v58, v51
	v_pk_fma_f16 v45, v48, v45, v56
	v_pk_fma_f16 v51, v48, v60, v57
	v_pk_fma_f16 v9, v48, v80, v9
	v_lshrrev_b32_e32 v48, 16, v40
	v_lshrrev_b32_e32 v53, 16, v41
	v_and_b32_e32 v40, 0xffff, v40
	v_mul_u32_u24_e32 v55, 0x10001, v39
	v_and_b32_e32 v39, 0xffff, v41
	v_and_b32_e32 v41, 0xffff, v42
	v_lshrrev_b32_e32 v54, 16, v42
	v_mul_u32_u24_e32 v56, 0x10001, v40
	v_mul_u32_u24_e32 v46, 0x10001, v46
	;; [unrolled: 1-line block ×4, first 2 shown]
	ds_load_b128 v[39:42], v30 offset:608
	v_mul_u32_u24_e32 v48, 0x10001, v48
	v_mul_u32_u24_e32 v53, 0x10001, v53
	;; [unrolled: 1-line block ×3, first 2 shown]
	v_pk_fma_f16 v60, v49, v55, v62
	v_pk_fma_f16 v62, v49, v46, v66
	;; [unrolled: 1-line block ×14, first 2 shown]
	ds_load_2addr_b64 v[43:46], v33 offset0:192 offset1:224
	v_pk_fma_f16 v52, v50, v58, v52
	v_pk_fma_f16 v9, v50, v54, v9
	ds_load_b128 v[47:50], v30 offset:624
	s_wait_dscnt 0x2
	v_lshrrev_b32_e32 v53, 16, v39
	v_and_b32_e32 v39, 0xffff, v39
	v_lshrrev_b32_e32 v54, 16, v40
	v_lshrrev_b32_e32 v58, 16, v41
	;; [unrolled: 1-line block ×3, first 2 shown]
	v_and_b32_e32 v40, 0xffff, v40
	v_and_b32_e32 v41, 0xffff, v41
	;; [unrolled: 1-line block ×3, first 2 shown]
	v_mul_u32_u24_e32 v39, 0x10001, v39
	v_mul_u32_u24_e32 v53, 0x10001, v53
	;; [unrolled: 1-line block ×8, first 2 shown]
	s_wait_dscnt 0x1
	v_pk_fma_f16 v60, v43, v39, v60
	v_pk_fma_f16 v62, v43, v53, v62
	;; [unrolled: 1-line block ×11, first 2 shown]
	s_wait_dscnt 0x0
	v_lshrrev_b32_e32 v39, 16, v47
	v_and_b32_e32 v40, 0xffff, v47
	v_pk_fma_f16 v55, v44, v41, v57
	v_pk_fma_f16 v52, v44, v42, v52
	v_lshrrev_b32_e32 v41, 16, v48
	v_lshrrev_b32_e32 v42, 16, v49
	v_and_b32_e32 v47, 0xffff, v48
	v_mul_u32_u24_e32 v48, 0x10001, v40
	v_and_b32_e32 v40, 0xffff, v49
	v_mul_u32_u24_e32 v49, 0x10001, v39
	v_and_b32_e32 v39, 0xffff, v50
	v_pk_fma_f16 v54, v44, v54, v79
	v_pk_fma_f16 v51, v44, v58, v51
	;; [unrolled: 1-line block ×3, first 2 shown]
	v_lshrrev_b32_e32 v44, 16, v50
	v_mul_u32_u24_e32 v50, 0x10001, v41
	v_mul_u32_u24_e32 v56, 0x10001, v40
	;; [unrolled: 1-line block ×4, first 2 shown]
	ds_load_b128 v[39:42], v30 offset:640
	v_mul_u32_u24_e32 v47, 0x10001, v47
	v_mul_u32_u24_e32 v44, 0x10001, v44
	v_pk_fma_f16 v60, v45, v48, v60
	v_pk_fma_f16 v62, v45, v49, v62
	;; [unrolled: 1-line block ×14, first 2 shown]
	ds_load_2addr_b64 v[47:50], v37 offset1:32
	v_pk_fma_f16 v52, v46, v58, v52
	v_pk_fma_f16 v9, v46, v44, v9
	ds_load_b128 v[43:46], v30 offset:656
	s_wait_dscnt 0x2
	v_lshrrev_b32_e32 v56, 16, v39
	v_and_b32_e32 v39, 0xffff, v39
	v_lshrrev_b32_e32 v57, 16, v40
	v_lshrrev_b32_e32 v58, 16, v41
	;; [unrolled: 1-line block ×3, first 2 shown]
	v_and_b32_e32 v40, 0xffff, v40
	v_and_b32_e32 v41, 0xffff, v41
	v_and_b32_e32 v42, 0xffff, v42
	v_mul_u32_u24_e32 v39, 0x10001, v39
	v_mul_u32_u24_e32 v56, 0x10001, v56
	;; [unrolled: 1-line block ×8, first 2 shown]
	s_wait_dscnt 0x1
	v_pk_fma_f16 v60, v47, v39, v60
	v_pk_fma_f16 v62, v47, v56, v62
	;; [unrolled: 1-line block ×10, first 2 shown]
	s_wait_dscnt 0x0
	v_lshrrev_b32_e32 v39, 16, v43
	v_and_b32_e32 v40, 0xffff, v43
	v_pk_fma_f16 v11, v48, v56, v11
	v_pk_fma_f16 v54, v48, v57, v54
	;; [unrolled: 1-line block ×6, first 2 shown]
	v_lshrrev_b32_e32 v41, 16, v44
	v_lshrrev_b32_e32 v42, 16, v45
	v_mul_u32_u24_e32 v48, 0x10001, v40
	v_and_b32_e32 v40, 0xffff, v45
	v_mul_u32_u24_e32 v45, 0x10001, v39
	v_and_b32_e32 v39, 0xffff, v46
	v_lshrrev_b32_e32 v43, 16, v46
	v_and_b32_e32 v44, 0xffff, v44
	v_mul_u32_u24_e32 v46, 0x10001, v41
	v_mul_u32_u24_e32 v56, 0x10001, v40
	;; [unrolled: 1-line block ×4, first 2 shown]
	ds_load_b128 v[39:42], v30 offset:672
	v_mul_u32_u24_e32 v44, 0x10001, v44
	v_mul_u32_u24_e32 v79, 0x10001, v43
	v_pk_fma_f16 v60, v49, v48, v60
	v_pk_fma_f16 v62, v49, v45, v62
	;; [unrolled: 1-line block ×14, first 2 shown]
	ds_load_2addr_b64 v[43:46], v37 offset0:64 offset1:96
	v_pk_fma_f16 v52, v50, v58, v52
	v_pk_fma_f16 v9, v50, v79, v9
	ds_load_b128 v[47:50], v30 offset:688
	s_wait_dscnt 0x2
	v_lshrrev_b32_e32 v56, 16, v39
	v_and_b32_e32 v39, 0xffff, v39
	v_lshrrev_b32_e32 v57, 16, v40
	v_lshrrev_b32_e32 v58, 16, v41
	v_lshrrev_b32_e32 v79, 16, v42
	v_and_b32_e32 v40, 0xffff, v40
	v_and_b32_e32 v41, 0xffff, v41
	;; [unrolled: 1-line block ×3, first 2 shown]
	v_mul_u32_u24_e32 v39, 0x10001, v39
	v_mul_u32_u24_e32 v56, 0x10001, v56
	;; [unrolled: 1-line block ×8, first 2 shown]
	s_wait_dscnt 0x1
	v_pk_fma_f16 v60, v43, v39, v60
	v_pk_fma_f16 v62, v43, v56, v62
	;; [unrolled: 1-line block ×10, first 2 shown]
	s_wait_dscnt 0x0
	v_lshrrev_b32_e32 v39, 16, v47
	v_and_b32_e32 v40, 0xffff, v47
	v_pk_fma_f16 v55, v44, v41, v55
	v_pk_fma_f16 v52, v44, v42, v52
	v_lshrrev_b32_e32 v41, 16, v48
	v_lshrrev_b32_e32 v42, 16, v49
	v_and_b32_e32 v47, 0xffff, v48
	v_mul_u32_u24_e32 v48, 0x10001, v40
	v_and_b32_e32 v40, 0xffff, v49
	v_mul_u32_u24_e32 v49, 0x10001, v39
	v_and_b32_e32 v39, 0xffff, v50
	v_pk_fma_f16 v11, v44, v56, v11
	v_pk_fma_f16 v54, v44, v57, v54
	;; [unrolled: 1-line block ×4, first 2 shown]
	v_lshrrev_b32_e32 v44, 16, v50
	v_mul_u32_u24_e32 v50, 0x10001, v41
	v_mul_u32_u24_e32 v56, 0x10001, v40
	;; [unrolled: 1-line block ×4, first 2 shown]
	ds_load_b128 v[39:42], v30 offset:704
	v_mul_u32_u24_e32 v47, 0x10001, v47
	v_mul_u32_u24_e32 v44, 0x10001, v44
	v_pk_fma_f16 v60, v45, v48, v60
	v_pk_fma_f16 v62, v45, v49, v62
	;; [unrolled: 1-line block ×14, first 2 shown]
	ds_load_2addr_b64 v[47:50], v37 offset0:128 offset1:160
	v_pk_fma_f16 v52, v46, v58, v52
	v_pk_fma_f16 v9, v46, v44, v9
	ds_load_b128 v[43:46], v30 offset:720
	s_wait_dscnt 0x2
	v_lshrrev_b32_e32 v56, 16, v39
	v_and_b32_e32 v39, 0xffff, v39
	v_lshrrev_b32_e32 v57, 16, v40
	v_lshrrev_b32_e32 v58, 16, v41
	;; [unrolled: 1-line block ×3, first 2 shown]
	v_and_b32_e32 v40, 0xffff, v40
	v_and_b32_e32 v41, 0xffff, v41
	;; [unrolled: 1-line block ×3, first 2 shown]
	v_mul_u32_u24_e32 v39, 0x10001, v39
	v_mul_u32_u24_e32 v56, 0x10001, v56
	;; [unrolled: 1-line block ×8, first 2 shown]
	s_wait_dscnt 0x1
	v_pk_fma_f16 v60, v47, v39, v60
	v_pk_fma_f16 v62, v47, v56, v62
	;; [unrolled: 1-line block ×10, first 2 shown]
	s_wait_dscnt 0x0
	v_lshrrev_b32_e32 v39, 16, v43
	v_and_b32_e32 v40, 0xffff, v43
	v_pk_fma_f16 v11, v48, v56, v11
	v_pk_fma_f16 v54, v48, v57, v54
	;; [unrolled: 1-line block ×6, first 2 shown]
	v_lshrrev_b32_e32 v41, 16, v44
	v_lshrrev_b32_e32 v42, 16, v45
	v_mul_u32_u24_e32 v48, 0x10001, v40
	v_and_b32_e32 v40, 0xffff, v45
	v_mul_u32_u24_e32 v45, 0x10001, v39
	v_and_b32_e32 v39, 0xffff, v46
	v_lshrrev_b32_e32 v43, 16, v46
	v_and_b32_e32 v44, 0xffff, v44
	v_mul_u32_u24_e32 v46, 0x10001, v41
	v_mul_u32_u24_e32 v56, 0x10001, v40
	;; [unrolled: 1-line block ×4, first 2 shown]
	ds_load_b128 v[39:42], v30 offset:736
	v_mul_u32_u24_e32 v44, 0x10001, v44
	v_mul_u32_u24_e32 v79, 0x10001, v43
	v_pk_fma_f16 v60, v49, v48, v60
	v_pk_fma_f16 v62, v49, v45, v62
	v_pk_fma_f16 v68, v49, v46, v68
	v_pk_fma_f16 v66, v49, v44, v66
	v_pk_fma_f16 v77, v49, v56, v77
	v_pk_fma_f16 v78, v49, v57, v78
	v_pk_fma_f16 v59, v49, v58, v59
	v_pk_fma_f16 v10, v49, v79, v10
	v_pk_fma_f16 v80, v50, v48, v47
	v_pk_fma_f16 v11, v50, v45, v11
	v_pk_fma_f16 v53, v50, v44, v53
	v_pk_fma_f16 v54, v50, v46, v54
	v_pk_fma_f16 v55, v50, v56, v55
	v_pk_fma_f16 v51, v50, v57, v51
	ds_load_2addr_b64 v[43:46], v37 offset0:192 offset1:224
	v_pk_fma_f16 v37, v50, v58, v52
	v_pk_fma_f16 v9, v50, v79, v9
	ds_load_b128 v[47:50], v30 offset:752
	s_wait_dscnt 0x2
	v_lshrrev_b32_e32 v52, 16, v39
	v_and_b32_e32 v39, 0xffff, v39
	v_lshrrev_b32_e32 v56, 16, v40
	v_lshrrev_b32_e32 v57, 16, v41
	;; [unrolled: 1-line block ×3, first 2 shown]
	v_and_b32_e32 v40, 0xffff, v40
	v_and_b32_e32 v41, 0xffff, v41
	v_and_b32_e32 v42, 0xffff, v42
	v_mul_u32_u24_e32 v39, 0x10001, v39
	v_mul_u32_u24_e32 v52, 0x10001, v52
	;; [unrolled: 1-line block ×8, first 2 shown]
	s_wait_dscnt 0x1
	v_pk_fma_f16 v60, v43, v39, v60
	v_pk_fma_f16 v62, v43, v52, v62
	;; [unrolled: 1-line block ×11, first 2 shown]
	s_wait_dscnt 0x0
	v_lshrrev_b32_e32 v39, 16, v47
	v_and_b32_e32 v40, 0xffff, v47
	v_pk_fma_f16 v53, v44, v56, v54
	v_pk_fma_f16 v54, v44, v41, v55
	;; [unrolled: 1-line block ×3, first 2 shown]
	v_lshrrev_b32_e32 v41, 16, v48
	v_lshrrev_b32_e32 v42, 16, v49
	v_and_b32_e32 v47, 0xffff, v48
	v_mul_u32_u24_e32 v48, 0x10001, v40
	v_and_b32_e32 v40, 0xffff, v49
	v_mul_u32_u24_e32 v49, 0x10001, v39
	v_and_b32_e32 v39, 0xffff, v50
	v_pk_fma_f16 v51, v44, v57, v51
	v_pk_fma_f16 v9, v44, v58, v9
	v_lshrrev_b32_e32 v44, 16, v50
	v_mul_u32_u24_e32 v50, 0x10001, v41
	v_mul_u32_u24_e32 v55, 0x10001, v40
	;; [unrolled: 1-line block ×4, first 2 shown]
	ds_load_b128 v[39:42], v30 offset:768
	v_mul_u32_u24_e32 v47, 0x10001, v47
	v_mul_u32_u24_e32 v44, 0x10001, v44
	v_pk_fma_f16 v58, v45, v48, v60
	v_pk_fma_f16 v60, v45, v49, v62
	;; [unrolled: 1-line block ×14, first 2 shown]
	ds_load_2addr_b64 v[47:50], v38 offset1:32
	v_pk_fma_f16 v37, v46, v57, v37
	v_pk_fma_f16 v9, v46, v44, v9
	ds_load_b128 v[43:46], v30 offset:784
	s_wait_dscnt 0x2
	v_lshrrev_b32_e32 v55, 16, v39
	v_and_b32_e32 v39, 0xffff, v39
	v_lshrrev_b32_e32 v56, 16, v40
	v_lshrrev_b32_e32 v57, 16, v41
	;; [unrolled: 1-line block ×3, first 2 shown]
	v_and_b32_e32 v40, 0xffff, v40
	v_and_b32_e32 v41, 0xffff, v41
	;; [unrolled: 1-line block ×3, first 2 shown]
	v_mul_u32_u24_e32 v39, 0x10001, v39
	v_mul_u32_u24_e32 v55, 0x10001, v55
	;; [unrolled: 1-line block ×8, first 2 shown]
	s_wait_dscnt 0x1
	v_pk_fma_f16 v58, v47, v39, v58
	v_pk_fma_f16 v60, v47, v55, v60
	;; [unrolled: 1-line block ×10, first 2 shown]
	s_wait_dscnt 0x0
	v_lshrrev_b32_e32 v39, 16, v43
	v_and_b32_e32 v40, 0xffff, v43
	v_pk_fma_f16 v11, v48, v55, v11
	v_pk_fma_f16 v53, v48, v56, v53
	;; [unrolled: 1-line block ×6, first 2 shown]
	v_lshrrev_b32_e32 v41, 16, v44
	v_lshrrev_b32_e32 v42, 16, v45
	v_mul_u32_u24_e32 v48, 0x10001, v40
	v_and_b32_e32 v40, 0xffff, v45
	v_mul_u32_u24_e32 v45, 0x10001, v39
	v_and_b32_e32 v39, 0xffff, v46
	v_lshrrev_b32_e32 v43, 16, v46
	v_and_b32_e32 v44, 0xffff, v44
	v_mul_u32_u24_e32 v46, 0x10001, v41
	v_mul_u32_u24_e32 v55, 0x10001, v40
	;; [unrolled: 1-line block ×4, first 2 shown]
	ds_load_b128 v[39:42], v30 offset:800
	v_mul_u32_u24_e32 v44, 0x10001, v44
	v_mul_u32_u24_e32 v78, 0x10001, v43
	v_pk_fma_f16 v58, v49, v48, v58
	v_pk_fma_f16 v60, v49, v45, v60
	;; [unrolled: 1-line block ×14, first 2 shown]
	ds_load_2addr_b64 v[43:46], v38 offset0:64 offset1:96
	v_pk_fma_f16 v37, v50, v57, v37
	v_pk_fma_f16 v9, v50, v78, v9
	ds_load_b128 v[47:50], v30 offset:816
	s_wait_dscnt 0x2
	v_lshrrev_b32_e32 v55, 16, v39
	v_and_b32_e32 v39, 0xffff, v39
	v_lshrrev_b32_e32 v56, 16, v40
	v_lshrrev_b32_e32 v57, 16, v41
	;; [unrolled: 1-line block ×3, first 2 shown]
	v_and_b32_e32 v40, 0xffff, v40
	v_and_b32_e32 v41, 0xffff, v41
	;; [unrolled: 1-line block ×3, first 2 shown]
	v_mul_u32_u24_e32 v39, 0x10001, v39
	v_mul_u32_u24_e32 v55, 0x10001, v55
	;; [unrolled: 1-line block ×8, first 2 shown]
	s_wait_dscnt 0x1
	v_pk_fma_f16 v58, v43, v39, v58
	v_pk_fma_f16 v60, v43, v55, v60
	;; [unrolled: 1-line block ×10, first 2 shown]
	s_wait_dscnt 0x0
	v_lshrrev_b32_e32 v39, 16, v47
	v_and_b32_e32 v40, 0xffff, v47
	v_pk_fma_f16 v54, v44, v41, v54
	v_pk_fma_f16 v37, v44, v42, v37
	v_lshrrev_b32_e32 v41, 16, v48
	v_lshrrev_b32_e32 v42, 16, v49
	v_and_b32_e32 v47, 0xffff, v48
	v_mul_u32_u24_e32 v48, 0x10001, v40
	v_and_b32_e32 v40, 0xffff, v49
	v_mul_u32_u24_e32 v49, 0x10001, v39
	v_and_b32_e32 v39, 0xffff, v50
	v_pk_fma_f16 v11, v44, v55, v11
	v_pk_fma_f16 v53, v44, v56, v53
	;; [unrolled: 1-line block ×4, first 2 shown]
	v_lshrrev_b32_e32 v44, 16, v50
	v_mul_u32_u24_e32 v50, 0x10001, v41
	v_mul_u32_u24_e32 v55, 0x10001, v40
	;; [unrolled: 1-line block ×4, first 2 shown]
	ds_load_b128 v[39:42], v30 offset:832
	v_mul_u32_u24_e32 v47, 0x10001, v47
	v_mul_u32_u24_e32 v44, 0x10001, v44
	v_pk_fma_f16 v58, v45, v48, v58
	v_pk_fma_f16 v60, v45, v49, v60
	v_pk_fma_f16 v66, v45, v50, v66
	v_pk_fma_f16 v62, v45, v47, v62
	v_pk_fma_f16 v68, v45, v55, v68
	v_pk_fma_f16 v77, v45, v56, v77
	v_pk_fma_f16 v59, v45, v57, v59
	v_pk_fma_f16 v10, v45, v44, v10
	v_pk_fma_f16 v78, v46, v48, v43
	v_pk_fma_f16 v11, v46, v49, v11
	v_pk_fma_f16 v52, v46, v47, v52
	v_pk_fma_f16 v53, v46, v50, v53
	v_pk_fma_f16 v54, v46, v55, v54
	v_pk_fma_f16 v51, v46, v56, v51
	ds_load_2addr_b64 v[47:50], v38 offset0:128 offset1:160
	v_pk_fma_f16 v37, v46, v57, v37
	v_pk_fma_f16 v9, v46, v44, v9
	ds_load_b128 v[43:46], v30 offset:848
	s_wait_dscnt 0x2
	v_lshrrev_b32_e32 v55, 16, v39
	v_and_b32_e32 v39, 0xffff, v39
	v_lshrrev_b32_e32 v56, 16, v40
	v_lshrrev_b32_e32 v57, 16, v41
	;; [unrolled: 1-line block ×3, first 2 shown]
	v_and_b32_e32 v40, 0xffff, v40
	v_and_b32_e32 v41, 0xffff, v41
	;; [unrolled: 1-line block ×3, first 2 shown]
	v_mul_u32_u24_e32 v39, 0x10001, v39
	v_mul_u32_u24_e32 v55, 0x10001, v55
	;; [unrolled: 1-line block ×8, first 2 shown]
	s_wait_dscnt 0x1
	v_pk_fma_f16 v58, v47, v39, v58
	v_pk_fma_f16 v60, v47, v55, v60
	v_pk_fma_f16 v62, v47, v40, v62
	v_pk_fma_f16 v66, v47, v56, v66
	v_pk_fma_f16 v68, v47, v41, v68
	v_pk_fma_f16 v77, v47, v57, v77
	v_pk_fma_f16 v59, v47, v42, v59
	v_pk_fma_f16 v10, v47, v79, v10
	v_pk_fma_f16 v47, v48, v39, v78
	v_pk_fma_f16 v52, v48, v40, v52
	s_wait_dscnt 0x0
	v_lshrrev_b32_e32 v39, 16, v43
	v_and_b32_e32 v40, 0xffff, v43
	v_pk_fma_f16 v11, v48, v55, v11
	v_pk_fma_f16 v53, v48, v56, v53
	v_pk_fma_f16 v54, v48, v41, v54
	v_pk_fma_f16 v51, v48, v57, v51
	v_pk_fma_f16 v37, v48, v42, v37
	v_pk_fma_f16 v9, v48, v79, v9
	v_lshrrev_b32_e32 v41, 16, v44
	v_lshrrev_b32_e32 v42, 16, v45
	v_mul_u32_u24_e32 v48, 0x10001, v40
	v_and_b32_e32 v40, 0xffff, v45
	v_mul_u32_u24_e32 v45, 0x10001, v39
	v_and_b32_e32 v39, 0xffff, v46
	v_lshrrev_b32_e32 v43, 16, v46
	v_and_b32_e32 v44, 0xffff, v44
	v_mul_u32_u24_e32 v46, 0x10001, v41
	v_mul_u32_u24_e32 v55, 0x10001, v40
	;; [unrolled: 1-line block ×4, first 2 shown]
	ds_load_b128 v[39:42], v30 offset:864
	v_mul_u32_u24_e32 v44, 0x10001, v44
	v_mul_u32_u24_e32 v78, 0x10001, v43
	v_pk_fma_f16 v58, v49, v48, v58
	v_pk_fma_f16 v60, v49, v45, v60
	;; [unrolled: 1-line block ×14, first 2 shown]
	ds_load_2addr_b64 v[43:46], v38 offset0:192 offset1:224
	v_pk_fma_f16 v37, v50, v57, v37
	v_pk_fma_f16 v9, v50, v78, v9
	ds_load_b128 v[47:50], v30 offset:880
	s_wait_dscnt 0x2
	v_lshrrev_b32_e32 v38, 16, v39
	v_lshrrev_b32_e32 v56, 16, v41
	;; [unrolled: 1-line block ×3, first 2 shown]
	v_and_b32_e32 v41, 0xffff, v41
	v_and_b32_e32 v42, 0xffff, v42
	;; [unrolled: 1-line block ×3, first 2 shown]
	v_lshrrev_b32_e32 v55, 16, v40
	v_and_b32_e32 v40, 0xffff, v40
	v_mul_u32_u24_e32 v38, 0x10001, v38
	v_mul_u32_u24_e32 v41, 0x10001, v41
	;; [unrolled: 1-line block ×8, first 2 shown]
	s_wait_dscnt 0x1
	v_pk_fma_f16 v60, v43, v38, v60
	v_pk_fma_f16 v68, v43, v41, v68
	;; [unrolled: 1-line block ×5, first 2 shown]
	s_wait_dscnt 0x0
	v_lshrrev_b32_e32 v37, 16, v47
	v_and_b32_e32 v38, 0xffff, v47
	v_pk_fma_f16 v58, v43, v39, v58
	v_pk_fma_f16 v62, v43, v40, v62
	;; [unrolled: 1-line block ×11, first 2 shown]
	v_lshrrev_b32_e32 v39, 16, v48
	v_lshrrev_b32_e32 v40, 16, v49
	v_and_b32_e32 v44, 0xffff, v48
	v_mul_u32_u24_e32 v47, 0x10001, v38
	v_and_b32_e32 v38, 0xffff, v49
	v_mul_u32_u24_e32 v48, 0x10001, v37
	v_and_b32_e32 v37, 0xffff, v50
	v_lshrrev_b32_e32 v42, 16, v50
	v_mul_u32_u24_e32 v49, 0x10001, v39
	v_mul_u32_u24_e32 v50, 0x10001, v38
	;; [unrolled: 1-line block ×4, first 2 shown]
	ds_load_b128 v[37:40], v30 offset:896
	v_mul_u32_u24_e32 v44, 0x10001, v44
	v_mul_u32_u24_e32 v57, 0x10001, v42
	v_pk_fma_f16 v58, v45, v47, v58
	v_pk_fma_f16 v60, v45, v48, v60
	;; [unrolled: 1-line block ×14, first 2 shown]
	ds_load_2addr_b64 v[41:44], v8 offset1:32
	v_pk_fma_f16 v53, v46, v56, v54
	v_pk_fma_f16 v9, v46, v57, v9
	ds_load_b128 v[45:48], v30 offset:912
	s_wait_dscnt 0x2
	v_lshrrev_b32_e32 v54, 16, v37
	v_and_b32_e32 v37, 0xffff, v37
	v_lshrrev_b32_e32 v55, 16, v38
	v_lshrrev_b32_e32 v56, 16, v39
	;; [unrolled: 1-line block ×3, first 2 shown]
	v_and_b32_e32 v38, 0xffff, v38
	v_and_b32_e32 v39, 0xffff, v39
	;; [unrolled: 1-line block ×3, first 2 shown]
	v_mul_u32_u24_e32 v37, 0x10001, v37
	v_mul_u32_u24_e32 v54, 0x10001, v54
	;; [unrolled: 1-line block ×8, first 2 shown]
	s_wait_dscnt 0x1
	v_pk_fma_f16 v58, v41, v37, v58
	v_pk_fma_f16 v60, v41, v54, v60
	;; [unrolled: 1-line block ×10, first 2 shown]
	s_wait_dscnt 0x0
	v_lshrrev_b32_e32 v37, 16, v45
	v_and_b32_e32 v38, 0xffff, v45
	v_pk_fma_f16 v50, v42, v39, v50
	v_pk_fma_f16 v53, v42, v40, v53
	v_lshrrev_b32_e32 v39, 16, v46
	v_lshrrev_b32_e32 v40, 16, v47
	v_and_b32_e32 v45, 0xffff, v46
	v_mul_u32_u24_e32 v46, 0x10001, v38
	v_and_b32_e32 v38, 0xffff, v47
	v_mul_u32_u24_e32 v47, 0x10001, v37
	v_and_b32_e32 v37, 0xffff, v48
	v_pk_fma_f16 v11, v42, v54, v11
	v_pk_fma_f16 v49, v42, v55, v49
	;; [unrolled: 1-line block ×4, first 2 shown]
	v_lshrrev_b32_e32 v42, 16, v48
	v_mul_u32_u24_e32 v48, 0x10001, v39
	v_mul_u32_u24_e32 v54, 0x10001, v38
	v_mul_u32_u24_e32 v55, 0x10001, v40
	v_mul_u32_u24_e32 v56, 0x10001, v37
	ds_load_b128 v[37:40], v30 offset:928
	v_mul_u32_u24_e32 v45, 0x10001, v45
	v_mul_u32_u24_e32 v42, 0x10001, v42
	v_pk_fma_f16 v57, v43, v46, v58
	v_pk_fma_f16 v58, v43, v47, v60
	;; [unrolled: 1-line block ×14, first 2 shown]
	ds_load_2addr_b64 v[45:48], v8 offset0:64 offset1:96
	v_pk_fma_f16 v53, v44, v56, v53
	v_pk_fma_f16 v9, v44, v42, v9
	ds_load_b128 v[41:44], v30 offset:944
	s_wait_dscnt 0x2
	v_lshrrev_b32_e32 v54, 16, v37
	v_and_b32_e32 v37, 0xffff, v37
	v_lshrrev_b32_e32 v55, 16, v38
	v_lshrrev_b32_e32 v56, 16, v39
	;; [unrolled: 1-line block ×3, first 2 shown]
	v_and_b32_e32 v38, 0xffff, v38
	v_and_b32_e32 v39, 0xffff, v39
	;; [unrolled: 1-line block ×3, first 2 shown]
	v_mul_u32_u24_e32 v37, 0x10001, v37
	v_mul_u32_u24_e32 v54, 0x10001, v54
	;; [unrolled: 1-line block ×8, first 2 shown]
	s_wait_dscnt 0x1
	v_pk_fma_f16 v57, v45, v37, v57
	v_pk_fma_f16 v58, v45, v54, v58
	;; [unrolled: 1-line block ×10, first 2 shown]
	s_wait_dscnt 0x0
	v_lshrrev_b32_e32 v37, 16, v41
	v_and_b32_e32 v38, 0xffff, v41
	v_pk_fma_f16 v11, v46, v54, v11
	v_pk_fma_f16 v49, v46, v55, v49
	;; [unrolled: 1-line block ×6, first 2 shown]
	v_lshrrev_b32_e32 v39, 16, v42
	v_lshrrev_b32_e32 v40, 16, v43
	v_mul_u32_u24_e32 v46, 0x10001, v38
	v_and_b32_e32 v38, 0xffff, v43
	v_mul_u32_u24_e32 v43, 0x10001, v37
	v_and_b32_e32 v37, 0xffff, v44
	v_lshrrev_b32_e32 v41, 16, v44
	v_and_b32_e32 v42, 0xffff, v42
	v_mul_u32_u24_e32 v44, 0x10001, v39
	v_mul_u32_u24_e32 v54, 0x10001, v38
	;; [unrolled: 1-line block ×4, first 2 shown]
	ds_load_b128 v[37:40], v30 offset:960
	v_mul_u32_u24_e32 v42, 0x10001, v42
	v_mul_u32_u24_e32 v77, 0x10001, v41
	v_pk_fma_f16 v57, v47, v46, v57
	v_pk_fma_f16 v58, v47, v43, v58
	;; [unrolled: 1-line block ×14, first 2 shown]
	ds_load_2addr_b64 v[41:44], v8 offset0:128 offset1:160
	v_pk_fma_f16 v53, v48, v56, v53
	v_pk_fma_f16 v9, v48, v77, v9
	ds_load_b128 v[45:48], v30 offset:976
	s_wait_dscnt 0x2
	v_lshrrev_b32_e32 v54, 16, v37
	v_and_b32_e32 v37, 0xffff, v37
	v_lshrrev_b32_e32 v55, 16, v38
	v_lshrrev_b32_e32 v56, 16, v39
	v_lshrrev_b32_e32 v77, 16, v40
	v_and_b32_e32 v38, 0xffff, v38
	v_and_b32_e32 v39, 0xffff, v39
	v_and_b32_e32 v40, 0xffff, v40
	v_mul_u32_u24_e32 v37, 0x10001, v37
	v_mul_u32_u24_e32 v54, 0x10001, v54
	;; [unrolled: 1-line block ×8, first 2 shown]
	s_wait_dscnt 0x1
	v_pk_fma_f16 v57, v41, v37, v57
	v_pk_fma_f16 v58, v41, v54, v58
	;; [unrolled: 1-line block ×9, first 2 shown]
	s_wait_dscnt 0x0
	v_and_b32_e32 v37, 0xffff, v45
	v_pk_fma_f16 v52, v42, v38, v52
	v_pk_fma_f16 v50, v42, v39, v50
	;; [unrolled: 1-line block ×3, first 2 shown]
	v_lshrrev_b32_e32 v38, 16, v46
	v_lshrrev_b32_e32 v39, 16, v47
	v_and_b32_e32 v40, 0xffff, v46
	v_mul_u32_u24_e32 v46, 0x10001, v37
	v_and_b32_e32 v37, 0xffff, v47
	v_pk_fma_f16 v11, v42, v54, v11
	v_pk_fma_f16 v49, v42, v55, v49
	;; [unrolled: 1-line block ×4, first 2 shown]
	v_lshrrev_b32_e32 v9, 16, v45
	v_lshrrev_b32_e32 v45, 16, v48
	v_and_b32_e32 v47, 0xffff, v48
	v_mul_u32_u24_e32 v48, 0x10001, v40
	v_mul_u32_u24_e32 v54, 0x10001, v38
	;; [unrolled: 1-line block ×4, first 2 shown]
	ds_load_b128 v[37:40], v30 offset:992
	v_mul_u32_u24_e32 v9, 0x10001, v9
	v_mul_u32_u24_e32 v47, 0x10001, v47
	;; [unrolled: 1-line block ×3, first 2 shown]
	v_pk_fma_f16 v57, v43, v46, v57
	v_pk_fma_f16 v60, v43, v48, v60
	;; [unrolled: 1-line block ×14, first 2 shown]
	ds_load_2addr_b64 v[8:11], v8 offset0:192 offset1:224
	v_pk_fma_f16 v47, v44, v47, v53
	v_pk_fma_f16 v45, v44, v45, v42
	ds_load_b128 v[41:44], v30 offset:1008
	s_wait_dscnt 0x2
	v_lshrrev_b32_e32 v52, 16, v37
	v_and_b32_e32 v37, 0xffff, v37
	v_lshrrev_b32_e32 v53, 16, v38
	v_lshrrev_b32_e32 v54, 16, v39
	;; [unrolled: 1-line block ×3, first 2 shown]
	v_and_b32_e32 v38, 0xffff, v38
	v_and_b32_e32 v39, 0xffff, v39
	v_and_b32_e32 v40, 0xffff, v40
	s_wait_loadcnt_dscnt 0x0
	s_barrier_signal -1
	s_barrier_wait -1
	global_inv scope:SCOPE_SE
	s_load_b32 s11, s[24:25], 0x4
	v_mul_u32_u24_e32 v37, 0x10001, v37
	v_mul_u32_u24_e32 v52, 0x10001, v52
	v_mul_u32_u24_e32 v38, 0x10001, v38
	v_mul_u32_u24_e32 v53, 0x10001, v53
	v_mul_u32_u24_e32 v39, 0x10001, v39
	v_mul_u32_u24_e32 v54, 0x10001, v54
	v_mul_u32_u24_e32 v40, 0x10001, v40
	v_mul_u32_u24_e32 v55, 0x10001, v55
	v_pk_fma_f16 v56, v8, v37, v57
	v_pk_fma_f16 v57, v8, v52, v58
	;; [unrolled: 1-line block ×10, first 2 shown]
	v_lshrrev_b32_e32 v38, 16, v41
	v_and_b32_e32 v39, 0xffff, v41
	v_pk_fma_f16 v37, v9, v37, v46
	v_pk_fma_f16 v46, v9, v52, v78
	;; [unrolled: 1-line block ×6, first 2 shown]
	v_lshrrev_b32_e32 v41, 16, v42
	v_and_b32_e32 v42, 0xffff, v42
	v_lshrrev_b32_e32 v45, 16, v43
	v_lshrrev_b32_e32 v47, 16, v44
	v_mul_u32_u24_e32 v50, 0x10001, v39
	v_mul_u32_u24_e32 v55, 0x10001, v38
	v_and_b32_e32 v38, 0xffff, v43
	v_and_b32_e32 v39, 0xffff, v44
	v_mul_u32_u24_e32 v42, 0x10001, v42
	v_mul_u32_u24_e32 v78, 0x10001, v41
	;; [unrolled: 1-line block ×6, first 2 shown]
	s_wait_kmcnt 0x0
	s_lshl_b32 s11, s11, 6
	v_pk_fma_f16 v51, v10, v50, v56
	v_pk_fma_f16 v49, v10, v55, v57
	;; [unrolled: 1-line block ×16, first 2 shown]
	s_wait_alu 0xfffe
	s_add_co_i32 s10, s11, s10
	s_wait_alu 0xfffe
	s_cmp_ge_i32 s10, s30
	s_cbranch_scc1 .LBB71_75
; %bb.74:                               ;   in Loop: Header=BB71_9 Depth=1
	v_dual_mov_b32 v66, v0 :: v_dual_mov_b32 v59, v3
	v_dual_mov_b32 v68, v1 :: v_dual_mov_b32 v57, v4
	;; [unrolled: 1-line block ×7, first 2 shown]
	v_mov_b32_e32 v10, v74
	v_mov_b32_e32 v8, v75
	s_branch .LBB71_9
.LBB71_75:
	v_mov_b32_e32 v8, v23
.LBB71_76:
	v_cmp_lt_i32_e32 vcc_lo, v67, v22
	s_cmp_lg_u64 s[12:13], 0
	s_cselect_b32 s3, -1, 0
	s_cmp_eq_u32 s4, 0
	s_wait_alu 0xfffd
	v_cndmask_b32_e32 v9, v8, v67, vcc_lo
	v_cmp_lt_i32_e32 vcc_lo, v65, v22
	s_cselect_b32 s5, -1, 0
	s_wait_alu 0xfffe
	s_and_b32 s3, s5, s3
	v_lshlrev_b32_e32 v9, 2, v9
	ds_bpermute_b32 v12, v9, v71
	s_wait_dscnt 0x0
	v_add_f32_e32 v12, v71, v12
	ds_bpermute_b32 v10, v9, v69
	ds_bpermute_b32 v14, v9, v73
	;; [unrolled: 1-line block ×3, first 2 shown]
	s_wait_alu 0xfffd
	v_cndmask_b32_e32 v17, v8, v65, vcc_lo
	ds_bpermute_b32 v13, v9, v72
	ds_bpermute_b32 v11, v9, v70
	ds_bpermute_b32 v15, v9, v74
	ds_bpermute_b32 v9, v9, v75
	v_cmp_lt_i32_e32 vcc_lo, v64, v22
	s_wait_dscnt 0x6
	v_add_f32_e32 v10, v69, v10
	s_wait_dscnt 0x5
	v_dual_add_f32 v14, v73, v14 :: v_dual_lshlrev_b32 v17, 2, v17
	s_wait_dscnt 0x4
	v_add_f32_e32 v16, v76, v16
	ds_bpermute_b32 v18, v17, v10
	ds_bpermute_b32 v27, v17, v16
	;; [unrolled: 1-line block ×4, first 2 shown]
	s_wait_dscnt 0x7
	v_add_f32_e32 v13, v72, v13
	s_wait_dscnt 0x6
	v_add_f32_e32 v11, v70, v11
	s_wait_dscnt 0x3
	v_dual_add_f32 v9, v75, v9 :: v_dual_add_f32 v10, v10, v18
	s_wait_alu 0xfffd
	v_cndmask_b32_e32 v29, v8, v64, vcc_lo
	s_wait_dscnt 0x2
	v_add_f32_e32 v16, v16, v27
	v_add_f32_e32 v15, v74, v15
	ds_bpermute_b32 v21, v17, v13
	s_wait_dscnt 0x2
	v_dual_add_f32 v12, v12, v20 :: v_dual_lshlrev_b32 v29, 2, v29
	ds_bpermute_b32 v19, v17, v11
	ds_bpermute_b32 v26, v17, v15
	s_wait_dscnt 0x3
	v_add_f32_e32 v14, v14, v23
	ds_bpermute_b32 v17, v17, v9
	v_cmp_lt_i32_e32 vcc_lo, v63, v22
	s_wait_dscnt 0x3
	v_add_f32_e32 v13, v13, v21
	ds_bpermute_b32 v21, v29, v14
	s_wait_dscnt 0x3
	v_add_f32_e32 v11, v11, v19
	ds_bpermute_b32 v19, v29, v12
	s_wait_dscnt 0x3
	v_add_f32_e32 v15, v15, v26
	s_wait_dscnt 0x2
	v_add_f32_e32 v9, v9, v17
	ds_bpermute_b32 v17, v29, v10
	ds_bpermute_b32 v26, v29, v16
	;; [unrolled: 1-line block ×4, first 2 shown]
	s_wait_dscnt 0x5
	v_add_f32_e32 v14, v14, v21
	ds_bpermute_b32 v18, v29, v11
	s_wait_dscnt 0x5
	v_add_f32_e32 v12, v12, v19
	ds_bpermute_b32 v20, v29, v13
	s_wait_dscnt 0x5
	s_wait_alu 0xfffd
	v_dual_add_f32 v10, v10, v17 :: v_dual_cndmask_b32 v29, v8, v63
	v_cmp_lt_i32_e32 vcc_lo, v61, v22
	s_wait_dscnt 0x4
	s_delay_alu instid0(VALU_DEP_2)
	v_dual_add_f32 v16, v16, v26 :: v_dual_lshlrev_b32 v29, 2, v29
	s_wait_alu 0xfffd
	v_cndmask_b32_e32 v8, v8, v61, vcc_lo
	s_wait_alu 0xfffe
	s_and_b32 vcc_lo, exec_lo, s3
	ds_bpermute_b32 v19, v29, v12
	v_lshlrev_b32_e32 v8, 2, v8
	s_wait_dscnt 0x0
	v_add_f32_e32 v12, v12, v19
	ds_bpermute_b32 v21, v29, v14
	v_add_f32_e32 v11, v11, v18
	ds_bpermute_b32 v17, v29, v10
	ds_bpermute_b32 v26, v29, v16
	v_add_f32_e32 v13, v13, v20
	ds_bpermute_b32 v19, v8, v12
	s_wait_dscnt 0x3
	v_add_f32_e32 v14, v14, v21
	ds_bpermute_b32 v18, v29, v11
	s_wait_dscnt 0x3
	v_add_f32_e32 v10, v10, v17
	s_wait_dscnt 0x2
	v_add_f32_e32 v16, v16, v26
	ds_bpermute_b32 v20, v29, v13
	ds_bpermute_b32 v21, v8, v14
	v_add_f32_e32 v9, v9, v27
	ds_bpermute_b32 v27, v29, v9
	s_wait_dscnt 0x3
	v_add_f32_e32 v11, v11, v18
	ds_bpermute_b32 v18, v8, v11
	s_wait_dscnt 0x1
	v_add_f32_e32 v17, v9, v27
	ds_bpermute_b32 v9, v8, v10
	v_add_f32_e32 v15, v15, v23
	ds_bpermute_b32 v26, v8, v17
	ds_bpermute_b32 v23, v29, v15
	s_wait_dscnt 0x0
	v_add_f32_e32 v15, v15, v23
	ds_bpermute_b32 v23, v8, v16
	v_add_f32_e32 v13, v13, v20
	ds_bpermute_b32 v22, v8, v15
	ds_bpermute_b32 v20, v8, v13
	v_add_f32_e32 v8, v10, v9
	v_dual_add_f32 v10, v12, v19 :: v_dual_add_f32 v9, v11, v18
	v_add_f32_e32 v12, v14, v21
	s_wait_dscnt 0x0
	v_dual_add_f32 v14, v16, v23 :: v_dual_add_f32 v11, v13, v20
	v_add_f32_e32 v13, v15, v22
	v_add_f32_e32 v15, v17, v26
	s_wait_alu 0xfffe
	s_cbranch_vccz .LBB71_79
; %bb.77:
	s_ashr_i32 s29, s28, 31
	v_dual_mov_b32 v16, 0 :: v_dual_max_num_f32 v17, v1, v1
	s_lshl_b64 s[6:7], s[28:29], 2
	v_dual_max_num_f32 v18, v2, v2 :: v_dual_max_num_f32 v21, v5, v5
	s_add_nc_u64 s[6:7], s[12:13], s[6:7]
	s_clause 0x1
	global_load_b128 v[29:32], v16, s[6:7]
	global_load_b128 v[33:36], v16, s[6:7] offset:16
	v_dual_max_num_f32 v16, v0, v0 :: v_dual_max_num_f32 v19, v3, v3
	v_dual_max_num_f32 v20, v4, v4 :: v_dual_max_num_f32 v23, v7, v7
	s_wait_loadcnt 0x1
	v_dual_max_num_f32 v22, v6, v6 :: v_dual_max_num_f32 v53, v31, v31
	v_dual_max_num_f32 v26, v29, v29 :: v_dual_max_num_f32 v27, v30, v30
	s_wait_loadcnt 0x0
	v_dual_max_num_f32 v54, v32, v32 :: v_dual_max_num_f32 v55, v33, v33
	v_dual_max_num_f32 v56, v34, v34 :: v_dual_max_num_f32 v57, v35, v35
	s_delay_alu instid0(VALU_DEP_3) | instskip(NEXT) | instid1(VALU_DEP_2)
	v_dual_max_num_f32 v58, v36, v36 :: v_dual_max_num_f32 v17, v17, v27
	v_dual_max_num_f32 v16, v16, v26 :: v_dual_max_num_f32 v21, v21, v56
	s_delay_alu instid0(VALU_DEP_4) | instskip(NEXT) | instid1(VALU_DEP_3)
	v_dual_max_num_f32 v18, v18, v53 :: v_dual_max_num_f32 v19, v19, v54
	v_dual_max_num_f32 v20, v20, v55 :: v_dual_max_num_f32 v23, v23, v58
	s_delay_alu instid0(VALU_DEP_3) | instskip(SKIP_1) | instid1(VALU_DEP_4)
	v_dual_max_num_f32 v22, v22, v57 :: v_dual_sub_f32 v27, v29, v16
	v_dual_sub_f32 v26, v0, v16 :: v_dual_sub_f32 v29, v1, v17
	v_dual_sub_f32 v53, v2, v18 :: v_dual_sub_f32 v54, v3, v19
	s_delay_alu instid0(VALU_DEP_4) | instskip(NEXT) | instid1(VALU_DEP_4)
	v_dual_sub_f32 v55, v4, v20 :: v_dual_sub_f32 v56, v5, v21
	v_dual_sub_f32 v57, v6, v22 :: v_dual_sub_f32 v58, v7, v23
	v_dual_mov_b32 v0, v16 :: v_dual_mov_b32 v3, v19
	v_dual_sub_f32 v30, v30, v17 :: v_dual_sub_f32 v31, v31, v18
	v_dual_sub_f32 v36, v36, v23 :: v_dual_mov_b32 v1, v17
	v_dual_mov_b32 v2, v18 :: v_dual_mov_b32 v5, v21
	v_dual_mov_b32 v4, v20 :: v_dual_mov_b32 v7, v23
	v_dual_mov_b32 v6, v22 :: v_dual_mul_f32 v17, 0x3fb8aa3b, v27
	v_mul_f32_e32 v16, 0x3fb8aa3b, v26
	v_dual_sub_f32 v32, v32, v19 :: v_dual_sub_f32 v33, v33, v20
	v_dual_sub_f32 v34, v34, v21 :: v_dual_sub_f32 v35, v35, v22
	v_dual_mul_f32 v18, 0x3fb8aa3b, v29 :: v_dual_mul_f32 v19, 0x3fb8aa3b, v30
	v_mul_f32_e32 v21, 0x3fb8aa3b, v31
	v_fma_f32 v67, 0x3fb8aa3b, v26, -v16
	v_rndne_f32_e32 v68, v16
	v_fma_f32 v69, 0x3fb8aa3b, v27, -v17
	v_rndne_f32_e32 v74, v19
	v_rndne_f32_e32 v70, v17
	s_delay_alu instid0(VALU_DEP_4) | instskip(SKIP_1) | instid1(VALU_DEP_4)
	v_dual_fmac_f32 v67, 0x32a5705f, v26 :: v_dual_sub_f32 v16, v16, v68
	v_fma_f32 v73, 0x3fb8aa3b, v30, -v19
	v_dual_sub_f32 v19, v19, v74 :: v_dual_mul_f32 v20, 0x3fb8aa3b, v53
	s_delay_alu instid0(VALU_DEP_3)
	v_dual_mul_f32 v23, 0x3fb8aa3b, v32 :: v_dual_add_f32 v16, v16, v67
	v_dual_mul_f32 v66, 0x3fb8aa3b, v36 :: v_dual_sub_f32 v17, v17, v70
	v_fma_f32 v71, 0x3fb8aa3b, v29, -v18
	v_rndne_f32_e32 v72, v18
	v_fmac_f32_e32 v69, 0x32a5705f, v27
	v_exp_f32_e32 v16, v16
	v_dual_mul_f32 v22, 0x3fb8aa3b, v54 :: v_dual_mul_f32 v59, 0x3fb8aa3b, v55
	v_dual_mul_f32 v60, 0x3fb8aa3b, v33 :: v_dual_mul_f32 v61, 0x3fb8aa3b, v56
	v_rndne_f32_e32 v76, v20
	v_rndne_f32_e32 v78, v21
	v_cvt_i32_f32_e32 v68, v68
	v_dual_fmac_f32 v71, 0x32a5705f, v29 :: v_dual_sub_f32 v18, v18, v72
	v_add_f32_e32 v17, v17, v69
	v_fma_f32 v75, 0x3fb8aa3b, v53, -v20
	v_fma_f32 v77, 0x3fb8aa3b, v31, -v21
	v_rndne_f32_e32 v80, v22
	v_fma_f32 v85, 0x3fb8aa3b, v33, -v60
	v_dual_fmac_f32 v73, 0x32a5705f, v30 :: v_dual_sub_f32 v20, v20, v76
	v_dual_sub_f32 v21, v21, v78 :: v_dual_add_f32 v18, v18, v71
	v_exp_f32_e32 v17, v17
	v_ldexp_f32 v16, v16, v68
	v_cmp_ngt_f32_e32 vcc_lo, 0xc2ce8ed0, v26
	v_dual_mul_f32 v62, 0x3fb8aa3b, v34 :: v_dual_mul_f32 v63, 0x3fb8aa3b, v57
	v_fma_f32 v79, 0x3fb8aa3b, v54, -v22
	v_rndne_f32_e32 v86, v60
	v_cvt_i32_f32_e32 v70, v70
	v_dual_fmac_f32 v75, 0x32a5705f, v53 :: v_dual_sub_f32 v22, v22, v80
	s_wait_alu 0xfffd
	v_dual_fmac_f32 v85, 0x32a5705f, v33 :: v_dual_cndmask_b32 v16, 0, v16
	v_add_f32_e32 v19, v19, v73
	v_exp_f32_e32 v18, v18
	v_rndne_f32_e32 v90, v62
	v_cvt_i32_f32_e32 v72, v72
	v_dual_fmac_f32 v77, 0x32a5705f, v31 :: v_dual_sub_f32 v60, v60, v86
	v_dual_fmac_f32 v79, 0x32a5705f, v54 :: v_dual_add_f32 v20, v20, v75
	v_exp_f32_e32 v19, v19
	v_ldexp_f32 v17, v17, v70
	v_cmp_ngt_f32_e32 vcc_lo, 0xc2ce8ed0, v27
	v_dual_mul_f32 v64, 0x3fb8aa3b, v35 :: v_dual_mul_f32 v65, 0x3fb8aa3b, v58
	v_fma_f32 v81, 0x3fb8aa3b, v32, -v23
	v_rndne_f32_e32 v82, v23
	v_fma_f32 v89, 0x3fb8aa3b, v34, -v62
	v_fma_f32 v91, 0x3fb8aa3b, v57, -v63
	v_cvt_i32_f32_e32 v74, v74
	v_dual_sub_f32 v62, v62, v90 :: v_dual_add_f32 v21, v21, v77
	v_exp_f32_e32 v20, v20
	v_ldexp_f32 v18, v18, v72
	s_wait_alu 0xfffd
	v_cndmask_b32_e32 v17, 0, v17, vcc_lo
	v_cmp_ngt_f32_e32 vcc_lo, 0xc2ce8ed0, v29
	v_fma_f32 v83, 0x3fb8aa3b, v55, -v59
	v_rndne_f32_e32 v84, v59
	v_rndne_f32_e32 v94, v64
	v_cvt_i32_f32_e32 v76, v76
	v_fmac_f32_e32 v81, 0x32a5705f, v32
	v_dual_sub_f32 v23, v23, v82 :: v_dual_add_f32 v22, v22, v79
	s_wait_alu 0xfffd
	v_dual_fmac_f32 v91, 0x32a5705f, v57 :: v_dual_cndmask_b32 v18, 0, v18
	v_exp_f32_e32 v21, v21
	v_ldexp_f32 v19, v19, v74
	v_cmp_ngt_f32_e32 vcc_lo, 0xc2ce8ed0, v30
	v_fma_f32 v93, 0x3fb8aa3b, v35, -v64
	v_fma_f32 v97, 0x3fb8aa3b, v36, -v66
	v_rndne_f32_e32 v98, v66
	v_cvt_i32_f32_e32 v78, v78
	v_fmac_f32_e32 v83, 0x32a5705f, v55
	v_dual_sub_f32 v59, v59, v84 :: v_dual_add_f32 v60, v60, v85
	v_dual_sub_f32 v64, v64, v94 :: v_dual_add_f32 v23, v23, v81
	v_exp_f32_e32 v22, v22
	v_ldexp_f32 v20, v20, v76
	s_wait_alu 0xfffd
	v_cndmask_b32_e32 v19, 0, v19, vcc_lo
	v_cmp_ngt_f32_e32 vcc_lo, 0xc2ce8ed0, v53
	v_fma_f32 v87, 0x3fb8aa3b, v56, -v61
	v_rndne_f32_e32 v88, v61
	v_cvt_i32_f32_e32 v80, v80
	s_wait_alu 0xfffd
	v_dual_fmac_f32 v93, 0x32a5705f, v35 :: v_dual_cndmask_b32 v20, 0, v20
	v_dual_fmac_f32 v97, 0x32a5705f, v36 :: v_dual_sub_f32 v66, v66, v98
	v_add_f32_e32 v59, v59, v83
	v_exp_f32_e32 v23, v23
	v_ldexp_f32 v21, v21, v78
	v_cmp_ngt_f32_e32 vcc_lo, 0xc2ce8ed0, v31
	v_rndne_f32_e32 v92, v63
	v_cvt_i32_f32_e32 v82, v82
	v_dual_sub_f32 v61, v61, v88 :: v_dual_add_f32 v64, v64, v93
	v_dual_fmac_f32 v89, 0x32a5705f, v34 :: v_dual_add_f32 v66, v66, v97
	v_fmac_f32_e32 v87, 0x32a5705f, v56
	v_exp_f32_e32 v59, v59
	v_ldexp_f32 v22, v22, v80
	s_wait_alu 0xfffd
	v_cndmask_b32_e32 v21, 0, v21, vcc_lo
	v_cmp_ngt_f32_e32 vcc_lo, 0xc2ce8ed0, v54
	v_cvt_i32_f32_e32 v84, v84
	v_dual_sub_f32 v63, v63, v92 :: v_dual_add_f32 v62, v62, v89
	v_add_f32_e32 v61, v61, v87
	v_exp_f32_e32 v60, v60
	v_ldexp_f32 v23, v23, v82
	s_wait_alu 0xfffd
	v_cndmask_b32_e32 v22, 0, v22, vcc_lo
	v_cmp_ngt_f32_e32 vcc_lo, 0xc2ce8ed0, v32
	v_cvt_i32_f32_e32 v86, v86
	v_exp_f32_e32 v61, v61
	v_ldexp_f32 v59, v59, v84
	v_fma_f32 v95, 0x3fb8aa3b, v58, -v65
	s_wait_alu 0xfffd
	v_cndmask_b32_e32 v23, 0, v23, vcc_lo
	v_cmp_ngt_f32_e32 vcc_lo, 0xc2ce8ed0, v55
	v_cvt_i32_f32_e32 v88, v88
	v_ldexp_f32 v60, v60, v86
	v_exp_f32_e32 v62, v62
	v_cvt_i32_f32_e32 v90, v90
	s_wait_alu 0xfffd
	v_cndmask_b32_e32 v59, 0, v59, vcc_lo
	v_cmp_ngt_f32_e32 vcc_lo, 0xc2ce8ed0, v33
	v_fmac_f32_e32 v95, 0x32a5705f, v58
	v_ldexp_f32 v61, v61, v88
	v_rndne_f32_e32 v96, v65
	v_cvt_i32_f32_e32 v92, v92
	s_wait_alu 0xfffd
	v_cndmask_b32_e32 v60, 0, v60, vcc_lo
	v_cmp_ngt_f32_e32 vcc_lo, 0xc2ce8ed0, v56
	v_exp_f32_e32 v64, v64
	v_ldexp_f32 v62, v62, v90
	v_cvt_i32_f32_e32 v94, v94
	v_exp_f32_e32 v66, v66
	s_wait_alu 0xfffd
	v_cndmask_b32_e32 v61, 0, v61, vcc_lo
	v_add_f32_e32 v63, v63, v91
	v_cmp_ngt_f32_e32 vcc_lo, 0xc2ce8ed0, v34
	v_sub_f32_e32 v65, v65, v96
	v_cvt_i32_f32_e32 v96, v96
	v_cvt_i32_f32_e32 v98, v98
	v_exp_f32_e32 v63, v63
	s_wait_alu 0xfffd
	v_cndmask_b32_e32 v62, 0, v62, vcc_lo
	v_cmp_ngt_f32_e32 vcc_lo, 0xc2ce8ed0, v57
	v_ldexp_f32 v64, v64, v94
	v_ldexp_f32 v66, v66, v98
	s_delay_alu instid0(TRANS32_DEP_1) | instskip(SKIP_1) | instid1(VALU_DEP_1)
	v_ldexp_f32 v63, v63, v92
	s_wait_alu 0xfffd
	v_cndmask_b32_e32 v63, 0, v63, vcc_lo
	v_cmp_ngt_f32_e32 vcc_lo, 0xc2ce8ed0, v35
	s_wait_alu 0xfffd
	v_dual_cndmask_b32 v64, 0, v64 :: v_dual_add_f32 v65, v65, v95
	v_cmp_ngt_f32_e32 vcc_lo, 0xc2ce8ed0, v58
	s_delay_alu instid0(VALU_DEP_2) | instskip(NEXT) | instid1(TRANS32_DEP_1)
	v_exp_f32_e32 v65, v65
	v_ldexp_f32 v65, v65, v96
	s_wait_alu 0xfffd
	s_delay_alu instid0(VALU_DEP_1)
	v_cndmask_b32_e32 v65, 0, v65, vcc_lo
	v_cmp_ngt_f32_e32 vcc_lo, 0xc2ce8ed0, v36
	s_wait_alu 0xfffd
	v_cndmask_b32_e32 v66, 0, v66, vcc_lo
	v_cmp_nlt_f32_e32 vcc_lo, 0x42b17218, v26
	s_wait_alu 0xfffd
	v_cndmask_b32_e32 v26, 0x7f800000, v16, vcc_lo
	v_cmp_nlt_f32_e32 vcc_lo, 0x42b17218, v27
	s_wait_alu 0xfffd
	v_cndmask_b32_e32 v16, 0x7f800000, v17, vcc_lo
	v_cmp_nlt_f32_e32 vcc_lo, 0x42b17218, v29
	s_delay_alu instid0(VALU_DEP_2)
	v_fmac_f32_e32 v16, v8, v26
	s_wait_alu 0xfffd
	v_cndmask_b32_e32 v27, 0x7f800000, v18, vcc_lo
	v_cmp_nlt_f32_e32 vcc_lo, 0x42b17218, v30
	v_cvt_f16_f32_e32 v8, v26
	s_wait_alu 0xfffd
	v_cndmask_b32_e32 v17, 0x7f800000, v19, vcc_lo
	v_cmp_nlt_f32_e32 vcc_lo, 0x42b17218, v53
	s_delay_alu instid0(VALU_DEP_3) | instskip(SKIP_3) | instid1(VALU_DEP_3)
	v_and_b32_e32 v26, 0xffff, v8
	s_wait_alu 0xfffd
	v_dual_mov_b32 v8, v16 :: v_dual_cndmask_b32 v29, 0x7f800000, v20
	v_cmp_nlt_f32_e32 vcc_lo, 0x42b17218, v31
	v_mul_u32_u24_e32 v26, 0x10001, v26
	s_wait_alu 0xfffd
	v_cndmask_b32_e32 v18, 0x7f800000, v21, vcc_lo
	v_cmp_nlt_f32_e32 vcc_lo, 0x42b17218, v54
	s_delay_alu instid0(VALU_DEP_3)
	v_pk_mul_f16 v51, v51, v26
	v_pk_mul_f16 v52, v52, v26
	s_wait_alu 0xfffd
	v_cndmask_b32_e32 v30, 0x7f800000, v22, vcc_lo
	v_cmp_nlt_f32_e32 vcc_lo, 0x42b17218, v32
	s_wait_alu 0xfffd
	v_cndmask_b32_e32 v19, 0x7f800000, v23, vcc_lo
	v_cmp_nlt_f32_e32 vcc_lo, 0x42b17218, v55
	s_delay_alu instid0(VALU_DEP_2)
	v_fmac_f32_e32 v19, v11, v30
	s_wait_alu 0xfffd
	v_cndmask_b32_e32 v31, 0x7f800000, v59, vcc_lo
	v_cmp_nlt_f32_e32 vcc_lo, 0x42b17218, v33
	v_cvt_f16_f32_e32 v11, v30
	s_wait_alu 0xfffd
	v_cndmask_b32_e32 v20, 0x7f800000, v60, vcc_lo
	v_cmp_nlt_f32_e32 vcc_lo, 0x42b17218, v56
	s_delay_alu instid0(VALU_DEP_3) | instskip(NEXT) | instid1(VALU_DEP_3)
	v_dual_mov_b32 v11, v19 :: v_dual_and_b32 v30, 0xffff, v11
	v_fmac_f32_e32 v20, v12, v31
	s_wait_alu 0xfffd
	v_cndmask_b32_e32 v32, 0x7f800000, v61, vcc_lo
	v_cmp_nlt_f32_e32 vcc_lo, 0x42b17218, v34
	v_cvt_f16_f32_e32 v12, v31
	v_mul_u32_u24_e32 v30, 0x10001, v30
	s_wait_alu 0xfffd
	v_cndmask_b32_e32 v21, 0x7f800000, v62, vcc_lo
	v_cmp_nlt_f32_e32 vcc_lo, 0x42b17218, v57
	v_dual_mov_b32 v12, v20 :: v_dual_and_b32 v31, 0xffff, v12
	v_pk_mul_f16 v45, v45, v30
	s_delay_alu instid0(VALU_DEP_4) | instskip(SKIP_1) | instid1(VALU_DEP_4)
	v_fmac_f32_e32 v21, v13, v32
	v_cvt_f16_f32_e32 v13, v32
	v_mul_u32_u24_e32 v31, 0x10001, v31
	v_pk_mul_f16 v46, v46, v30
	s_delay_alu instid0(VALU_DEP_3)
	v_and_b32_e32 v32, 0xffff, v13
	s_wait_alu 0xfffd
	v_cndmask_b32_e32 v33, 0x7f800000, v63, vcc_lo
	v_cmp_nlt_f32_e32 vcc_lo, 0x42b17218, v35
	v_mov_b32_e32 v13, v21
	v_pk_mul_f16 v43, v43, v31
	v_mul_u32_u24_e32 v32, 0x10001, v32
	v_pk_mul_f16 v44, v44, v31
	s_wait_alu 0xfffd
	v_cndmask_b32_e32 v22, 0x7f800000, v64, vcc_lo
	v_cmp_nlt_f32_e32 vcc_lo, 0x42b17218, v58
	v_pk_mul_f16 v41, v41, v32
	v_pk_mul_f16 v42, v42, v32
	s_delay_alu instid0(VALU_DEP_4) | instskip(SKIP_1) | instid1(VALU_DEP_1)
	v_fmac_f32_e32 v22, v14, v33
	v_cvt_f16_f32_e32 v14, v33
	v_dual_mov_b32 v14, v22 :: v_dual_and_b32 v33, 0xffff, v14
	v_fmac_f32_e32 v18, v10, v29
	v_cvt_f16_f32_e32 v10, v29
	s_delay_alu instid0(VALU_DEP_3) | instskip(NEXT) | instid1(VALU_DEP_2)
	v_mul_u32_u24_e32 v33, 0x10001, v33
	v_dual_mov_b32 v10, v18 :: v_dual_and_b32 v29, 0xffff, v10
	s_wait_alu 0xfffd
	v_dual_cndmask_b32 v34, 0x7f800000, v65 :: v_dual_fmac_f32 v17, v9, v27
	v_cmp_nlt_f32_e32 vcc_lo, 0x42b17218, v36
	v_cvt_f16_f32_e32 v9, v27
	v_mul_u32_u24_e32 v29, 0x10001, v29
	v_pk_mul_f16 v39, v39, v33
	v_pk_mul_f16 v40, v40, v33
	s_wait_alu 0xfffd
	v_cndmask_b32_e32 v23, 0x7f800000, v66, vcc_lo
	v_and_b32_e32 v27, 0xffff, v9
	v_mov_b32_e32 v9, v17
	v_pk_mul_f16 v48, v48, v29
	v_pk_mul_f16 v47, v47, v29
	v_fmac_f32_e32 v23, v15, v34
	v_cvt_f16_f32_e32 v15, v34
	v_mul_u32_u24_e32 v27, 0x10001, v27
	s_delay_alu instid0(VALU_DEP_2) | instskip(NEXT) | instid1(VALU_DEP_2)
	v_and_b32_e32 v15, 0xffff, v15
	v_pk_mul_f16 v49, v49, v27
	v_pk_mul_f16 v50, v50, v27
	s_delay_alu instid0(VALU_DEP_3) | instskip(NEXT) | instid1(VALU_DEP_1)
	v_mul_u32_u24_e32 v15, 0x10001, v15
	v_pk_mul_f16 v38, v38, v15
	v_pk_mul_f16 v37, v37, v15
	v_mov_b32_e32 v15, v23
	s_mov_b32 s3, exec_lo
	v_cmpx_gt_i32_e64 s22, v24
	s_cbranch_execnz .LBB71_80
.LBB71_78:
	s_nop 0
	s_sendmsg sendmsg(MSG_DEALLOC_VGPRS)
	s_endpgm
.LBB71_79:
	s_delay_alu instid0(VALU_DEP_1)
	v_dual_mov_b32 v23, v15 :: v_dual_mov_b32 v22, v14
	v_dual_mov_b32 v21, v13 :: v_dual_mov_b32 v20, v12
	;; [unrolled: 1-line block ×4, first 2 shown]
	s_mov_b32 s3, exec_lo
	v_cmpx_gt_i32_e64 s22, v24
	s_cbranch_execz .LBB71_78
.LBB71_80:
	s_load_b32 s1, s[0:1], 0xd4
	v_mov_b32_e32 v29, 1.0
	s_wait_kmcnt 0x0
	s_cmp_lg_u32 s1, 1
	s_cselect_b32 s5, -1, 0
	s_cmp_eq_u32 s1, 1
	s_cselect_b32 s3, -1, 0
	s_wait_alu 0xfffe
	s_and_b32 vcc_lo, exec_lo, s5
	s_wait_alu 0xfffe
	s_cbranch_vccnz .LBB71_82
; %bb.81:
	v_div_scale_f32 v26, null, v8, v8, 1.0
	s_delay_alu instid0(VALU_DEP_1) | instskip(NEXT) | instid1(TRANS32_DEP_1)
	v_rcp_f32_e32 v27, v26
	v_fma_f32 v29, -v26, v27, 1.0
	s_delay_alu instid0(VALU_DEP_1) | instskip(SKIP_1) | instid1(VALU_DEP_1)
	v_fmac_f32_e32 v27, v29, v27
	v_div_scale_f32 v29, vcc_lo, 1.0, v8, 1.0
	v_mul_f32_e32 v30, v29, v27
	s_delay_alu instid0(VALU_DEP_1) | instskip(NEXT) | instid1(VALU_DEP_1)
	v_fma_f32 v31, -v26, v30, v29
	v_fmac_f32_e32 v30, v31, v27
	s_delay_alu instid0(VALU_DEP_1) | instskip(SKIP_1) | instid1(VALU_DEP_1)
	v_fma_f32 v26, -v26, v30, v29
	s_wait_alu 0xfffd
	v_div_fmas_f32 v26, v26, v27, v30
	s_delay_alu instid0(VALU_DEP_1)
	v_div_fixup_f32 v29, v26, v8, 1.0
.LBB71_82:
	v_mad_co_u64_u32 v[26:27], null, s2, s22, v[24:25]
	v_cmp_eq_u32_e32 vcc_lo, 0, v25
	v_cvt_f32_f16_e32 v30, v51
	v_mov_b32_e32 v25, 0
	v_lshrrev_b32_e32 v8, 16, v51
	v_cvt_f32_f16_e32 v31, v52
	s_delay_alu instid0(VALU_DEP_4) | instskip(SKIP_1) | instid1(VALU_DEP_4)
	v_mul_f32_e32 v30, v29, v30
	v_mad_co_u64_u32 v[26:27], null, v26, s23, s[28:29]
	v_cvt_f32_f16_e32 v8, v8
	s_delay_alu instid0(VALU_DEP_4) | instskip(NEXT) | instid1(VALU_DEP_2)
	v_mul_f32_e32 v32, v29, v31
	v_mul_f32_e32 v31, v29, v8
	s_delay_alu instid0(VALU_DEP_4) | instskip(SKIP_1) | instid1(VALU_DEP_1)
	v_mad_co_u64_u32 v[26:27], null, s1, v26, s[4:5]
	v_lshrrev_b32_e32 v27, 16, v52
	v_cvt_f32_f16_e32 v27, v27
	s_delay_alu instid0(VALU_DEP_3) | instskip(NEXT) | instid1(VALU_DEP_2)
	v_lshl_add_u32 v24, v26, 7, v28
	v_mul_f32_e32 v33, v29, v27
	s_delay_alu instid0(VALU_DEP_2) | instskip(NEXT) | instid1(VALU_DEP_1)
	v_lshlrev_b64_e32 v[24:25], 2, v[24:25]
	v_add_co_u32 v24, s0, s16, v24
	s_wait_alu 0xf1ff
	s_delay_alu instid0(VALU_DEP_2)
	v_add_co_ci_u32_e64 v25, null, s17, v25, s0
	s_and_b32 s0, vcc_lo, s5
	global_store_b128 v[24:25], v[30:33], off
	s_wait_alu 0xfffe
	s_and_saveexec_b32 s2, s0
	s_cbranch_execz .LBB71_84
; %bb.83:
	v_ashrrev_i32_e32 v27, 31, v26
	v_dual_mov_b32 v29, v0 :: v_dual_mov_b32 v30, v16
	s_delay_alu instid0(VALU_DEP_2) | instskip(NEXT) | instid1(VALU_DEP_1)
	v_lshlrev_b64_e32 v[24:25], 3, v[26:27]
	v_add_co_u32 v24, vcc_lo, s18, v24
	s_wait_alu 0xfffd
	s_delay_alu instid0(VALU_DEP_2)
	v_add_co_ci_u32_e64 v25, null, s19, v25, vcc_lo
	global_store_b64 v[24:25], v[29:30], off
.LBB71_84:
	s_wait_alu 0xfffe
	s_or_b32 exec_lo, exec_lo, s2
	v_cndmask_b32_e64 v24, 0, 1, s3
	v_mov_b32_e32 v0, 1.0
	s_and_not1_b32 vcc_lo, exec_lo, s3
	s_wait_alu 0xfffe
	s_cbranch_vccnz .LBB71_86
; %bb.85:
	v_div_scale_f32 v0, null, v9, v9, 1.0
	s_delay_alu instid0(VALU_DEP_1) | instskip(NEXT) | instid1(TRANS32_DEP_1)
	v_rcp_f32_e32 v8, v0
	v_fma_f32 v16, -v0, v8, 1.0
	s_delay_alu instid0(VALU_DEP_1) | instskip(SKIP_1) | instid1(VALU_DEP_1)
	v_fmac_f32_e32 v8, v16, v8
	v_div_scale_f32 v16, vcc_lo, 1.0, v9, 1.0
	v_mul_f32_e32 v25, v16, v8
	s_delay_alu instid0(VALU_DEP_1) | instskip(NEXT) | instid1(VALU_DEP_1)
	v_fma_f32 v27, -v0, v25, v16
	v_fmac_f32_e32 v25, v27, v8
	s_delay_alu instid0(VALU_DEP_1) | instskip(SKIP_1) | instid1(VALU_DEP_1)
	v_fma_f32 v0, -v0, v25, v16
	s_wait_alu 0xfffd
	v_div_fmas_f32 v0, v0, v8, v25
	s_delay_alu instid0(VALU_DEP_1)
	v_div_fixup_f32 v0, v0, v9, 1.0
.LBB71_86:
	v_cvt_f32_f16_e32 v27, v49
	v_add_nc_u32_e32 v8, s1, v26
	v_cvt_f32_f16_e32 v30, v50
	v_mov_b32_e32 v26, 0
	v_lshrrev_b32_e32 v9, 16, v49
	v_mul_f32_e32 v29, v0, v27
	v_lshl_add_u32 v25, v8, 7, v28
	v_lshrrev_b32_e32 v16, 16, v50
	v_mul_f32_e32 v31, v0, v30
	v_cvt_f32_f16_e32 v9, v9
	s_delay_alu instid0(VALU_DEP_4) | instskip(NEXT) | instid1(VALU_DEP_4)
	v_lshlrev_b64_e32 v[25:26], 2, v[25:26]
	v_cvt_f32_f16_e32 v16, v16
	s_delay_alu instid0(VALU_DEP_3) | instskip(NEXT) | instid1(VALU_DEP_2)
	v_mul_f32_e32 v30, v0, v9
	v_mul_f32_e32 v32, v0, v16
	s_delay_alu instid0(VALU_DEP_4)
	v_add_co_u32 v25, vcc_lo, s16, v25
	s_wait_alu 0xfffd
	v_add_co_ci_u32_e64 v26, null, s17, v26, vcc_lo
	global_store_b128 v[25:26], v[29:32], off
	s_and_saveexec_b32 s2, s0
	s_cbranch_execz .LBB71_88
; %bb.87:
	v_ashrrev_i32_e32 v9, 31, v8
	v_mov_b32_e32 v16, v1
	s_delay_alu instid0(VALU_DEP_2) | instskip(NEXT) | instid1(VALU_DEP_1)
	v_lshlrev_b64_e32 v[25:26], 3, v[8:9]
	v_add_co_u32 v25, vcc_lo, s18, v25
	s_wait_alu 0xfffd
	s_delay_alu instid0(VALU_DEP_2)
	v_add_co_ci_u32_e64 v26, null, s19, v26, vcc_lo
	global_store_b64 v[25:26], v[16:17], off
.LBB71_88:
	s_wait_alu 0xfffe
	s_or_b32 exec_lo, exec_lo, s2
	v_cmp_ne_u32_e32 vcc_lo, 1, v24
	v_mov_b32_e32 v1, 1.0
	s_cbranch_vccnz .LBB71_90
; %bb.89:
	v_div_scale_f32 v0, null, v10, v10, 1.0
	s_delay_alu instid0(VALU_DEP_1) | instskip(NEXT) | instid1(TRANS32_DEP_1)
	v_rcp_f32_e32 v1, v0
	v_fma_f32 v9, -v0, v1, 1.0
	s_delay_alu instid0(VALU_DEP_1) | instskip(SKIP_1) | instid1(VALU_DEP_1)
	v_fmac_f32_e32 v1, v9, v1
	v_div_scale_f32 v9, vcc_lo, 1.0, v10, 1.0
	v_mul_f32_e32 v16, v9, v1
	s_delay_alu instid0(VALU_DEP_1) | instskip(NEXT) | instid1(VALU_DEP_1)
	v_fma_f32 v17, -v0, v16, v9
	v_fmac_f32_e32 v16, v17, v1
	s_delay_alu instid0(VALU_DEP_1) | instskip(SKIP_1) | instid1(VALU_DEP_1)
	v_fma_f32 v0, -v0, v16, v9
	s_wait_alu 0xfffd
	v_div_fmas_f32 v0, v0, v1, v16
	s_delay_alu instid0(VALU_DEP_1)
	v_div_fixup_f32 v1, v0, v10, 1.0
.LBB71_90:
	v_dual_mov_b32 v9, 0 :: v_dual_add_nc_u32 v0, s1, v8
	v_lshrrev_b32_e32 v10, 16, v48
	v_lshrrev_b32_e32 v16, 16, v47
	v_cvt_f32_f16_e32 v17, v48
	s_delay_alu instid0(VALU_DEP_4)
	v_lshl_add_u32 v8, v0, 7, v28
	v_cvt_f32_f16_e32 v25, v47
	v_cvt_f32_f16_e32 v10, v10
	;; [unrolled: 1-line block ×3, first 2 shown]
	v_mul_f32_e32 v29, v1, v17
	v_lshlrev_b64_e32 v[8:9], 2, v[8:9]
	v_mul_f32_e32 v31, v1, v25
	v_mul_f32_e32 v30, v1, v10
	;; [unrolled: 1-line block ×3, first 2 shown]
	s_delay_alu instid0(VALU_DEP_4)
	v_add_co_u32 v8, vcc_lo, s16, v8
	s_wait_alu 0xfffd
	v_add_co_ci_u32_e64 v9, null, s17, v9, vcc_lo
	global_store_b128 v[8:9], v[29:32], off
	s_and_saveexec_b32 s2, s0
	s_cbranch_execz .LBB71_92
; %bb.91:
	v_ashrrev_i32_e32 v1, 31, v0
	v_mov_b32_e32 v17, v2
	s_delay_alu instid0(VALU_DEP_2) | instskip(NEXT) | instid1(VALU_DEP_1)
	v_lshlrev_b64_e32 v[8:9], 3, v[0:1]
	v_add_co_u32 v8, vcc_lo, s18, v8
	s_wait_alu 0xfffd
	s_delay_alu instid0(VALU_DEP_2)
	v_add_co_ci_u32_e64 v9, null, s19, v9, vcc_lo
	global_store_b64 v[8:9], v[17:18], off
.LBB71_92:
	s_wait_alu 0xfffe
	s_or_b32 exec_lo, exec_lo, s2
	v_cmp_ne_u32_e32 vcc_lo, 1, v24
	v_mov_b32_e32 v1, 1.0
	s_cbranch_vccnz .LBB71_94
; %bb.93:
	v_div_scale_f32 v1, null, v11, v11, 1.0
	s_delay_alu instid0(VALU_DEP_1) | instskip(NEXT) | instid1(TRANS32_DEP_1)
	v_rcp_f32_e32 v2, v1
	v_fma_f32 v8, -v1, v2, 1.0
	s_delay_alu instid0(VALU_DEP_1) | instskip(SKIP_1) | instid1(VALU_DEP_1)
	v_fmac_f32_e32 v2, v8, v2
	v_div_scale_f32 v8, vcc_lo, 1.0, v11, 1.0
	v_mul_f32_e32 v9, v8, v2
	s_delay_alu instid0(VALU_DEP_1) | instskip(NEXT) | instid1(VALU_DEP_1)
	v_fma_f32 v10, -v1, v9, v8
	v_fmac_f32_e32 v9, v10, v2
	s_delay_alu instid0(VALU_DEP_1) | instskip(SKIP_1) | instid1(VALU_DEP_1)
	v_fma_f32 v1, -v1, v9, v8
	s_wait_alu 0xfffd
	v_div_fmas_f32 v1, v1, v2, v9
	s_delay_alu instid0(VALU_DEP_1)
	v_div_fixup_f32 v1, v1, v11, 1.0
.LBB71_94:
	v_dual_mov_b32 v9, 0 :: v_dual_add_nc_u32 v0, s1, v0
	v_lshrrev_b32_e32 v2, 16, v45
	v_lshrrev_b32_e32 v10, 16, v46
	v_cvt_f32_f16_e32 v11, v45
	s_delay_alu instid0(VALU_DEP_4) | instskip(SKIP_3) | instid1(VALU_DEP_4)
	v_lshl_add_u32 v8, v0, 7, v28
	v_cvt_f32_f16_e32 v18, v46
	v_cvt_f32_f16_e32 v2, v2
	;; [unrolled: 1-line block ×3, first 2 shown]
	v_lshlrev_b64_e32 v[16:17], 2, v[8:9]
	v_mul_f32_e32 v8, v1, v11
	v_mul_f32_e32 v10, v1, v18
	;; [unrolled: 1-line block ×4, first 2 shown]
	v_add_co_u32 v1, vcc_lo, s16, v16
	s_wait_alu 0xfffd
	v_add_co_ci_u32_e64 v2, null, s17, v17, vcc_lo
	global_store_b128 v[1:2], v[8:11], off
	s_and_saveexec_b32 s2, s0
	s_cbranch_execz .LBB71_96
; %bb.95:
	v_ashrrev_i32_e32 v1, 31, v0
	v_mov_b32_e32 v18, v3
	s_delay_alu instid0(VALU_DEP_2) | instskip(NEXT) | instid1(VALU_DEP_1)
	v_lshlrev_b64_e32 v[1:2], 3, v[0:1]
	v_add_co_u32 v1, vcc_lo, s18, v1
	s_wait_alu 0xfffd
	s_delay_alu instid0(VALU_DEP_2)
	v_add_co_ci_u32_e64 v2, null, s19, v2, vcc_lo
	global_store_b64 v[1:2], v[18:19], off
.LBB71_96:
	s_wait_alu 0xfffe
	s_or_b32 exec_lo, exec_lo, s2
	v_cmp_ne_u32_e32 vcc_lo, 1, v24
	v_mov_b32_e32 v1, 1.0
	s_cbranch_vccnz .LBB71_98
; %bb.97:
	v_div_scale_f32 v1, null, v12, v12, 1.0
	s_delay_alu instid0(VALU_DEP_1) | instskip(NEXT) | instid1(TRANS32_DEP_1)
	v_rcp_f32_e32 v2, v1
	v_fma_f32 v3, -v1, v2, 1.0
	s_delay_alu instid0(VALU_DEP_1) | instskip(SKIP_1) | instid1(VALU_DEP_1)
	v_fmac_f32_e32 v2, v3, v2
	v_div_scale_f32 v3, vcc_lo, 1.0, v12, 1.0
	v_mul_f32_e32 v8, v3, v2
	s_delay_alu instid0(VALU_DEP_1) | instskip(NEXT) | instid1(VALU_DEP_1)
	v_fma_f32 v9, -v1, v8, v3
	v_fmac_f32_e32 v8, v9, v2
	s_delay_alu instid0(VALU_DEP_1) | instskip(SKIP_1) | instid1(VALU_DEP_1)
	v_fma_f32 v1, -v1, v8, v3
	s_wait_alu 0xfffd
	v_div_fmas_f32 v1, v1, v2, v8
	s_delay_alu instid0(VALU_DEP_1)
	v_div_fixup_f32 v1, v1, v12, 1.0
.LBB71_98:
	v_dual_mov_b32 v3, 0 :: v_dual_add_nc_u32 v0, s1, v0
	v_lshrrev_b32_e32 v8, 16, v43
	v_lshrrev_b32_e32 v9, 16, v44
	v_cvt_f32_f16_e32 v10, v43
	s_delay_alu instid0(VALU_DEP_4)
	v_lshl_add_u32 v2, v0, 7, v28
	v_cvt_f32_f16_e32 v11, v44
	v_cvt_f32_f16_e32 v12, v8
	;; [unrolled: 1-line block ×3, first 2 shown]
	v_mul_f32_e32 v8, v1, v10
	v_lshlrev_b64_e32 v[2:3], 2, v[2:3]
	v_mul_f32_e32 v10, v1, v11
	v_mul_f32_e32 v9, v1, v12
	;; [unrolled: 1-line block ×3, first 2 shown]
	s_delay_alu instid0(VALU_DEP_4)
	v_add_co_u32 v1, vcc_lo, s16, v2
	s_wait_alu 0xfffd
	v_add_co_ci_u32_e64 v2, null, s17, v3, vcc_lo
	global_store_b128 v[1:2], v[8:11], off
	s_and_saveexec_b32 s2, s0
	s_cbranch_execz .LBB71_100
; %bb.99:
	v_ashrrev_i32_e32 v1, 31, v0
	v_mov_b32_e32 v19, v4
	s_delay_alu instid0(VALU_DEP_2) | instskip(NEXT) | instid1(VALU_DEP_1)
	v_lshlrev_b64_e32 v[1:2], 3, v[0:1]
	v_add_co_u32 v1, vcc_lo, s18, v1
	s_wait_alu 0xfffd
	s_delay_alu instid0(VALU_DEP_2)
	v_add_co_ci_u32_e64 v2, null, s19, v2, vcc_lo
	global_store_b64 v[1:2], v[19:20], off
.LBB71_100:
	s_wait_alu 0xfffe
	s_or_b32 exec_lo, exec_lo, s2
	v_cmp_ne_u32_e32 vcc_lo, 1, v24
	v_mov_b32_e32 v1, 1.0
	s_cbranch_vccnz .LBB71_102
; %bb.101:
	v_div_scale_f32 v1, null, v13, v13, 1.0
	s_delay_alu instid0(VALU_DEP_1) | instskip(NEXT) | instid1(TRANS32_DEP_1)
	v_rcp_f32_e32 v2, v1
	v_fma_f32 v3, -v1, v2, 1.0
	s_delay_alu instid0(VALU_DEP_1) | instskip(SKIP_1) | instid1(VALU_DEP_1)
	v_fmac_f32_e32 v2, v3, v2
	v_div_scale_f32 v3, vcc_lo, 1.0, v13, 1.0
	v_mul_f32_e32 v4, v3, v2
	s_delay_alu instid0(VALU_DEP_1) | instskip(NEXT) | instid1(VALU_DEP_1)
	v_fma_f32 v8, -v1, v4, v3
	v_fmac_f32_e32 v4, v8, v2
	s_delay_alu instid0(VALU_DEP_1) | instskip(SKIP_1) | instid1(VALU_DEP_1)
	v_fma_f32 v1, -v1, v4, v3
	s_wait_alu 0xfffd
	v_div_fmas_f32 v1, v1, v2, v4
	s_delay_alu instid0(VALU_DEP_1)
	v_div_fixup_f32 v1, v1, v13, 1.0
.LBB71_102:
	v_dual_mov_b32 v3, 0 :: v_dual_add_nc_u32 v0, s1, v0
	v_lshrrev_b32_e32 v4, 16, v41
	v_lshrrev_b32_e32 v8, 16, v42
	v_cvt_f32_f16_e32 v9, v41
	s_delay_alu instid0(VALU_DEP_4)
	v_lshl_add_u32 v2, v0, 7, v28
	v_cvt_f32_f16_e32 v10, v42
	v_cvt_f32_f16_e32 v4, v4
	;; [unrolled: 1-line block ×3, first 2 shown]
	v_mul_f32_e32 v8, v1, v9
	v_lshlrev_b64_e32 v[2:3], 2, v[2:3]
	v_mul_f32_e32 v10, v1, v10
	v_mul_f32_e32 v9, v1, v4
	;; [unrolled: 1-line block ×3, first 2 shown]
	s_delay_alu instid0(VALU_DEP_4)
	v_add_co_u32 v1, vcc_lo, s16, v2
	s_wait_alu 0xfffd
	v_add_co_ci_u32_e64 v2, null, s17, v3, vcc_lo
	global_store_b128 v[1:2], v[8:11], off
	s_and_saveexec_b32 s2, s0
	s_cbranch_execz .LBB71_104
; %bb.103:
	v_ashrrev_i32_e32 v1, 31, v0
	v_mov_b32_e32 v20, v5
	s_delay_alu instid0(VALU_DEP_2) | instskip(NEXT) | instid1(VALU_DEP_1)
	v_lshlrev_b64_e32 v[1:2], 3, v[0:1]
	v_add_co_u32 v1, vcc_lo, s18, v1
	s_wait_alu 0xfffd
	s_delay_alu instid0(VALU_DEP_2)
	v_add_co_ci_u32_e64 v2, null, s19, v2, vcc_lo
	global_store_b64 v[1:2], v[20:21], off
.LBB71_104:
	s_wait_alu 0xfffe
	s_or_b32 exec_lo, exec_lo, s2
	v_cmp_ne_u32_e32 vcc_lo, 1, v24
	v_mov_b32_e32 v1, 1.0
	s_cbranch_vccnz .LBB71_106
; %bb.105:
	v_div_scale_f32 v1, null, v14, v14, 1.0
	s_delay_alu instid0(VALU_DEP_1) | instskip(NEXT) | instid1(TRANS32_DEP_1)
	v_rcp_f32_e32 v2, v1
	v_fma_f32 v3, -v1, v2, 1.0
	s_delay_alu instid0(VALU_DEP_1) | instskip(SKIP_1) | instid1(VALU_DEP_1)
	v_fmac_f32_e32 v2, v3, v2
	v_div_scale_f32 v3, vcc_lo, 1.0, v14, 1.0
	v_mul_f32_e32 v4, v3, v2
	s_delay_alu instid0(VALU_DEP_1) | instskip(NEXT) | instid1(VALU_DEP_1)
	v_fma_f32 v5, -v1, v4, v3
	v_fmac_f32_e32 v4, v5, v2
	s_delay_alu instid0(VALU_DEP_1) | instskip(SKIP_1) | instid1(VALU_DEP_1)
	v_fma_f32 v1, -v1, v4, v3
	s_wait_alu 0xfffd
	v_div_fmas_f32 v1, v1, v2, v4
	s_delay_alu instid0(VALU_DEP_1)
	v_div_fixup_f32 v1, v1, v14, 1.0
.LBB71_106:
	v_dual_mov_b32 v3, 0 :: v_dual_add_nc_u32 v0, s1, v0
	v_lshrrev_b32_e32 v4, 16, v39
	v_lshrrev_b32_e32 v5, 16, v40
	v_cvt_f32_f16_e32 v10, v39
	s_delay_alu instid0(VALU_DEP_4) | instskip(SKIP_3) | instid1(VALU_DEP_4)
	v_lshl_add_u32 v2, v0, 7, v28
	v_cvt_f32_f16_e32 v11, v40
	v_cvt_f32_f16_e32 v12, v4
	;; [unrolled: 1-line block ×3, first 2 shown]
	v_lshlrev_b64_e32 v[8:9], 2, v[2:3]
	v_mul_f32_e32 v2, v1, v10
	v_mul_f32_e32 v4, v1, v11
	;; [unrolled: 1-line block ×4, first 2 shown]
	v_add_co_u32 v8, vcc_lo, s16, v8
	s_wait_alu 0xfffd
	v_add_co_ci_u32_e64 v9, null, s17, v9, vcc_lo
	global_store_b128 v[8:9], v[2:5], off
	s_and_saveexec_b32 s2, s0
	s_cbranch_execz .LBB71_108
; %bb.107:
	v_ashrrev_i32_e32 v1, 31, v0
	v_mov_b32_e32 v21, v6
	s_delay_alu instid0(VALU_DEP_2) | instskip(NEXT) | instid1(VALU_DEP_1)
	v_lshlrev_b64_e32 v[1:2], 3, v[0:1]
	v_add_co_u32 v1, vcc_lo, s18, v1
	s_wait_alu 0xfffd
	s_delay_alu instid0(VALU_DEP_2)
	v_add_co_ci_u32_e64 v2, null, s19, v2, vcc_lo
	global_store_b64 v[1:2], v[21:22], off
.LBB71_108:
	s_wait_alu 0xfffe
	s_or_b32 exec_lo, exec_lo, s2
	v_cmp_ne_u32_e32 vcc_lo, 1, v24
	v_mov_b32_e32 v1, 1.0
	s_cbranch_vccnz .LBB71_110
; %bb.109:
	v_div_scale_f32 v1, null, v15, v15, 1.0
	s_delay_alu instid0(VALU_DEP_1) | instskip(NEXT) | instid1(TRANS32_DEP_1)
	v_rcp_f32_e32 v2, v1
	v_fma_f32 v3, -v1, v2, 1.0
	s_delay_alu instid0(VALU_DEP_1) | instskip(SKIP_1) | instid1(VALU_DEP_1)
	v_fmac_f32_e32 v2, v3, v2
	v_div_scale_f32 v3, vcc_lo, 1.0, v15, 1.0
	v_mul_f32_e32 v4, v3, v2
	s_delay_alu instid0(VALU_DEP_1) | instskip(NEXT) | instid1(VALU_DEP_1)
	v_fma_f32 v5, -v1, v4, v3
	v_fmac_f32_e32 v4, v5, v2
	s_delay_alu instid0(VALU_DEP_1) | instskip(SKIP_1) | instid1(VALU_DEP_1)
	v_fma_f32 v1, -v1, v4, v3
	s_wait_alu 0xfffd
	v_div_fmas_f32 v1, v1, v2, v4
	s_delay_alu instid0(VALU_DEP_1)
	v_div_fixup_f32 v1, v1, v15, 1.0
.LBB71_110:
	v_dual_mov_b32 v3, 0 :: v_dual_add_nc_u32 v0, s1, v0
	v_lshrrev_b32_e32 v4, 16, v38
	v_lshrrev_b32_e32 v5, 16, v37
	v_cvt_f32_f16_e32 v6, v38
	s_delay_alu instid0(VALU_DEP_4) | instskip(SKIP_3) | instid1(VALU_DEP_4)
	v_lshl_add_u32 v2, v0, 7, v28
	v_cvt_f32_f16_e32 v10, v37
	v_cvt_f32_f16_e32 v11, v4
	;; [unrolled: 1-line block ×3, first 2 shown]
	v_lshlrev_b64_e32 v[8:9], 2, v[2:3]
	v_mul_f32_e32 v2, v1, v6
	v_mul_f32_e32 v4, v1, v10
	;; [unrolled: 1-line block ×4, first 2 shown]
	v_add_co_u32 v8, vcc_lo, s16, v8
	s_wait_alu 0xfffd
	v_add_co_ci_u32_e64 v9, null, s17, v9, vcc_lo
	global_store_b128 v[8:9], v[2:5], off
	s_and_b32 exec_lo, exec_lo, s0
	s_cbranch_execz .LBB71_78
; %bb.111:
	v_ashrrev_i32_e32 v1, 31, v0
	v_mov_b32_e32 v22, v7
	s_delay_alu instid0(VALU_DEP_2) | instskip(NEXT) | instid1(VALU_DEP_1)
	v_lshlrev_b64_e32 v[0:1], 3, v[0:1]
	v_add_co_u32 v0, vcc_lo, s18, v0
	s_wait_alu 0xfffd
	s_delay_alu instid0(VALU_DEP_2)
	v_add_co_ci_u32_e64 v1, null, s19, v1, vcc_lo
	global_store_b64 v[0:1], v[22:23], off
	s_nop 0
	s_sendmsg sendmsg(MSG_DEALLOC_VGPRS)
	s_endpgm
	.section	.rodata,"a",@progbits
	.p2align	6, 0x0
	.amdhsa_kernel _ZL15flash_attn_tileILi128ELi128ELi8ELi8ELb1EEvPKcS1_S1_S1_S1_PKiPfP15HIP_vector_typeIfLj2EEffffjfiS5_IjLj3EEiiiiiiiiiiiliiliiiiil
		.amdhsa_group_segment_fixed_size 33792
		.amdhsa_private_segment_fixed_size 0
		.amdhsa_kernarg_size 464
		.amdhsa_user_sgpr_count 2
		.amdhsa_user_sgpr_dispatch_ptr 0
		.amdhsa_user_sgpr_queue_ptr 0
		.amdhsa_user_sgpr_kernarg_segment_ptr 1
		.amdhsa_user_sgpr_dispatch_id 0
		.amdhsa_user_sgpr_private_segment_size 0
		.amdhsa_wavefront_size32 1
		.amdhsa_uses_dynamic_stack 0
		.amdhsa_enable_private_segment 0
		.amdhsa_system_sgpr_workgroup_id_x 1
		.amdhsa_system_sgpr_workgroup_id_y 1
		.amdhsa_system_sgpr_workgroup_id_z 1
		.amdhsa_system_sgpr_workgroup_info 0
		.amdhsa_system_vgpr_workitem_id 1
		.amdhsa_next_free_vgpr 217
		.amdhsa_next_free_sgpr 42
		.amdhsa_reserve_vcc 1
		.amdhsa_float_round_mode_32 0
		.amdhsa_float_round_mode_16_64 0
		.amdhsa_float_denorm_mode_32 3
		.amdhsa_float_denorm_mode_16_64 3
		.amdhsa_fp16_overflow 0
		.amdhsa_workgroup_processor_mode 1
		.amdhsa_memory_ordered 1
		.amdhsa_forward_progress 1
		.amdhsa_inst_pref_size 255
		.amdhsa_round_robin_scheduling 0
		.amdhsa_exception_fp_ieee_invalid_op 0
		.amdhsa_exception_fp_denorm_src 0
		.amdhsa_exception_fp_ieee_div_zero 0
		.amdhsa_exception_fp_ieee_overflow 0
		.amdhsa_exception_fp_ieee_underflow 0
		.amdhsa_exception_fp_ieee_inexact 0
		.amdhsa_exception_int_div_zero 0
	.end_amdhsa_kernel
	.section	.text._ZL15flash_attn_tileILi128ELi128ELi8ELi8ELb1EEvPKcS1_S1_S1_S1_PKiPfP15HIP_vector_typeIfLj2EEffffjfiS5_IjLj3EEiiiiiiiiiiiliiliiiiil,"axG",@progbits,_ZL15flash_attn_tileILi128ELi128ELi8ELi8ELb1EEvPKcS1_S1_S1_S1_PKiPfP15HIP_vector_typeIfLj2EEffffjfiS5_IjLj3EEiiiiiiiiiiiliiliiiiil,comdat
.Lfunc_end71:
	.size	_ZL15flash_attn_tileILi128ELi128ELi8ELi8ELb1EEvPKcS1_S1_S1_S1_PKiPfP15HIP_vector_typeIfLj2EEffffjfiS5_IjLj3EEiiiiiiiiiiiliiliiiiil, .Lfunc_end71-_ZL15flash_attn_tileILi128ELi128ELi8ELi8ELb1EEvPKcS1_S1_S1_S1_PKiPfP15HIP_vector_typeIfLj2EEffffjfiS5_IjLj3EEiiiiiiiiiiiliiliiiiil
                                        ; -- End function
	.set _ZL15flash_attn_tileILi128ELi128ELi8ELi8ELb1EEvPKcS1_S1_S1_S1_PKiPfP15HIP_vector_typeIfLj2EEffffjfiS5_IjLj3EEiiiiiiiiiiiliiliiiiil.num_vgpr, 145
	.set _ZL15flash_attn_tileILi128ELi128ELi8ELi8ELb1EEvPKcS1_S1_S1_S1_PKiPfP15HIP_vector_typeIfLj2EEffffjfiS5_IjLj3EEiiiiiiiiiiiliiliiiiil.num_agpr, 0
	.set _ZL15flash_attn_tileILi128ELi128ELi8ELi8ELb1EEvPKcS1_S1_S1_S1_PKiPfP15HIP_vector_typeIfLj2EEffffjfiS5_IjLj3EEiiiiiiiiiiiliiliiiiil.numbered_sgpr, 42
	.set _ZL15flash_attn_tileILi128ELi128ELi8ELi8ELb1EEvPKcS1_S1_S1_S1_PKiPfP15HIP_vector_typeIfLj2EEffffjfiS5_IjLj3EEiiiiiiiiiiiliiliiiiil.num_named_barrier, 0
	.set _ZL15flash_attn_tileILi128ELi128ELi8ELi8ELb1EEvPKcS1_S1_S1_S1_PKiPfP15HIP_vector_typeIfLj2EEffffjfiS5_IjLj3EEiiiiiiiiiiiliiliiiiil.private_seg_size, 0
	.set _ZL15flash_attn_tileILi128ELi128ELi8ELi8ELb1EEvPKcS1_S1_S1_S1_PKiPfP15HIP_vector_typeIfLj2EEffffjfiS5_IjLj3EEiiiiiiiiiiiliiliiiiil.uses_vcc, 1
	.set _ZL15flash_attn_tileILi128ELi128ELi8ELi8ELb1EEvPKcS1_S1_S1_S1_PKiPfP15HIP_vector_typeIfLj2EEffffjfiS5_IjLj3EEiiiiiiiiiiiliiliiiiil.uses_flat_scratch, 0
	.set _ZL15flash_attn_tileILi128ELi128ELi8ELi8ELb1EEvPKcS1_S1_S1_S1_PKiPfP15HIP_vector_typeIfLj2EEffffjfiS5_IjLj3EEiiiiiiiiiiiliiliiiiil.has_dyn_sized_stack, 0
	.set _ZL15flash_attn_tileILi128ELi128ELi8ELi8ELb1EEvPKcS1_S1_S1_S1_PKiPfP15HIP_vector_typeIfLj2EEffffjfiS5_IjLj3EEiiiiiiiiiiiliiliiiiil.has_recursion, 0
	.set _ZL15flash_attn_tileILi128ELi128ELi8ELi8ELb1EEvPKcS1_S1_S1_S1_PKiPfP15HIP_vector_typeIfLj2EEffffjfiS5_IjLj3EEiiiiiiiiiiiliiliiiiil.has_indirect_call, 0
	.section	.AMDGPU.csdata,"",@progbits
; Kernel info:
; codeLenInByte = 35760
; TotalNumSgprs: 44
; NumVgprs: 145
; ScratchSize: 0
; MemoryBound: 0
; FloatMode: 240
; IeeeMode: 1
; LDSByteSize: 33792 bytes/workgroup (compile time only)
; SGPRBlocks: 0
; VGPRBlocks: 27
; NumSGPRsForWavesPerEU: 44
; NumVGPRsForWavesPerEU: 217
; Occupancy: 6
; WaveLimiterHint : 1
; COMPUTE_PGM_RSRC2:SCRATCH_EN: 0
; COMPUTE_PGM_RSRC2:USER_SGPR: 2
; COMPUTE_PGM_RSRC2:TRAP_HANDLER: 0
; COMPUTE_PGM_RSRC2:TGID_X_EN: 1
; COMPUTE_PGM_RSRC2:TGID_Y_EN: 1
; COMPUTE_PGM_RSRC2:TGID_Z_EN: 1
; COMPUTE_PGM_RSRC2:TIDIG_COMP_CNT: 1
	.section	.text._ZL15flash_attn_tileILi128ELi128ELi4ELi8ELb1EEvPKcS1_S1_S1_S1_PKiPfP15HIP_vector_typeIfLj2EEffffjfiS5_IjLj3EEiiiiiiiiiiiliiliiiiil,"axG",@progbits,_ZL15flash_attn_tileILi128ELi128ELi4ELi8ELb1EEvPKcS1_S1_S1_S1_PKiPfP15HIP_vector_typeIfLj2EEffffjfiS5_IjLj3EEiiiiiiiiiiiliiliiiiil,comdat
	.globl	_ZL15flash_attn_tileILi128ELi128ELi4ELi8ELb1EEvPKcS1_S1_S1_S1_PKiPfP15HIP_vector_typeIfLj2EEffffjfiS5_IjLj3EEiiiiiiiiiiiliiliiiiil ; -- Begin function _ZL15flash_attn_tileILi128ELi128ELi4ELi8ELb1EEvPKcS1_S1_S1_S1_PKiPfP15HIP_vector_typeIfLj2EEffffjfiS5_IjLj3EEiiiiiiiiiiiliiliiiiil
	.p2align	8
	.type	_ZL15flash_attn_tileILi128ELi128ELi4ELi8ELb1EEvPKcS1_S1_S1_S1_PKiPfP15HIP_vector_typeIfLj2EEffffjfiS5_IjLj3EEiiiiiiiiiiiliiliiiiil,@function
_ZL15flash_attn_tileILi128ELi128ELi4ELi8ELb1EEvPKcS1_S1_S1_S1_PKiPfP15HIP_vector_typeIfLj2EEffffjfiS5_IjLj3EEiiiiiiiiiiiliiliiiiil: ; @_ZL15flash_attn_tileILi128ELi128ELi4ELi8ELb1EEvPKcS1_S1_S1_S1_PKiPfP15HIP_vector_typeIfLj2EEffffjfiS5_IjLj3EEiiiiiiiiiiiliiliiiiil
; %bb.0:
	s_clause 0x1
	s_load_b128 s[20:23], s[0:1], 0x5c
	s_load_b64 s[28:29], s[0:1], 0x80
	s_lshr_b32 s5, ttmp7, 16
	s_load_b64 s[36:37], s[0:1], 0xb8
	s_mov_b32 s35, 0
	s_mov_b64 s[30:31], 0
	s_wait_kmcnt 0x0
	s_ashr_i32 s2, s23, 31
	s_delay_alu instid0(SALU_CYCLE_1) | instskip(NEXT) | instid1(SALU_CYCLE_1)
	s_lshr_b32 s2, s2, 29
	s_add_co_i32 s2, s23, s2
	s_delay_alu instid0(SALU_CYCLE_1) | instskip(NEXT) | instid1(SALU_CYCLE_1)
	s_ashr_i32 s2, s2, 3
	s_cvt_f32_u32 s3, s2
	s_sub_co_i32 s4, 0, s2
	s_delay_alu instid0(SALU_CYCLE_2) | instskip(NEXT) | instid1(TRANS32_DEP_1)
	v_rcp_iflag_f32_e32 v1, s3
	v_readfirstlane_b32 s3, v1
	s_mul_f32 s3, s3, 0x4f7ffffe
	s_wait_alu 0xfffe
	s_delay_alu instid0(SALU_CYCLE_2) | instskip(SKIP_1) | instid1(SALU_CYCLE_2)
	s_cvt_u32_f32 s3, s3
	s_wait_alu 0xfffe
	s_mul_i32 s4, s4, s3
	s_delay_alu instid0(SALU_CYCLE_1) | instskip(NEXT) | instid1(SALU_CYCLE_1)
	s_mul_hi_u32 s4, s3, s4
	s_add_co_i32 s3, s3, s4
	s_wait_alu 0xfffe
	s_mul_hi_u32 s3, s5, s3
	s_wait_alu 0xfffe
	s_mul_i32 s4, s3, s2
	s_add_co_i32 s6, s3, 1
	s_sub_co_i32 s4, s5, s4
	s_delay_alu instid0(SALU_CYCLE_1)
	s_sub_co_i32 s7, s4, s2
	s_cmp_ge_u32 s4, s2
	s_cselect_b32 s3, s6, s3
	s_cselect_b32 s4, s7, s4
	s_wait_alu 0xfffe
	s_add_co_i32 s6, s3, 1
	s_cmp_ge_u32 s4, s2
	s_cselect_b32 s2, s6, s3
	s_abs_i32 s3, s29
	s_abs_i32 s8, s23
	s_wait_alu 0xfffe
	s_cvt_f32_u32 s4, s3
	s_sub_co_i32 s6, 0, s3
	s_lshl_b32 s5, s5, 3
	s_mul_i32 s7, s2, s23
	v_rcp_iflag_f32_e32 v1, s4
	s_sub_co_i32 s33, s5, s7
	s_xor_b32 s5, s23, s29
	s_wait_alu 0xfffe
	s_ashr_i32 s24, s5, 31
	s_delay_alu instid0(TRANS32_DEP_1) | instskip(SKIP_2) | instid1(SALU_CYCLE_2)
	v_readfirstlane_b32 s4, v1
	s_mul_f32 s4, s4, 0x4f7ffffe
	s_wait_alu 0xfffe
	s_cvt_u32_f32 s4, s4
	s_wait_alu 0xfffe
	s_delay_alu instid0(SALU_CYCLE_2) | instskip(NEXT) | instid1(SALU_CYCLE_1)
	s_mul_i32 s6, s6, s4
	s_mul_hi_u32 s6, s4, s6
	s_delay_alu instid0(SALU_CYCLE_1) | instskip(SKIP_4) | instid1(SALU_CYCLE_1)
	s_add_co_i32 s4, s4, s6
	s_wait_alu 0xfffe
	s_mul_hi_u32 s4, s8, s4
	s_wait_alu 0xfffe
	s_mul_i32 s6, s4, s3
	s_sub_co_i32 s5, s8, s6
	s_add_co_i32 s6, s4, 1
	s_wait_alu 0xfffe
	s_sub_co_i32 s7, s5, s3
	s_cmp_ge_u32 s5, s3
	s_cselect_b32 s4, s6, s4
	s_cselect_b32 s5, s7, s5
	s_wait_alu 0xfffe
	s_add_co_i32 s6, s4, 1
	s_cmp_ge_u32 s5, s3
	s_cselect_b32 s3, s6, s4
	s_load_b512 s[4:19], s[0:1], 0x0
	s_xor_b32 s3, s3, s24
	s_wait_alu 0xfffe
	s_sub_co_i32 s38, s3, s24
	s_delay_alu instid0(SALU_CYCLE_1) | instskip(NEXT) | instid1(SALU_CYCLE_1)
	s_abs_i32 s29, s38
	s_cvt_f32_u32 s3, s29
	s_wait_alu 0xfffe
	s_delay_alu instid0(SALU_CYCLE_2) | instskip(SKIP_2) | instid1(TRANS32_DEP_1)
	v_rcp_iflag_f32_e32 v1, s3
	s_wait_kmcnt 0x0
	s_cmp_eq_u64 s[10:11], 0
	v_readfirstlane_b32 s27, v1
	s_cbranch_scc1 .LBB72_2
; %bb.1:
	s_abs_i32 s3, s36
	s_wait_alu 0xfffe
	s_cvt_f32_u32 s24, s3
	s_delay_alu instid0(SALU_CYCLE_3) | instskip(NEXT) | instid1(TRANS32_DEP_1)
	v_rcp_iflag_f32_e32 v1, s24
	v_readfirstlane_b32 s24, v1
	s_mul_f32 s24, s24, 0x4f7ffffe
	s_wait_alu 0xfffe
	s_delay_alu instid0(SALU_CYCLE_2) | instskip(SKIP_2) | instid1(SALU_CYCLE_1)
	s_cvt_u32_f32 s26, s24
	s_sub_co_i32 s24, 0, s3
	s_wait_alu 0xfffe
	s_mul_i32 s24, s24, s26
	s_wait_alu 0xfffe
	s_mul_hi_u32 s30, s26, s24
	s_load_b64 s[24:25], s[0:1], 0xc8
	s_add_co_i32 s26, s26, s30
	s_delay_alu instid0(SALU_CYCLE_1) | instskip(NEXT) | instid1(SALU_CYCLE_1)
	s_mul_hi_u32 s26, s2, s26
	s_mul_i32 s26, s26, s3
	s_delay_alu instid0(SALU_CYCLE_1) | instskip(NEXT) | instid1(SALU_CYCLE_1)
	s_sub_co_i32 s26, s2, s26
	s_sub_co_i32 s30, s26, s3
	s_cmp_ge_u32 s26, s3
	s_cselect_b32 s26, s30, s26
	s_delay_alu instid0(SALU_CYCLE_1) | instskip(SKIP_2) | instid1(SALU_CYCLE_1)
	s_sub_co_i32 s30, s26, s3
	s_cmp_ge_u32 s26, s3
	s_cselect_b32 s30, s30, s26
	s_ashr_i32 s31, s30, 31
	s_wait_kmcnt 0x0
	s_mul_u64 s[24:25], s[24:25], s[30:31]
	s_wait_alu 0xfffe
	s_add_nc_u64 s[30:31], s[10:11], s[24:25]
.LBB72_2:
	v_lshrrev_b32_e32 v1, 10, v0
	s_load_b96 s[24:26], s[0:1], 0x70
	s_delay_alu instid0(VALU_DEP_1) | instskip(NEXT) | instid1(VALU_DEP_1)
	v_bfe_u32 v1, v1, 1, 9
	v_lshl_add_u32 v12, ttmp9, 2, v1
	v_bfe_u32 v1, v0, 10, 10
	s_delay_alu instid0(VALU_DEP_2) | instskip(NEXT) | instid1(VALU_DEP_2)
	v_mul_hi_u32 v3, s20, v12
	v_lshlrev_b32_e32 v2, 2, v1
	s_delay_alu instid0(VALU_DEP_1)
	v_or_b32_e32 v28, 3, v2
	s_wait_kmcnt 0x0
	s_ashr_i32 s41, s25, 31
	s_mov_b32 s40, s25
	v_or_b32_e32 v26, 1, v2
	s_lshr_b64 s[42:43], s[40:41], 2
	v_and_b32_e32 v19, 7, v28
	v_or_b32_e32 v27, 2, v2
	s_mul_i32 s20, s33, s25
	v_and_b32_e32 v11, 5, v26
	s_ashr_i32 s25, s24, 31
	v_mad_co_u64_u32 v[9:10], null, s42, v19, 0
	v_and_b32_e32 v13, 0x3ff, v0
	v_add_nc_u32_e32 v0, v12, v3
	v_and_b32_e32 v18, 6, v27
	s_wait_alu 0xfffe
	s_lshr_b64 s[44:45], s[24:25], 2
	v_mad_co_u64_u32 v[5:6], null, s42, v11, 0
	v_lshrrev_b32_e32 v0, s21, v0
	v_mad_co_u64_u32 v[7:8], null, s42, v18, 0
	s_lshr_b32 s3, s25, 2
	s_lshr_b32 s24, s41, 2
	v_mul_lo_u32 v0, v0, s22
	s_mul_i32 s10, s2, s26
	s_ashr_i32 s21, s20, 31
	s_ashr_i32 s11, s10, 31
	s_cmp_eq_u64 s[14:15], 0
	s_add_nc_u64 s[4:5], s[4:5], s[10:11]
	s_wait_alu 0xfffe
	s_add_nc_u64 s[4:5], s[4:5], s[20:21]
	v_sub_nc_u32_e32 v0, v12, v0
	s_delay_alu instid0(VALU_DEP_1) | instskip(NEXT) | instid1(VALU_DEP_1)
	v_mad_co_u64_u32 v[3:4], null, s44, v0, 0
	v_mad_co_u64_u32 v[16:17], null, s3, v0, v[4:5]
	v_mad_co_u64_u32 v[17:18], null, s24, v18, v[8:9]
	v_dual_mov_b32 v4, v10 :: v_dual_and_b32 v29, 4, v2
	v_mad_co_u64_u32 v[10:11], null, s24, v11, v[6:7]
	s_load_b32 s3, s[0:1], 0x40
	v_mov_b32_e32 v8, v17
	v_mad_co_u64_u32 v[18:19], null, s24, v19, v[4:5]
	v_mov_b32_e32 v4, v16
	v_mul_lo_u32 v20, s24, v29
	v_mad_co_u64_u32 v[14:15], null, s42, v29, 0
	v_lshlrev_b32_e32 v11, 4, v13
	s_delay_alu instid0(VALU_DEP_4)
	v_lshlrev_b64_e32 v[3:4], 2, v[3:4]
	v_mov_b32_e32 v6, v10
	v_mov_b32_e32 v10, v18
	v_lshlrev_b64_e32 v[16:17], 2, v[7:8]
	v_or_b32_e32 v15, v15, v20
	v_add_co_u32 v3, vcc_lo, s4, v3
	s_delay_alu instid0(VALU_DEP_1) | instskip(NEXT) | instid1(VALU_DEP_3)
	v_add_co_ci_u32_e64 v4, null, s5, v4, vcc_lo
	v_lshlrev_b64_e32 v[14:15], 2, v[14:15]
	s_delay_alu instid0(VALU_DEP_3)
	v_add_co_u32 v20, vcc_lo, v3, v11
	v_lshlrev_b64_e32 v[5:6], 2, v[5:6]
	s_wait_alu 0xfffd
	v_add_co_ci_u32_e64 v21, null, 0, v4, vcc_lo
	v_lshlrev_b64_e32 v[8:9], 2, v[9:10]
	v_add_co_u32 v3, vcc_lo, v20, v14
	s_wait_alu 0xfffd
	s_delay_alu instid0(VALU_DEP_3)
	v_add_co_ci_u32_e64 v4, null, v21, v15, vcc_lo
	v_add_co_u32 v10, vcc_lo, v20, v5
	s_wait_alu 0xfffd
	v_add_co_ci_u32_e64 v11, null, v21, v6, vcc_lo
	v_add_co_u32 v18, vcc_lo, v20, v16
	s_wait_alu 0xfffd
	;; [unrolled: 3-line block ×3, first 2 shown]
	v_add_co_ci_u32_e64 v9, null, v21, v9, vcc_lo
	s_clause 0x3
	global_load_b128 v[4:7], v[3:4], off
	global_load_b128 v[14:17], v[10:11], off
	;; [unrolled: 1-line block ×4, first 2 shown]
	v_lshlrev_b32_e32 v11, 3, v13
	v_lshlrev_b32_e32 v3, 10, v1
	s_delay_alu instid0(VALU_DEP_2) | instskip(NEXT) | instid1(VALU_DEP_1)
	v_add_nc_u32_e32 v8, 0x6800, v11
	v_add_nc_u32_e32 v10, v8, v3
	v_lshl_add_u32 v26, v26, 8, v8
	v_lshl_add_u32 v27, v27, 8, v8
	;; [unrolled: 1-line block ×3, first 2 shown]
	s_wait_loadcnt 0x3
	s_wait_kmcnt 0x0
	v_fma_mixlo_f16 v4, s3, v4, 0
	v_fma_mixlo_f16 v5, s3, v5, 0
	v_fma_mixlo_f16 v6, s3, v6, 0
	v_fma_mixlo_f16 v7, s3, v7, 0
	s_wait_loadcnt 0x2
	v_fma_mixlo_f16 v8, s3, v14, 0
	v_fma_mixlo_f16 v9, s3, v15, 0
	v_fma_mixlo_f16 v14, s3, v16, 0
	v_fma_mixlo_f16 v15, s3, v17, 0
	s_wait_loadcnt 0x1
	;; [unrolled: 5-line block ×3, first 2 shown]
	v_fma_mixlo_f16 v20, s3, v22, 0
	v_fma_mixlo_f16 v21, s3, v23, 0
	v_lshlrev_b32_e32 v5, 16, v5
	v_and_b32_e32 v4, 0xffff, v4
	v_lshlrev_b32_e32 v7, 16, v7
	v_and_b32_e32 v6, 0xffff, v6
	;; [unrolled: 2-line block ×4, first 2 shown]
	v_fma_mixlo_f16 v22, s3, v24, 0
	v_fma_mixlo_f16 v23, s3, v25, 0
	v_lshlrev_b32_e32 v15, 16, v15
	v_and_b32_e32 v14, 0xffff, v14
	v_lshlrev_b32_e32 v21, 16, v21
	v_and_b32_e32 v20, 0xffff, v20
	v_or_b32_e32 v4, v5, v4
	v_or3_b32 v5, v7, v6, 0
	v_or_b32_e32 v6, v9, v8
	v_lshlrev_b32_e32 v19, 16, v19
	v_and_b32_e32 v18, 0xffff, v18
	v_or_b32_e32 v8, v17, v16
	v_lshlrev_b32_e32 v23, 16, v23
	v_and_b32_e32 v22, 0xffff, v22
	v_or3_b32 v7, v15, v14, 0
	v_or_b32_e32 v14, v21, v20
	v_or3_b32 v4, 0, 0, v4
	v_or3_b32 v6, 0, 0, v6
	;; [unrolled: 1-line block ×6, first 2 shown]
	ds_store_b64 v10, v[4:5]
	ds_store_b64 v26, v[6:7]
	;; [unrolled: 1-line block ×4, first 2 shown]
	s_wait_dscnt 0x0
	s_barrier_signal -1
	s_barrier_wait -1
	global_inv scope:SCOPE_SE
	s_cbranch_scc1 .LBB72_4
; %bb.3:
	s_load_b32 s3, s[0:1], 0xd0
	s_mov_b32 s5, 0
	s_wait_kmcnt 0x0
	s_mul_i32 s3, s3, s2
	s_wait_alu 0xfffe
	s_add_co_i32 s4, s3, ttmp9
	s_wait_alu 0xfffe
	s_lshl_b64 s[4:5], s[4:5], 2
	s_wait_alu 0xfffe
	s_add_nc_u64 s[4:5], s[14:15], s[4:5]
	s_load_b32 s28, s[4:5], 0x0
.LBB72_4:
	s_and_b32 s4, ttmp7, 0xffff
	v_mbcnt_lo_u32_b32 v30, -1, 0
	s_wait_alu 0xfffe
	s_lshl_b32 s10, s4, 7
	s_wait_kmcnt 0x0
	s_cmp_lt_i32 s10, s28
	s_cbranch_scc1 .LBB72_7
; %bb.5:
	v_mbcnt_lo_u32_b32 v4, -1, 0
	v_mov_b32_e32 v31, 32
	s_delay_alu instid0(VALU_DEP_2)
	v_xor_b32_e32 v61, 16, v4
	v_xor_b32_e32 v27, 8, v4
	;; [unrolled: 1-line block ×5, first 2 shown]
	v_lshlrev_b32_e32 v28, 2, v13
	s_mov_b32 s3, 0
	s_cbranch_execz .LBB72_8
; %bb.6:
	v_dual_mov_b32 v51, 0 :: v_dual_mov_b32 v64, 0
	v_dual_mov_b32 v3, 0xfeffffff :: v_dual_mov_b32 v2, 0xfeffffff
	;; [unrolled: 1-line block ×8, first 2 shown]
	s_branch .LBB72_76
.LBB72_7:
                                        ; implicit-def: $vgpr4
                                        ; implicit-def: $vgpr31
                                        ; implicit-def: $vgpr61
                                        ; implicit-def: $vgpr27
                                        ; implicit-def: $vgpr26
                                        ; implicit-def: $vgpr25
                                        ; implicit-def: $vgpr24
	v_lshlrev_b32_e32 v28, 2, v13
	s_mov_b32 s3, 0
.LBB72_8:
	s_mul_f32 s5, s27, 0x4f7ffffe
	s_clause 0x1
	s_load_b128 s[24:27], s[0:1], 0x98
	s_load_b64 s[20:21], s[0:1], 0x8c
	s_sub_co_i32 s14, 0, s29
	s_abs_i32 s34, s33
	s_cvt_u32_f32 s11, s5
	s_load_b32 s5, s[0:1], 0x54
	s_mov_b32 s15, s35
	s_ashr_i32 s36, s33, 31
	s_mul_i32 s14, s14, s11
	v_lshrrev_b32_e32 v4, 3, v13
	s_mul_hi_u32 s14, s11, s14
	s_ashr_i32 s37, s37, 1
	s_add_co_i32 s14, s11, s14
	s_ashr_i32 s11, s38, 31
	s_load_b64 s[38:39], s[0:1], 0xa8
	s_mul_u64 s[14:15], s[34:35], s[14:15]
	s_xor_b32 s11, s36, s11
	s_mul_i32 s35, s15, s29
	s_add_co_i32 s36, s15, 1
	v_dual_mov_b32 v31, 32 :: v_dual_add_nc_u32 v2, v4, v2
	s_wait_kmcnt 0x0
	s_ashr_i32 s14, s26, 2
	s_sub_co_i32 s26, s34, s35
	s_ashr_i32 s20, s20, 2
	s_sub_co_i32 s34, s26, s29
	s_cmp_ge_u32 s26, s29
	v_dual_mov_b32 v45, 0 :: v_dual_and_b32 v10, 28, v28
	s_cselect_b32 s15, s36, s15
	s_cselect_b32 s26, s34, s26
	s_add_co_i32 s34, s15, 1
	s_cmp_ge_u32 s26, s29
	s_wait_alu 0xfffe
	v_mul_lo_u32 v6, s20, v2
	s_cselect_b32 s15, s34, s15
	v_dual_mov_b32 v47, 0 :: v_dual_lshlrev_b32 v4, 2, v10
	s_xor_b32 s15, s15, s11
	v_lshrrev_b32_e32 v5, 4, v13
	s_mul_u64 s[24:25], s[24:25], s[2:3]
	s_mul_u64 s[34:35], s[38:39], s[2:3]
	s_sub_co_i32 s3, s15, s11
	s_wait_alu 0xfffe
	s_add_nc_u64 s[6:7], s[6:7], s[24:25]
	s_mul_i32 s24, s3, s21
	s_mul_i32 s26, s3, s27
	s_lshl_b32 s3, s20, 5
	v_mad_u32_u24 v32, 0x90, v2, v4
	v_lshl_add_u32 v4, v1, 1, v5
	s_wait_alu 0xfffe
	v_dual_mov_b32 v49, 0 :: v_dual_add_nc_u32 v8, s3, v6
	v_dual_mov_b32 v60, 0xfeffffff :: v_dual_mov_b32 v57, 0
	s_delay_alu instid0(VALU_DEP_3) | instskip(NEXT) | instid1(VALU_DEP_3)
	v_mul_lo_u32 v16, s14, v4
	v_add_nc_u32_e32 v1, s3, v8
	v_dual_mov_b32 v55, 0xfeffffff :: v_dual_and_b32 v24, 60, v28
	v_ashrrev_i32_e32 v7, 31, v6
	v_ashrrev_i32_e32 v9, 31, v8
	s_delay_alu instid0(VALU_DEP_4)
	v_dual_mov_b32 v59, 0 :: v_dual_add_nc_u32 v14, s3, v1
	s_lshl_b32 s3, s14, 4
	v_dual_mov_b32 v50, 0 :: v_dual_lshlrev_b32 v5, 2, v24
	s_wait_alu 0xfffe
	v_add_nc_u32_e32 v18, s3, v16
	v_ashrrev_i32_e32 v2, 31, v1
	v_ashrrev_i32_e32 v15, 31, v14
	;; [unrolled: 1-line block ×3, first 2 shown]
	v_lshl_or_b32 v38, v4, 8, v5
	v_add_nc_u32_e32 v20, s3, v18
	v_ashrrev_i32_e32 v19, 31, v18
	v_mad_co_u64_u32 v[4:5], null, v0, s37, v[13:14]
	v_lshlrev_b64_e32 v[5:6], 2, v[6:7]
	s_delay_alu instid0(VALU_DEP_4) | instskip(SKIP_3) | instid1(VALU_DEP_4)
	v_add_nc_u32_e32 v22, s3, v20
	v_ashrrev_i32_e32 v21, 31, v20
	v_dual_mov_b32 v58, 0xfeffffff :: v_dual_lshlrev_b32 v43, 2, v10
	v_lshlrev_b64_e32 v[7:8], 2, v[8:9]
	v_ashrrev_i32_e32 v23, 31, v22
	v_lshlrev_b64_e32 v[9:10], 2, v[1:2]
	v_lshlrev_b64_e32 v[14:15], 2, v[14:15]
	;; [unrolled: 1-line block ×6, first 2 shown]
	v_dual_mov_b32 v46, 0 :: v_dual_add_nc_u32 v33, 0x1200, v32
	v_dual_mov_b32 v51, 0 :: v_dual_add_nc_u32 v34, 0x2400, v32
	;; [unrolled: 1-line block ×4, first 2 shown]
	v_mul_u32_u24_e32 v37, 0x90, v13
	v_dual_mov_b32 v52, 0 :: v_dual_add_nc_u32 v39, 0x4800, v3
	v_add_nc_u32_e32 v40, 0x1000, v38
	v_dual_mov_b32 v54, 0 :: v_dual_add_nc_u32 v41, 0x2000, v38
	v_add_nc_u32_e32 v42, 0x3000, v38
	v_lshlrev_b32_e32 v44, 2, v24
	v_mov_b32_e32 v56, 0xfeffffff
	s_add_nc_u64 s[8:9], s[8:9], s[34:35]
	s_ashr_i32 s25, s24, 31
	s_ashr_i32 s27, s26, 31
	s_wait_alu 0xfffe
	s_add_nc_u64 s[6:7], s[6:7], s[24:25]
	s_add_nc_u64 s[8:9], s[8:9], s[26:27]
	s_ashr_i32 s21, s20, 31
	s_ashr_i32 s15, s14, 31
	s_add_nc_u64 s[24:25], s[0:1], 0xd0
	s_mov_b32 s3, 0xbbbac73d
.LBB72_9:                               ; =>This Inner Loop Header: Depth=1
	s_ashr_i32 s11, s10, 31
	v_dual_mov_b32 v61, 0 :: v_dual_mov_b32 v70, 0
	s_wait_alu 0xfffe
	s_mul_u64 s[26:27], s[10:11], s[20:21]
	v_mov_b32_e32 v66, 0
	s_wait_alu 0xfffe
	s_lshl_b64 s[26:27], s[26:27], 2
	v_mov_b32_e32 v68, 0
	s_wait_alu 0xfffe
	s_add_nc_u64 s[26:27], s[6:7], s[26:27]
	v_mov_b32_e32 v67, 0
	s_wait_alu 0xfffe
	v_add_co_u32 v0, vcc_lo, s26, v5
	s_wait_alu 0xfffd
	v_add_co_ci_u32_e64 v1, null, s27, v6, vcc_lo
	v_add_co_u32 v2, vcc_lo, s26, v7
	s_wait_alu 0xfffd
	v_add_co_ci_u32_e64 v3, null, s27, v8, vcc_lo
	;; [unrolled: 3-line block ×8, first 2 shown]
	s_clause 0x3
	global_load_b128 v[62:65], v[0:1], off
	global_load_b128 v[71:74], v[2:3], off
	;; [unrolled: 1-line block ×4, first 2 shown]
	s_wait_loadcnt 0x3
	ds_store_b128 v32, v[62:65]
	s_wait_loadcnt 0x2
	ds_store_b128 v33, v[71:74]
	s_wait_loadcnt 0x1
	ds_store_b128 v34, v[75:78]
	s_wait_loadcnt 0x0
	ds_store_b128 v35, v[79:82]
	s_wait_dscnt 0x0
	s_barrier_signal -1
	s_barrier_wait -1
	global_inv scope:SCOPE_SE
	ds_load_b128 v[77:80], v37
	ds_load_b128 v[81:84], v36
	ds_load_b128 v[85:88], v36 offset:256
	ds_load_b128 v[89:92], v36 offset:512
	;; [unrolled: 1-line block ×6, first 2 shown]
	s_wait_dscnt 0x6
	;;#ASMSTART
	v_dot2_f32_f16 v61, v77, v81, v61
	;;#ASMEND
	;;#ASMSTART
	v_dot2_f32_f16 v61, v78, v82, v61
	;;#ASMEND
	;; [unrolled: 3-line block ×4, first 2 shown]
	s_wait_dscnt 0x5
	;;#ASMSTART
	v_dot2_f32_f16 v70, v77, v85, v70
	;;#ASMEND
	;;#ASMSTART
	v_dot2_f32_f16 v70, v78, v86, v70
	;;#ASMEND
	;;#ASMSTART
	v_dot2_f32_f16 v70, v79, v87, v70
	;;#ASMEND
	v_mov_b32_e32 v71, 0
	;;#ASMSTART
	v_dot2_f32_f16 v70, v80, v88, v70
	;;#ASMEND
	s_wait_dscnt 0x4
	;;#ASMSTART
	v_dot2_f32_f16 v66, v77, v89, v66
	;;#ASMEND
	;;#ASMSTART
	v_dot2_f32_f16 v66, v78, v90, v66
	;;#ASMEND
	v_mov_b32_e32 v62, 0
	;;#ASMSTART
	v_dot2_f32_f16 v66, v79, v91, v66
	;;#ASMEND
	;;#ASMSTART
	v_dot2_f32_f16 v66, v80, v92, v66
	;;#ASMEND
	s_wait_dscnt 0x3
	;;#ASMSTART
	v_dot2_f32_f16 v62, v77, v93, v62
	;;#ASMEND
	;;#ASMSTART
	v_dot2_f32_f16 v62, v78, v94, v62
	;;#ASMEND
	v_dual_mov_b32 v74, 0 :: v_dual_mov_b32 v63, 0
	;;#ASMSTART
	v_dot2_f32_f16 v62, v79, v95, v62
	;;#ASMEND
	;;#ASMSTART
	v_dot2_f32_f16 v62, v80, v96, v62
	;;#ASMEND
	s_wait_dscnt 0x2
	;;#ASMSTART
	v_dot2_f32_f16 v74, v97, v81, v74
	;;#ASMEND
	;;#ASMSTART
	v_dot2_f32_f16 v74, v98, v82, v74
	;;#ASMEND
	;; [unrolled: 3-line block ×14, first 2 shown]
	v_dual_mov_b32 v75, 0 :: v_dual_mov_b32 v72, 0
	;;#ASMSTART
	v_dot2_f32_f16 v63, v99, v95, v63
	;;#ASMEND
	;;#ASMSTART
	v_dot2_f32_f16 v63, v100, v96, v63
	;;#ASMEND
	s_wait_dscnt 0x1
	;;#ASMSTART
	v_dot2_f32_f16 v75, v101, v81, v75
	;;#ASMEND
	;;#ASMSTART
	v_dot2_f32_f16 v75, v102, v82, v75
	;;#ASMEND
	;; [unrolled: 3-line block ×7, first 2 shown]
	v_mov_b32_e32 v73, 0
	;;#ASMSTART
	v_dot2_f32_f16 v72, v104, v88, v72
	;;#ASMEND
	;;#ASMSTART
	v_dot2_f32_f16 v68, v101, v89, v68
	;;#ASMEND
	;; [unrolled: 3-line block ×3, first 2 shown]
	v_dual_mov_b32 v64, 0 :: v_dual_mov_b32 v69, 0
	;;#ASMSTART
	v_dot2_f32_f16 v68, v103, v91, v68
	;;#ASMEND
	;;#ASMSTART
	v_dot2_f32_f16 v68, v104, v92, v68
	;;#ASMEND
	;; [unrolled: 3-line block ×4, first 2 shown]
	v_dual_mov_b32 v76, 0 :: v_dual_mov_b32 v65, 0
	;;#ASMSTART
	v_dot2_f32_f16 v64, v103, v95, v64
	;;#ASMEND
	;;#ASMSTART
	v_dot2_f32_f16 v64, v104, v96, v64
	;;#ASMEND
	s_wait_dscnt 0x0
	;;#ASMSTART
	v_dot2_f32_f16 v76, v105, v81, v76
	;;#ASMEND
	;;#ASMSTART
	v_dot2_f32_f16 v76, v106, v82, v76
	;;#ASMEND
	;; [unrolled: 3-line block ×16, first 2 shown]
	ds_load_b128 v[77:80], v37 offset:16
	ds_load_b128 v[81:84], v36 offset:16
	;; [unrolled: 1-line block ×8, first 2 shown]
	s_wait_dscnt 0x6
	;;#ASMSTART
	v_dot2_f32_f16 v61, v77, v81, v61
	;;#ASMEND
	;;#ASMSTART
	v_dot2_f32_f16 v61, v78, v82, v61
	;;#ASMEND
	;;#ASMSTART
	v_dot2_f32_f16 v61, v79, v83, v61
	;;#ASMEND
	;;#ASMSTART
	v_dot2_f32_f16 v61, v80, v84, v61
	;;#ASMEND
	s_wait_dscnt 0x5
	;;#ASMSTART
	v_dot2_f32_f16 v70, v77, v85, v70
	;;#ASMEND
	;;#ASMSTART
	v_dot2_f32_f16 v70, v78, v86, v70
	;;#ASMEND
	;;#ASMSTART
	v_dot2_f32_f16 v70, v79, v87, v70
	;;#ASMEND
	;;#ASMSTART
	v_dot2_f32_f16 v70, v80, v88, v70
	;;#ASMEND
	;; [unrolled: 13-line block ×5, first 2 shown]
	;;#ASMSTART
	v_dot2_f32_f16 v71, v97, v85, v71
	;;#ASMEND
	;;#ASMSTART
	v_dot2_f32_f16 v71, v98, v86, v71
	;;#ASMEND
	;; [unrolled: 3-line block ×12, first 2 shown]
	s_wait_dscnt 0x1
	;;#ASMSTART
	v_dot2_f32_f16 v75, v101, v81, v75
	;;#ASMEND
	;;#ASMSTART
	v_dot2_f32_f16 v75, v102, v82, v75
	;;#ASMEND
	;; [unrolled: 3-line block ×16, first 2 shown]
	s_wait_dscnt 0x0
	;;#ASMSTART
	v_dot2_f32_f16 v76, v105, v81, v76
	;;#ASMEND
	;;#ASMSTART
	v_dot2_f32_f16 v76, v106, v82, v76
	;;#ASMEND
	;; [unrolled: 3-line block ×16, first 2 shown]
	ds_load_b128 v[77:80], v37 offset:32
	ds_load_b128 v[81:84], v36 offset:32
	;; [unrolled: 1-line block ×8, first 2 shown]
	s_wait_dscnt 0x6
	;;#ASMSTART
	v_dot2_f32_f16 v61, v77, v81, v61
	;;#ASMEND
	;;#ASMSTART
	v_dot2_f32_f16 v61, v78, v82, v61
	;;#ASMEND
	;;#ASMSTART
	v_dot2_f32_f16 v61, v79, v83, v61
	;;#ASMEND
	;;#ASMSTART
	v_dot2_f32_f16 v61, v80, v84, v61
	;;#ASMEND
	s_wait_dscnt 0x5
	;;#ASMSTART
	v_dot2_f32_f16 v70, v77, v85, v70
	;;#ASMEND
	;;#ASMSTART
	v_dot2_f32_f16 v70, v78, v86, v70
	;;#ASMEND
	;;#ASMSTART
	v_dot2_f32_f16 v70, v79, v87, v70
	;;#ASMEND
	;;#ASMSTART
	v_dot2_f32_f16 v70, v80, v88, v70
	;;#ASMEND
	;; [unrolled: 13-line block ×5, first 2 shown]
	;;#ASMSTART
	v_dot2_f32_f16 v71, v97, v85, v71
	;;#ASMEND
	;;#ASMSTART
	v_dot2_f32_f16 v71, v98, v86, v71
	;;#ASMEND
	;; [unrolled: 3-line block ×12, first 2 shown]
	s_wait_dscnt 0x1
	;;#ASMSTART
	v_dot2_f32_f16 v75, v101, v81, v75
	;;#ASMEND
	;;#ASMSTART
	v_dot2_f32_f16 v75, v102, v82, v75
	;;#ASMEND
	;; [unrolled: 3-line block ×16, first 2 shown]
	s_wait_dscnt 0x0
	;;#ASMSTART
	v_dot2_f32_f16 v76, v105, v81, v76
	;;#ASMEND
	;;#ASMSTART
	v_dot2_f32_f16 v76, v106, v82, v76
	;;#ASMEND
	;; [unrolled: 3-line block ×16, first 2 shown]
	ds_load_b128 v[77:80], v37 offset:48
	ds_load_b128 v[81:84], v36 offset:48
	ds_load_b128 v[85:88], v36 offset:304
	ds_load_b128 v[89:92], v36 offset:560
	ds_load_b128 v[93:96], v36 offset:816
	ds_load_b128 v[97:100], v37 offset:4656
	ds_load_b128 v[101:104], v37 offset:9264
	ds_load_b128 v[105:108], v37 offset:13872
	s_wait_dscnt 0x6
	;;#ASMSTART
	v_dot2_f32_f16 v61, v77, v81, v61
	;;#ASMEND
	;;#ASMSTART
	v_dot2_f32_f16 v61, v78, v82, v61
	;;#ASMEND
	;;#ASMSTART
	v_dot2_f32_f16 v61, v79, v83, v61
	;;#ASMEND
	;;#ASMSTART
	v_dot2_f32_f16 v61, v80, v84, v61
	;;#ASMEND
	s_wait_dscnt 0x5
	;;#ASMSTART
	v_dot2_f32_f16 v70, v77, v85, v70
	;;#ASMEND
	;;#ASMSTART
	v_dot2_f32_f16 v70, v78, v86, v70
	;;#ASMEND
	;;#ASMSTART
	v_dot2_f32_f16 v70, v79, v87, v70
	;;#ASMEND
	;;#ASMSTART
	v_dot2_f32_f16 v70, v80, v88, v70
	;;#ASMEND
	;; [unrolled: 13-line block ×5, first 2 shown]
	;;#ASMSTART
	v_dot2_f32_f16 v71, v97, v85, v71
	;;#ASMEND
	;;#ASMSTART
	v_dot2_f32_f16 v71, v98, v86, v71
	;;#ASMEND
	;; [unrolled: 3-line block ×12, first 2 shown]
	s_wait_dscnt 0x1
	;;#ASMSTART
	v_dot2_f32_f16 v75, v101, v81, v75
	;;#ASMEND
	;;#ASMSTART
	v_dot2_f32_f16 v75, v102, v82, v75
	;;#ASMEND
	;; [unrolled: 3-line block ×16, first 2 shown]
	s_wait_dscnt 0x0
	;;#ASMSTART
	v_dot2_f32_f16 v76, v105, v81, v76
	;;#ASMEND
	;;#ASMSTART
	v_dot2_f32_f16 v76, v106, v82, v76
	;;#ASMEND
	;; [unrolled: 3-line block ×16, first 2 shown]
	ds_load_b128 v[77:80], v37 offset:64
	ds_load_b128 v[81:84], v36 offset:64
	;; [unrolled: 1-line block ×8, first 2 shown]
	s_wait_dscnt 0x6
	;;#ASMSTART
	v_dot2_f32_f16 v61, v77, v81, v61
	;;#ASMEND
	;;#ASMSTART
	v_dot2_f32_f16 v61, v78, v82, v61
	;;#ASMEND
	;;#ASMSTART
	v_dot2_f32_f16 v61, v79, v83, v61
	;;#ASMEND
	;;#ASMSTART
	v_dot2_f32_f16 v61, v80, v84, v61
	;;#ASMEND
	s_wait_dscnt 0x5
	;;#ASMSTART
	v_dot2_f32_f16 v70, v77, v85, v70
	;;#ASMEND
	;;#ASMSTART
	v_dot2_f32_f16 v70, v78, v86, v70
	;;#ASMEND
	;;#ASMSTART
	v_dot2_f32_f16 v70, v79, v87, v70
	;;#ASMEND
	;;#ASMSTART
	v_dot2_f32_f16 v70, v80, v88, v70
	;;#ASMEND
	;; [unrolled: 13-line block ×5, first 2 shown]
	;;#ASMSTART
	v_dot2_f32_f16 v71, v97, v85, v71
	;;#ASMEND
	;;#ASMSTART
	v_dot2_f32_f16 v71, v98, v86, v71
	;;#ASMEND
	;; [unrolled: 3-line block ×12, first 2 shown]
	s_wait_dscnt 0x1
	;;#ASMSTART
	v_dot2_f32_f16 v75, v101, v81, v75
	;;#ASMEND
	;;#ASMSTART
	v_dot2_f32_f16 v75, v102, v82, v75
	;;#ASMEND
	;; [unrolled: 3-line block ×16, first 2 shown]
	s_wait_dscnt 0x0
	;;#ASMSTART
	v_dot2_f32_f16 v76, v105, v81, v76
	;;#ASMEND
	;;#ASMSTART
	v_dot2_f32_f16 v76, v106, v82, v76
	;;#ASMEND
	;; [unrolled: 3-line block ×16, first 2 shown]
	ds_load_b128 v[77:80], v37 offset:80
	ds_load_b128 v[81:84], v36 offset:80
	;; [unrolled: 1-line block ×8, first 2 shown]
	s_wait_dscnt 0x6
	;;#ASMSTART
	v_dot2_f32_f16 v61, v77, v81, v61
	;;#ASMEND
	;;#ASMSTART
	v_dot2_f32_f16 v61, v78, v82, v61
	;;#ASMEND
	;;#ASMSTART
	v_dot2_f32_f16 v61, v79, v83, v61
	;;#ASMEND
	;;#ASMSTART
	v_dot2_f32_f16 v61, v80, v84, v61
	;;#ASMEND
	s_wait_dscnt 0x5
	;;#ASMSTART
	v_dot2_f32_f16 v70, v77, v85, v70
	;;#ASMEND
	;;#ASMSTART
	v_dot2_f32_f16 v70, v78, v86, v70
	;;#ASMEND
	;;#ASMSTART
	v_dot2_f32_f16 v70, v79, v87, v70
	;;#ASMEND
	;;#ASMSTART
	v_dot2_f32_f16 v70, v80, v88, v70
	;;#ASMEND
	;; [unrolled: 13-line block ×5, first 2 shown]
	;;#ASMSTART
	v_dot2_f32_f16 v71, v97, v85, v71
	;;#ASMEND
	;;#ASMSTART
	v_dot2_f32_f16 v71, v98, v86, v71
	;;#ASMEND
	;; [unrolled: 3-line block ×12, first 2 shown]
	s_wait_dscnt 0x1
	;;#ASMSTART
	v_dot2_f32_f16 v75, v101, v81, v75
	;;#ASMEND
	;;#ASMSTART
	v_dot2_f32_f16 v75, v102, v82, v75
	;;#ASMEND
	;; [unrolled: 3-line block ×16, first 2 shown]
	s_wait_dscnt 0x0
	;;#ASMSTART
	v_dot2_f32_f16 v76, v105, v81, v76
	;;#ASMEND
	;;#ASMSTART
	v_dot2_f32_f16 v76, v106, v82, v76
	;;#ASMEND
	;; [unrolled: 3-line block ×16, first 2 shown]
	ds_load_b128 v[77:80], v37 offset:96
	ds_load_b128 v[81:84], v36 offset:96
	;; [unrolled: 1-line block ×8, first 2 shown]
	s_wait_dscnt 0x6
	;;#ASMSTART
	v_dot2_f32_f16 v61, v77, v81, v61
	;;#ASMEND
	;;#ASMSTART
	v_dot2_f32_f16 v61, v78, v82, v61
	;;#ASMEND
	;;#ASMSTART
	v_dot2_f32_f16 v61, v79, v83, v61
	;;#ASMEND
	;;#ASMSTART
	v_dot2_f32_f16 v61, v80, v84, v61
	;;#ASMEND
	s_wait_dscnt 0x5
	;;#ASMSTART
	v_dot2_f32_f16 v70, v77, v85, v70
	;;#ASMEND
	;;#ASMSTART
	v_dot2_f32_f16 v70, v78, v86, v70
	;;#ASMEND
	;;#ASMSTART
	v_dot2_f32_f16 v70, v79, v87, v70
	;;#ASMEND
	;;#ASMSTART
	v_dot2_f32_f16 v70, v80, v88, v70
	;;#ASMEND
	;; [unrolled: 13-line block ×5, first 2 shown]
	;;#ASMSTART
	v_dot2_f32_f16 v71, v97, v85, v71
	;;#ASMEND
	;;#ASMSTART
	v_dot2_f32_f16 v71, v98, v86, v71
	;;#ASMEND
	;; [unrolled: 3-line block ×12, first 2 shown]
	s_wait_dscnt 0x1
	;;#ASMSTART
	v_dot2_f32_f16 v75, v101, v81, v75
	;;#ASMEND
	;;#ASMSTART
	v_dot2_f32_f16 v75, v102, v82, v75
	;;#ASMEND
	;; [unrolled: 3-line block ×16, first 2 shown]
	s_wait_dscnt 0x0
	;;#ASMSTART
	v_dot2_f32_f16 v76, v105, v81, v76
	;;#ASMEND
	;;#ASMSTART
	v_dot2_f32_f16 v76, v106, v82, v76
	;;#ASMEND
	;; [unrolled: 3-line block ×16, first 2 shown]
	ds_load_b128 v[77:80], v37 offset:112
	ds_load_b128 v[81:84], v36 offset:112
	;; [unrolled: 1-line block ×8, first 2 shown]
	s_wait_dscnt 0x6
	;;#ASMSTART
	v_dot2_f32_f16 v61, v77, v81, v61
	;;#ASMEND
	;;#ASMSTART
	v_dot2_f32_f16 v61, v78, v82, v61
	;;#ASMEND
	;;#ASMSTART
	v_dot2_f32_f16 v61, v79, v83, v61
	;;#ASMEND
	;;#ASMSTART
	v_dot2_f32_f16 v61, v80, v84, v61
	;;#ASMEND
	s_wait_dscnt 0x5
	;;#ASMSTART
	v_dot2_f32_f16 v70, v77, v85, v70
	;;#ASMEND
	;;#ASMSTART
	v_dot2_f32_f16 v70, v78, v86, v70
	;;#ASMEND
	;;#ASMSTART
	v_dot2_f32_f16 v70, v79, v87, v70
	;;#ASMEND
	;;#ASMSTART
	v_dot2_f32_f16 v70, v80, v88, v70
	;;#ASMEND
	;; [unrolled: 13-line block ×5, first 2 shown]
	;;#ASMSTART
	v_dot2_f32_f16 v71, v97, v85, v71
	;;#ASMEND
	;;#ASMSTART
	v_dot2_f32_f16 v71, v98, v86, v71
	;;#ASMEND
	;; [unrolled: 3-line block ×12, first 2 shown]
	s_wait_dscnt 0x1
	;;#ASMSTART
	v_dot2_f32_f16 v75, v101, v81, v75
	;;#ASMEND
	;;#ASMSTART
	v_dot2_f32_f16 v75, v102, v82, v75
	;;#ASMEND
	;; [unrolled: 3-line block ×16, first 2 shown]
	s_wait_dscnt 0x0
	;;#ASMSTART
	v_dot2_f32_f16 v76, v105, v81, v76
	;;#ASMEND
	;;#ASMSTART
	v_dot2_f32_f16 v76, v106, v82, v76
	;;#ASMEND
	;; [unrolled: 3-line block ×16, first 2 shown]
	s_wait_loadcnt 0x0
	s_barrier_signal -1
	s_barrier_wait -1
	global_inv scope:SCOPE_SE
	s_clause 0x3
	global_load_b128 v[77:80], v[0:1], off offset:128
	global_load_b128 v[0:3], v[2:3], off offset:128
	;; [unrolled: 1-line block ×4, first 2 shown]
	s_wait_loadcnt 0x3
	ds_store_b128 v32, v[77:80]
	s_wait_loadcnt 0x2
	ds_store_b128 v33, v[0:3]
	;; [unrolled: 2-line block ×4, first 2 shown]
	s_wait_dscnt 0x0
	s_barrier_signal -1
	s_barrier_wait -1
	global_inv scope:SCOPE_SE
	ds_load_b128 v[0:3], v37
	ds_load_b128 v[24:27], v36 offset:128
	ds_load_b128 v[77:80], v36 offset:384
	;; [unrolled: 1-line block ×7, first 2 shown]
	s_wait_dscnt 0x6
	;;#ASMSTART
	v_dot2_f32_f16 v61, v0, v24, v61
	;;#ASMEND
	;;#ASMSTART
	v_dot2_f32_f16 v61, v1, v25, v61
	;;#ASMEND
	;;#ASMSTART
	v_dot2_f32_f16 v61, v2, v26, v61
	;;#ASMEND
	;;#ASMSTART
	v_dot2_f32_f16 v61, v3, v27, v61
	;;#ASMEND
	s_wait_dscnt 0x5
	;;#ASMSTART
	v_dot2_f32_f16 v70, v0, v77, v70
	;;#ASMEND
	;;#ASMSTART
	v_dot2_f32_f16 v70, v1, v78, v70
	;;#ASMEND
	;;#ASMSTART
	v_dot2_f32_f16 v70, v2, v79, v70
	;;#ASMEND
	;;#ASMSTART
	v_dot2_f32_f16 v70, v3, v80, v70
	;;#ASMEND
	;; [unrolled: 13-line block ×5, first 2 shown]
	;;#ASMSTART
	v_dot2_f32_f16 v71, v89, v77, v71
	;;#ASMEND
	;;#ASMSTART
	v_dot2_f32_f16 v71, v90, v78, v71
	;;#ASMEND
	;; [unrolled: 3-line block ×12, first 2 shown]
	s_wait_dscnt 0x1
	;;#ASMSTART
	v_dot2_f32_f16 v75, v93, v24, v75
	;;#ASMEND
	;;#ASMSTART
	v_dot2_f32_f16 v75, v94, v25, v75
	;;#ASMEND
	;; [unrolled: 3-line block ×16, first 2 shown]
	s_wait_dscnt 0x0
	;;#ASMSTART
	v_dot2_f32_f16 v76, v97, v24, v76
	;;#ASMEND
	;;#ASMSTART
	v_dot2_f32_f16 v76, v98, v25, v76
	;;#ASMEND
	;; [unrolled: 3-line block ×16, first 2 shown]
	ds_load_b128 v[0:3], v37 offset:16
	ds_load_b128 v[24:27], v36 offset:144
	;; [unrolled: 1-line block ×8, first 2 shown]
	s_wait_dscnt 0x6
	;;#ASMSTART
	v_dot2_f32_f16 v61, v0, v24, v61
	;;#ASMEND
	;;#ASMSTART
	v_dot2_f32_f16 v61, v1, v25, v61
	;;#ASMEND
	;;#ASMSTART
	v_dot2_f32_f16 v61, v2, v26, v61
	;;#ASMEND
	;;#ASMSTART
	v_dot2_f32_f16 v61, v3, v27, v61
	;;#ASMEND
	s_wait_dscnt 0x5
	;;#ASMSTART
	v_dot2_f32_f16 v70, v0, v77, v70
	;;#ASMEND
	;;#ASMSTART
	v_dot2_f32_f16 v70, v1, v78, v70
	;;#ASMEND
	;;#ASMSTART
	v_dot2_f32_f16 v70, v2, v79, v70
	;;#ASMEND
	;;#ASMSTART
	v_dot2_f32_f16 v70, v3, v80, v70
	;;#ASMEND
	;; [unrolled: 13-line block ×5, first 2 shown]
	;;#ASMSTART
	v_dot2_f32_f16 v71, v89, v77, v71
	;;#ASMEND
	;;#ASMSTART
	v_dot2_f32_f16 v71, v90, v78, v71
	;;#ASMEND
	;; [unrolled: 3-line block ×12, first 2 shown]
	s_wait_dscnt 0x1
	;;#ASMSTART
	v_dot2_f32_f16 v75, v93, v24, v75
	;;#ASMEND
	;;#ASMSTART
	v_dot2_f32_f16 v75, v94, v25, v75
	;;#ASMEND
	;; [unrolled: 3-line block ×16, first 2 shown]
	s_wait_dscnt 0x0
	;;#ASMSTART
	v_dot2_f32_f16 v76, v97, v24, v76
	;;#ASMEND
	;;#ASMSTART
	v_dot2_f32_f16 v76, v98, v25, v76
	;;#ASMEND
	;; [unrolled: 3-line block ×16, first 2 shown]
	ds_load_b128 v[0:3], v37 offset:32
	ds_load_b128 v[24:27], v36 offset:160
	;; [unrolled: 1-line block ×8, first 2 shown]
	s_wait_dscnt 0x6
	;;#ASMSTART
	v_dot2_f32_f16 v61, v0, v24, v61
	;;#ASMEND
	;;#ASMSTART
	v_dot2_f32_f16 v61, v1, v25, v61
	;;#ASMEND
	;;#ASMSTART
	v_dot2_f32_f16 v61, v2, v26, v61
	;;#ASMEND
	;;#ASMSTART
	v_dot2_f32_f16 v61, v3, v27, v61
	;;#ASMEND
	s_wait_dscnt 0x5
	;;#ASMSTART
	v_dot2_f32_f16 v70, v0, v77, v70
	;;#ASMEND
	;;#ASMSTART
	v_dot2_f32_f16 v70, v1, v78, v70
	;;#ASMEND
	;;#ASMSTART
	v_dot2_f32_f16 v70, v2, v79, v70
	;;#ASMEND
	;;#ASMSTART
	v_dot2_f32_f16 v70, v3, v80, v70
	;;#ASMEND
	;; [unrolled: 13-line block ×5, first 2 shown]
	;;#ASMSTART
	v_dot2_f32_f16 v71, v89, v77, v71
	;;#ASMEND
	;;#ASMSTART
	v_dot2_f32_f16 v71, v90, v78, v71
	;;#ASMEND
	;; [unrolled: 3-line block ×12, first 2 shown]
	s_wait_dscnt 0x1
	;;#ASMSTART
	v_dot2_f32_f16 v75, v93, v24, v75
	;;#ASMEND
	;;#ASMSTART
	v_dot2_f32_f16 v75, v94, v25, v75
	;;#ASMEND
	;; [unrolled: 3-line block ×16, first 2 shown]
	s_wait_dscnt 0x0
	;;#ASMSTART
	v_dot2_f32_f16 v76, v97, v24, v76
	;;#ASMEND
	;;#ASMSTART
	v_dot2_f32_f16 v76, v98, v25, v76
	;;#ASMEND
	;; [unrolled: 3-line block ×16, first 2 shown]
	ds_load_b128 v[0:3], v37 offset:48
	ds_load_b128 v[24:27], v36 offset:176
	;; [unrolled: 1-line block ×8, first 2 shown]
	s_wait_dscnt 0x6
	;;#ASMSTART
	v_dot2_f32_f16 v61, v0, v24, v61
	;;#ASMEND
	;;#ASMSTART
	v_dot2_f32_f16 v61, v1, v25, v61
	;;#ASMEND
	;;#ASMSTART
	v_dot2_f32_f16 v61, v2, v26, v61
	;;#ASMEND
	;;#ASMSTART
	v_dot2_f32_f16 v61, v3, v27, v61
	;;#ASMEND
	s_wait_dscnt 0x5
	;;#ASMSTART
	v_dot2_f32_f16 v70, v0, v77, v70
	;;#ASMEND
	;;#ASMSTART
	v_dot2_f32_f16 v70, v1, v78, v70
	;;#ASMEND
	;;#ASMSTART
	v_dot2_f32_f16 v70, v2, v79, v70
	;;#ASMEND
	;;#ASMSTART
	v_dot2_f32_f16 v70, v3, v80, v70
	;;#ASMEND
	;; [unrolled: 13-line block ×5, first 2 shown]
	;;#ASMSTART
	v_dot2_f32_f16 v71, v89, v77, v71
	;;#ASMEND
	;;#ASMSTART
	v_dot2_f32_f16 v71, v90, v78, v71
	;;#ASMEND
	;; [unrolled: 3-line block ×12, first 2 shown]
	s_wait_dscnt 0x1
	;;#ASMSTART
	v_dot2_f32_f16 v75, v93, v24, v75
	;;#ASMEND
	;;#ASMSTART
	v_dot2_f32_f16 v75, v94, v25, v75
	;;#ASMEND
	;;#ASMSTART
	v_dot2_f32_f16 v75, v95, v26, v75
	;;#ASMEND
	;;#ASMSTART
	v_dot2_f32_f16 v75, v96, v27, v75
	;;#ASMEND
	;;#ASMSTART
	v_dot2_f32_f16 v72, v93, v77, v72
	;;#ASMEND
	;;#ASMSTART
	v_dot2_f32_f16 v72, v94, v78, v72
	;;#ASMEND
	;;#ASMSTART
	v_dot2_f32_f16 v72, v95, v79, v72
	;;#ASMEND
	;;#ASMSTART
	v_dot2_f32_f16 v72, v96, v80, v72
	;;#ASMEND
	;;#ASMSTART
	v_dot2_f32_f16 v68, v93, v81, v68
	;;#ASMEND
	;;#ASMSTART
	v_dot2_f32_f16 v68, v94, v82, v68
	;;#ASMEND
	;;#ASMSTART
	v_dot2_f32_f16 v68, v95, v83, v68
	;;#ASMEND
	;;#ASMSTART
	v_dot2_f32_f16 v68, v96, v84, v68
	;;#ASMEND
	;;#ASMSTART
	v_dot2_f32_f16 v64, v93, v85, v64
	;;#ASMEND
	;;#ASMSTART
	v_dot2_f32_f16 v64, v94, v86, v64
	;;#ASMEND
	;;#ASMSTART
	v_dot2_f32_f16 v64, v95, v87, v64
	;;#ASMEND
	;;#ASMSTART
	v_dot2_f32_f16 v64, v96, v88, v64
	;;#ASMEND
	s_wait_dscnt 0x0
	;;#ASMSTART
	v_dot2_f32_f16 v76, v97, v24, v76
	;;#ASMEND
	;;#ASMSTART
	v_dot2_f32_f16 v76, v98, v25, v76
	;;#ASMEND
	;; [unrolled: 3-line block ×16, first 2 shown]
	ds_load_b128 v[0:3], v37 offset:64
	ds_load_b128 v[24:27], v36 offset:192
	ds_load_b128 v[77:80], v36 offset:448
	ds_load_b128 v[81:84], v36 offset:704
	ds_load_b128 v[85:88], v36 offset:960
	ds_load_b128 v[89:92], v37 offset:4672
	ds_load_b128 v[93:96], v37 offset:9280
	ds_load_b128 v[97:100], v37 offset:13888
	s_wait_dscnt 0x6
	;;#ASMSTART
	v_dot2_f32_f16 v61, v0, v24, v61
	;;#ASMEND
	;;#ASMSTART
	v_dot2_f32_f16 v61, v1, v25, v61
	;;#ASMEND
	;;#ASMSTART
	v_dot2_f32_f16 v61, v2, v26, v61
	;;#ASMEND
	;;#ASMSTART
	v_dot2_f32_f16 v61, v3, v27, v61
	;;#ASMEND
	s_wait_dscnt 0x5
	;;#ASMSTART
	v_dot2_f32_f16 v70, v0, v77, v70
	;;#ASMEND
	;;#ASMSTART
	v_dot2_f32_f16 v70, v1, v78, v70
	;;#ASMEND
	;;#ASMSTART
	v_dot2_f32_f16 v70, v2, v79, v70
	;;#ASMEND
	;;#ASMSTART
	v_dot2_f32_f16 v70, v3, v80, v70
	;;#ASMEND
	;; [unrolled: 13-line block ×5, first 2 shown]
	;;#ASMSTART
	v_dot2_f32_f16 v71, v89, v77, v71
	;;#ASMEND
	;;#ASMSTART
	v_dot2_f32_f16 v71, v90, v78, v71
	;;#ASMEND
	;; [unrolled: 3-line block ×12, first 2 shown]
	s_wait_dscnt 0x1
	;;#ASMSTART
	v_dot2_f32_f16 v75, v93, v24, v75
	;;#ASMEND
	;;#ASMSTART
	v_dot2_f32_f16 v75, v94, v25, v75
	;;#ASMEND
	;; [unrolled: 3-line block ×16, first 2 shown]
	s_wait_dscnt 0x0
	;;#ASMSTART
	v_dot2_f32_f16 v76, v97, v24, v76
	;;#ASMEND
	;;#ASMSTART
	v_dot2_f32_f16 v76, v98, v25, v76
	;;#ASMEND
	;; [unrolled: 3-line block ×16, first 2 shown]
	ds_load_b128 v[0:3], v37 offset:80
	ds_load_b128 v[24:27], v36 offset:208
	;; [unrolled: 1-line block ×8, first 2 shown]
	s_wait_dscnt 0x6
	;;#ASMSTART
	v_dot2_f32_f16 v61, v0, v24, v61
	;;#ASMEND
	;;#ASMSTART
	v_dot2_f32_f16 v61, v1, v25, v61
	;;#ASMEND
	;;#ASMSTART
	v_dot2_f32_f16 v61, v2, v26, v61
	;;#ASMEND
	;;#ASMSTART
	v_dot2_f32_f16 v61, v3, v27, v61
	;;#ASMEND
	s_wait_dscnt 0x5
	;;#ASMSTART
	v_dot2_f32_f16 v70, v0, v77, v70
	;;#ASMEND
	;;#ASMSTART
	v_dot2_f32_f16 v70, v1, v78, v70
	;;#ASMEND
	;;#ASMSTART
	v_dot2_f32_f16 v70, v2, v79, v70
	;;#ASMEND
	;;#ASMSTART
	v_dot2_f32_f16 v70, v3, v80, v70
	;;#ASMEND
	;; [unrolled: 13-line block ×5, first 2 shown]
	;;#ASMSTART
	v_dot2_f32_f16 v71, v89, v77, v71
	;;#ASMEND
	;;#ASMSTART
	v_dot2_f32_f16 v71, v90, v78, v71
	;;#ASMEND
	;; [unrolled: 3-line block ×12, first 2 shown]
	s_wait_dscnt 0x1
	;;#ASMSTART
	v_dot2_f32_f16 v75, v93, v24, v75
	;;#ASMEND
	;;#ASMSTART
	v_dot2_f32_f16 v75, v94, v25, v75
	;;#ASMEND
	;;#ASMSTART
	v_dot2_f32_f16 v75, v95, v26, v75
	;;#ASMEND
	;;#ASMSTART
	v_dot2_f32_f16 v75, v96, v27, v75
	;;#ASMEND
	;;#ASMSTART
	v_dot2_f32_f16 v72, v93, v77, v72
	;;#ASMEND
	;;#ASMSTART
	v_dot2_f32_f16 v72, v94, v78, v72
	;;#ASMEND
	;;#ASMSTART
	v_dot2_f32_f16 v72, v95, v79, v72
	;;#ASMEND
	;;#ASMSTART
	v_dot2_f32_f16 v72, v96, v80, v72
	;;#ASMEND
	;;#ASMSTART
	v_dot2_f32_f16 v68, v93, v81, v68
	;;#ASMEND
	;;#ASMSTART
	v_dot2_f32_f16 v68, v94, v82, v68
	;;#ASMEND
	;;#ASMSTART
	v_dot2_f32_f16 v68, v95, v83, v68
	;;#ASMEND
	;;#ASMSTART
	v_dot2_f32_f16 v68, v96, v84, v68
	;;#ASMEND
	;;#ASMSTART
	v_dot2_f32_f16 v64, v93, v85, v64
	;;#ASMEND
	;;#ASMSTART
	v_dot2_f32_f16 v64, v94, v86, v64
	;;#ASMEND
	;;#ASMSTART
	v_dot2_f32_f16 v64, v95, v87, v64
	;;#ASMEND
	;;#ASMSTART
	v_dot2_f32_f16 v64, v96, v88, v64
	;;#ASMEND
	s_wait_dscnt 0x0
	;;#ASMSTART
	v_dot2_f32_f16 v76, v97, v24, v76
	;;#ASMEND
	;;#ASMSTART
	v_dot2_f32_f16 v76, v98, v25, v76
	;;#ASMEND
	;; [unrolled: 3-line block ×16, first 2 shown]
	ds_load_b128 v[0:3], v37 offset:96
	ds_load_b128 v[24:27], v36 offset:224
	;; [unrolled: 1-line block ×8, first 2 shown]
	s_wait_dscnt 0x6
	;;#ASMSTART
	v_dot2_f32_f16 v61, v0, v24, v61
	;;#ASMEND
	;;#ASMSTART
	v_dot2_f32_f16 v61, v1, v25, v61
	;;#ASMEND
	;;#ASMSTART
	v_dot2_f32_f16 v61, v2, v26, v61
	;;#ASMEND
	;;#ASMSTART
	v_dot2_f32_f16 v61, v3, v27, v61
	;;#ASMEND
	s_wait_dscnt 0x5
	;;#ASMSTART
	v_dot2_f32_f16 v70, v0, v77, v70
	;;#ASMEND
	;;#ASMSTART
	v_dot2_f32_f16 v70, v1, v78, v70
	;;#ASMEND
	;;#ASMSTART
	v_dot2_f32_f16 v70, v2, v79, v70
	;;#ASMEND
	;;#ASMSTART
	v_dot2_f32_f16 v70, v3, v80, v70
	;;#ASMEND
	;; [unrolled: 13-line block ×5, first 2 shown]
	;;#ASMSTART
	v_dot2_f32_f16 v71, v89, v77, v71
	;;#ASMEND
	;;#ASMSTART
	v_dot2_f32_f16 v71, v90, v78, v71
	;;#ASMEND
	;; [unrolled: 3-line block ×12, first 2 shown]
	s_wait_dscnt 0x1
	;;#ASMSTART
	v_dot2_f32_f16 v75, v93, v24, v75
	;;#ASMEND
	;;#ASMSTART
	v_dot2_f32_f16 v75, v94, v25, v75
	;;#ASMEND
	;; [unrolled: 3-line block ×16, first 2 shown]
	s_wait_dscnt 0x0
	;;#ASMSTART
	v_dot2_f32_f16 v76, v97, v24, v76
	;;#ASMEND
	;;#ASMSTART
	v_dot2_f32_f16 v76, v98, v25, v76
	;;#ASMEND
	;; [unrolled: 3-line block ×16, first 2 shown]
	ds_load_b128 v[0:3], v37 offset:112
	ds_load_b128 v[24:27], v36 offset:240
	;; [unrolled: 1-line block ×8, first 2 shown]
	s_wait_dscnt 0x6
	;;#ASMSTART
	v_dot2_f32_f16 v61, v0, v24, v61
	;;#ASMEND
	;;#ASMSTART
	v_dot2_f32_f16 v61, v1, v25, v61
	;;#ASMEND
	;;#ASMSTART
	v_dot2_f32_f16 v61, v2, v26, v61
	;;#ASMEND
	;;#ASMSTART
	v_dot2_f32_f16 v61, v3, v27, v61
	;;#ASMEND
	s_wait_dscnt 0x5
	;;#ASMSTART
	v_dot2_f32_f16 v70, v0, v77, v70
	;;#ASMEND
	;;#ASMSTART
	v_dot2_f32_f16 v70, v1, v78, v70
	;;#ASMEND
	;;#ASMSTART
	v_dot2_f32_f16 v70, v2, v79, v70
	;;#ASMEND
	;;#ASMSTART
	v_dot2_f32_f16 v70, v3, v80, v70
	;;#ASMEND
	;; [unrolled: 13-line block ×5, first 2 shown]
	;;#ASMSTART
	v_dot2_f32_f16 v71, v89, v77, v71
	;;#ASMEND
	;;#ASMSTART
	v_dot2_f32_f16 v71, v90, v78, v71
	;;#ASMEND
	;; [unrolled: 3-line block ×12, first 2 shown]
	s_wait_dscnt 0x1
	;;#ASMSTART
	v_dot2_f32_f16 v75, v93, v24, v75
	;;#ASMEND
	;;#ASMSTART
	v_dot2_f32_f16 v75, v94, v25, v75
	;;#ASMEND
	;; [unrolled: 3-line block ×16, first 2 shown]
	s_wait_dscnt 0x0
	;;#ASMSTART
	v_dot2_f32_f16 v76, v97, v24, v76
	;;#ASMEND
	;;#ASMSTART
	v_dot2_f32_f16 v76, v98, v25, v76
	;;#ASMEND
	;; [unrolled: 3-line block ×9, first 2 shown]
	v_cmp_ngt_f32_e64 s26, 0x3f200000, |v61|
	;;#ASMSTART
	v_dot2_f32_f16 v69, v98, v82, v69
	;;#ASMEND
	;;#ASMSTART
	v_dot2_f32_f16 v69, v99, v83, v69
	;;#ASMEND
	;; [unrolled: 3-line block ×7, first 2 shown]
                                        ; implicit-def: $vgpr2
	s_and_saveexec_b32 s27, s26
	s_wait_alu 0xfffe
	s_xor_b32 s26, exec_lo, s27
	s_cbranch_execz .LBB72_11
; %bb.10:                               ;   in Loop: Header=BB72_9 Depth=1
	v_add_f32_e64 v0, |v61|, |v61|
	s_delay_alu instid0(VALU_DEP_1) | instskip(SKIP_1) | instid1(VALU_DEP_2)
	v_mul_f32_e32 v1, 0x3fb8aa3b, v0
	v_cmp_ngt_f32_e32 vcc_lo, 0xc2ce8ed0, v0
	v_rndne_f32_e32 v2, v1
	v_fma_f32 v3, 0x3fb8aa3b, v0, -v1
	s_delay_alu instid0(VALU_DEP_2) | instskip(NEXT) | instid1(VALU_DEP_2)
	v_sub_f32_e32 v1, v1, v2
	v_fmac_f32_e32 v3, 0x32a5705f, v0
	v_cvt_i32_f32_e32 v2, v2
	s_delay_alu instid0(VALU_DEP_2) | instskip(NEXT) | instid1(VALU_DEP_1)
	v_add_f32_e32 v1, v1, v3
	v_exp_f32_e32 v1, v1
	s_delay_alu instid0(TRANS32_DEP_1) | instskip(SKIP_1) | instid1(VALU_DEP_1)
	v_ldexp_f32 v1, v1, v2
	s_wait_alu 0xfffd
	v_cndmask_b32_e32 v1, 0, v1, vcc_lo
	v_cmp_nlt_f32_e32 vcc_lo, 0x42b17218, v0
	s_wait_alu 0xfffd
	s_delay_alu instid0(VALU_DEP_2) | instskip(NEXT) | instid1(VALU_DEP_1)
	v_cndmask_b32_e32 v0, 0x7f800000, v1, vcc_lo
	v_add_f32_e32 v0, 1.0, v0
	s_delay_alu instid0(VALU_DEP_1) | instskip(NEXT) | instid1(TRANS32_DEP_1)
	v_rcp_f32_e32 v0, v0
	v_fma_f32 v2, v0, -2.0, 1.0
.LBB72_11:                              ;   in Loop: Header=BB72_9 Depth=1
	s_wait_alu 0xfffe
	s_and_not1_saveexec_b32 s26, s26
	s_cbranch_execz .LBB72_13
; %bb.12:                               ;   in Loop: Header=BB72_9 Depth=1
	v_mul_f32_e32 v0, v61, v61
	s_delay_alu instid0(VALU_DEP_1) | instskip(NEXT) | instid1(VALU_DEP_1)
	v_fmaak_f32 v1, s3, v0, 0x3ca908c9
	v_fmaak_f32 v1, v0, v1, 0xbd5c1c4e
	s_delay_alu instid0(VALU_DEP_1) | instskip(NEXT) | instid1(VALU_DEP_1)
	v_fmaak_f32 v1, v0, v1, 0x3e088382
	v_fmaak_f32 v1, v0, v1, 0xbeaaaa99
	s_delay_alu instid0(VALU_DEP_1) | instskip(NEXT) | instid1(VALU_DEP_1)
	v_mul_f32_e64 v1, |v61|, v1
	v_fma_f32 v2, v0, v1, |v61|
.LBB72_13:                              ;   in Loop: Header=BB72_9 Depth=1
	s_wait_alu 0xfffe
	s_or_b32 exec_lo, exec_lo, s26
	v_add_nc_u32_e32 v0, s10, v4
	v_cmp_ngt_f32_e64 s26, 0x3f200000, |v74|
                                        ; implicit-def: $vgpr3
	s_delay_alu instid0(VALU_DEP_2) | instskip(NEXT) | instid1(VALU_DEP_1)
	v_ashrrev_i32_e32 v1, 31, v0
	v_lshlrev_b64_e32 v[0:1], 1, v[0:1]
	s_delay_alu instid0(VALU_DEP_1) | instskip(SKIP_1) | instid1(VALU_DEP_2)
	v_add_co_u32 v0, vcc_lo, s30, v0
	s_wait_alu 0xfffd
	v_add_co_ci_u32_e64 v1, null, s31, v1, vcc_lo
	global_load_u16 v83, v[0:1], off
	s_and_saveexec_b32 s27, s26
	s_wait_alu 0xfffe
	s_xor_b32 s26, exec_lo, s27
	s_cbranch_execz .LBB72_15
; %bb.14:                               ;   in Loop: Header=BB72_9 Depth=1
	v_add_f32_e64 v3, |v74|, |v74|
	s_delay_alu instid0(VALU_DEP_1) | instskip(SKIP_1) | instid1(VALU_DEP_2)
	v_mul_f32_e32 v24, 0x3fb8aa3b, v3
	v_cmp_ngt_f32_e32 vcc_lo, 0xc2ce8ed0, v3
	v_rndne_f32_e32 v25, v24
	v_fma_f32 v26, 0x3fb8aa3b, v3, -v24
	s_delay_alu instid0(VALU_DEP_2) | instskip(NEXT) | instid1(VALU_DEP_2)
	v_sub_f32_e32 v24, v24, v25
	v_fmac_f32_e32 v26, 0x32a5705f, v3
	v_cvt_i32_f32_e32 v25, v25
	s_delay_alu instid0(VALU_DEP_2) | instskip(NEXT) | instid1(VALU_DEP_1)
	v_add_f32_e32 v24, v24, v26
	v_exp_f32_e32 v24, v24
	s_delay_alu instid0(TRANS32_DEP_1) | instskip(SKIP_1) | instid1(VALU_DEP_1)
	v_ldexp_f32 v24, v24, v25
	s_wait_alu 0xfffd
	v_cndmask_b32_e32 v24, 0, v24, vcc_lo
	v_cmp_nlt_f32_e32 vcc_lo, 0x42b17218, v3
	s_wait_alu 0xfffd
	s_delay_alu instid0(VALU_DEP_2) | instskip(NEXT) | instid1(VALU_DEP_1)
	v_cndmask_b32_e32 v3, 0x7f800000, v24, vcc_lo
	v_add_f32_e32 v3, 1.0, v3
	s_delay_alu instid0(VALU_DEP_1) | instskip(NEXT) | instid1(TRANS32_DEP_1)
	v_rcp_f32_e32 v3, v3
	v_fma_f32 v3, v3, -2.0, 1.0
.LBB72_15:                              ;   in Loop: Header=BB72_9 Depth=1
	s_wait_alu 0xfffe
	s_and_not1_saveexec_b32 s26, s26
	s_cbranch_execz .LBB72_17
; %bb.16:                               ;   in Loop: Header=BB72_9 Depth=1
	v_mul_f32_e32 v3, v74, v74
	s_delay_alu instid0(VALU_DEP_1) | instskip(NEXT) | instid1(VALU_DEP_1)
	v_fmaak_f32 v24, s3, v3, 0x3ca908c9
	v_fmaak_f32 v24, v3, v24, 0xbd5c1c4e
	s_delay_alu instid0(VALU_DEP_1) | instskip(NEXT) | instid1(VALU_DEP_1)
	v_fmaak_f32 v24, v3, v24, 0x3e088382
	v_fmaak_f32 v24, v3, v24, 0xbeaaaa99
	s_delay_alu instid0(VALU_DEP_1) | instskip(NEXT) | instid1(VALU_DEP_1)
	v_mul_f32_e64 v24, |v74|, v24
	v_fma_f32 v3, v3, v24, |v74|
.LBB72_17:                              ;   in Loop: Header=BB72_9 Depth=1
	s_wait_alu 0xfffe
	s_or_b32 exec_lo, exec_lo, s26
	global_load_u16 v84, v[0:1], off offset:64
	v_cmp_ngt_f32_e64 s26, 0x3f200000, |v75|
                                        ; implicit-def: $vgpr24
	s_and_saveexec_b32 s27, s26
	s_wait_alu 0xfffe
	s_xor_b32 s26, exec_lo, s27
	s_cbranch_execz .LBB72_19
; %bb.18:                               ;   in Loop: Header=BB72_9 Depth=1
	v_add_f32_e64 v24, |v75|, |v75|
	s_delay_alu instid0(VALU_DEP_1) | instskip(SKIP_1) | instid1(VALU_DEP_2)
	v_mul_f32_e32 v25, 0x3fb8aa3b, v24
	v_cmp_ngt_f32_e32 vcc_lo, 0xc2ce8ed0, v24
	v_rndne_f32_e32 v26, v25
	v_fma_f32 v27, 0x3fb8aa3b, v24, -v25
	s_delay_alu instid0(VALU_DEP_2) | instskip(NEXT) | instid1(VALU_DEP_2)
	v_sub_f32_e32 v25, v25, v26
	v_fmac_f32_e32 v27, 0x32a5705f, v24
	v_cvt_i32_f32_e32 v26, v26
	s_delay_alu instid0(VALU_DEP_2) | instskip(NEXT) | instid1(VALU_DEP_1)
	v_add_f32_e32 v25, v25, v27
	v_exp_f32_e32 v25, v25
	s_delay_alu instid0(TRANS32_DEP_1) | instskip(SKIP_1) | instid1(VALU_DEP_1)
	v_ldexp_f32 v25, v25, v26
	s_wait_alu 0xfffd
	v_cndmask_b32_e32 v25, 0, v25, vcc_lo
	v_cmp_nlt_f32_e32 vcc_lo, 0x42b17218, v24
	s_wait_alu 0xfffd
	s_delay_alu instid0(VALU_DEP_2) | instskip(NEXT) | instid1(VALU_DEP_1)
	v_cndmask_b32_e32 v24, 0x7f800000, v25, vcc_lo
	v_add_f32_e32 v24, 1.0, v24
	s_delay_alu instid0(VALU_DEP_1) | instskip(NEXT) | instid1(TRANS32_DEP_1)
	v_rcp_f32_e32 v24, v24
	v_fma_f32 v24, v24, -2.0, 1.0
.LBB72_19:                              ;   in Loop: Header=BB72_9 Depth=1
	s_wait_alu 0xfffe
	s_and_not1_saveexec_b32 s26, s26
	s_cbranch_execz .LBB72_21
; %bb.20:                               ;   in Loop: Header=BB72_9 Depth=1
	v_mul_f32_e32 v24, v75, v75
	s_delay_alu instid0(VALU_DEP_1) | instskip(NEXT) | instid1(VALU_DEP_1)
	v_fmaak_f32 v25, s3, v24, 0x3ca908c9
	v_fmaak_f32 v25, v24, v25, 0xbd5c1c4e
	s_delay_alu instid0(VALU_DEP_1) | instskip(NEXT) | instid1(VALU_DEP_1)
	v_fmaak_f32 v25, v24, v25, 0x3e088382
	v_fmaak_f32 v25, v24, v25, 0xbeaaaa99
	s_delay_alu instid0(VALU_DEP_1) | instskip(NEXT) | instid1(VALU_DEP_1)
	v_mul_f32_e64 v25, |v75|, v25
	v_fma_f32 v24, v24, v25, |v75|
.LBB72_21:                              ;   in Loop: Header=BB72_9 Depth=1
	s_wait_alu 0xfffe
	s_or_b32 exec_lo, exec_lo, s26
	global_load_u16 v85, v[0:1], off offset:128
	v_cmp_ngt_f32_e64 s26, 0x3f200000, |v76|
                                        ; implicit-def: $vgpr25
	s_and_saveexec_b32 s27, s26
	s_wait_alu 0xfffe
	s_xor_b32 s26, exec_lo, s27
	s_cbranch_execz .LBB72_23
; %bb.22:                               ;   in Loop: Header=BB72_9 Depth=1
	v_add_f32_e64 v25, |v76|, |v76|
	s_delay_alu instid0(VALU_DEP_1) | instskip(SKIP_1) | instid1(VALU_DEP_2)
	v_mul_f32_e32 v26, 0x3fb8aa3b, v25
	v_cmp_ngt_f32_e32 vcc_lo, 0xc2ce8ed0, v25
	v_rndne_f32_e32 v27, v26
	v_fma_f32 v77, 0x3fb8aa3b, v25, -v26
	s_delay_alu instid0(VALU_DEP_1) | instskip(SKIP_1) | instid1(VALU_DEP_2)
	v_dual_sub_f32 v26, v26, v27 :: v_dual_fmac_f32 v77, 0x32a5705f, v25
	v_cvt_i32_f32_e32 v27, v27
	v_add_f32_e32 v26, v26, v77
	s_delay_alu instid0(VALU_DEP_1) | instskip(NEXT) | instid1(TRANS32_DEP_1)
	v_exp_f32_e32 v26, v26
	v_ldexp_f32 v26, v26, v27
	s_wait_alu 0xfffd
	s_delay_alu instid0(VALU_DEP_1) | instskip(SKIP_2) | instid1(VALU_DEP_2)
	v_cndmask_b32_e32 v26, 0, v26, vcc_lo
	v_cmp_nlt_f32_e32 vcc_lo, 0x42b17218, v25
	s_wait_alu 0xfffd
	v_cndmask_b32_e32 v25, 0x7f800000, v26, vcc_lo
	s_delay_alu instid0(VALU_DEP_1) | instskip(NEXT) | instid1(VALU_DEP_1)
	v_add_f32_e32 v25, 1.0, v25
	v_rcp_f32_e32 v25, v25
	s_delay_alu instid0(TRANS32_DEP_1)
	v_fma_f32 v25, v25, -2.0, 1.0
.LBB72_23:                              ;   in Loop: Header=BB72_9 Depth=1
	s_wait_alu 0xfffe
	s_and_not1_saveexec_b32 s26, s26
	s_cbranch_execz .LBB72_25
; %bb.24:                               ;   in Loop: Header=BB72_9 Depth=1
	v_mul_f32_e32 v25, v76, v76
	s_delay_alu instid0(VALU_DEP_1) | instskip(NEXT) | instid1(VALU_DEP_1)
	v_fmaak_f32 v26, s3, v25, 0x3ca908c9
	v_fmaak_f32 v26, v25, v26, 0xbd5c1c4e
	s_delay_alu instid0(VALU_DEP_1) | instskip(NEXT) | instid1(VALU_DEP_1)
	v_fmaak_f32 v26, v25, v26, 0x3e088382
	v_fmaak_f32 v26, v25, v26, 0xbeaaaa99
	s_delay_alu instid0(VALU_DEP_1) | instskip(NEXT) | instid1(VALU_DEP_1)
	v_mul_f32_e64 v26, |v76|, v26
	v_fma_f32 v25, v25, v26, |v76|
.LBB72_25:                              ;   in Loop: Header=BB72_9 Depth=1
	s_wait_alu 0xfffe
	s_or_b32 exec_lo, exec_lo, s26
	global_load_u16 v86, v[0:1], off offset:192
	v_bfi_b32 v0, 0x7fffffff, v2, v61
	v_bfi_b32 v1, 0x7fffffff, v3, v74
	;; [unrolled: 1-line block ×3, first 2 shown]
	v_xor_b32_e32 v61, 16, v30
	v_xor_b32_e32 v27, 8, v30
	s_wait_loadcnt 0x3
	v_fma_mix_f32 v79, s5, v0, v83 op_sel_hi:[0,0,1]
	s_wait_loadcnt 0x2
	v_fma_mix_f32 v78, s5, v1, v84 op_sel_hi:[0,0,1]
	v_bfi_b32 v0, 0x7fffffff, v24, v75
	v_cmp_gt_i32_e32 vcc_lo, 32, v61
	v_xor_b32_e32 v26, 4, v30
	v_xor_b32_e32 v25, 2, v30
	v_add_f32_e32 v3, 0x40051340, v78
	s_wait_loadcnt 0x1
	v_fma_mix_f32 v80, s5, v0, v85 op_sel_hi:[0,0,1]
	s_wait_alu 0xfffd
	v_dual_add_f32 v1, 0x40051340, v79 :: v_dual_cndmask_b32 v0, v30, v61
	v_cmp_gt_i32_e32 vcc_lo, 32, v27
	v_xor_b32_e32 v24, 1, v30
	v_cmp_ngt_f32_e64 s26, 0x3f200000, |v70|
                                        ; implicit-def: $vgpr75
	s_delay_alu instid0(VALU_DEP_4) | instskip(SKIP_4) | instid1(VALU_DEP_3)
	v_lshlrev_b32_e32 v0, 2, v0
	s_wait_loadcnt 0x0
	v_fma_mix_f32 v81, s5, v2, v86 op_sel_hi:[0,0,1]
	v_add_f32_e32 v2, 0x40051340, v80
	v_max3_num_f32 v1, v60, v1, v3
	v_add_f32_e32 v3, 0x40051340, v81
	s_delay_alu instid0(VALU_DEP_1)
	v_max3_num_f32 v1, v1, v2, v3
	s_wait_alu 0xfffd
	v_cndmask_b32_e32 v3, v30, v27, vcc_lo
	v_cmp_gt_i32_e32 vcc_lo, 32, v26
	ds_bpermute_b32 v2, v0, v1
	s_wait_alu 0xfffd
	v_dual_cndmask_b32 v3, v30, v26 :: v_dual_lshlrev_b32 v82, 2, v3
	v_cmp_gt_i32_e32 vcc_lo, 32, v25
	s_delay_alu instid0(VALU_DEP_2) | instskip(SKIP_4) | instid1(VALU_DEP_2)
	v_lshlrev_b32_e32 v77, 2, v3
	s_wait_alu 0xfffd
	v_cndmask_b32_e32 v3, v30, v25, vcc_lo
	v_cmp_gt_i32_e32 vcc_lo, 32, v24
	s_wait_alu 0xfffd
	v_dual_cndmask_b32 v3, v30, v24 :: v_dual_lshlrev_b32 v74, 2, v3
	s_wait_dscnt 0x0
	s_delay_alu instid0(VALU_DEP_1) | instskip(NEXT) | instid1(VALU_DEP_1)
	v_dual_max_num_f32 v2, v2, v2 :: v_dual_lshlrev_b32 v3, 2, v3
	v_max_num_f32_e32 v1, v1, v2
	ds_bpermute_b32 v2, v82, v1
	s_wait_dscnt 0x0
	v_max_num_f32_e32 v2, v2, v2
	s_delay_alu instid0(VALU_DEP_1) | instskip(SKIP_3) | instid1(VALU_DEP_1)
	v_max_num_f32_e32 v1, v1, v2
	ds_bpermute_b32 v2, v77, v1
	s_wait_dscnt 0x0
	v_max_num_f32_e32 v2, v2, v2
	v_max_num_f32_e32 v1, v1, v2
	ds_bpermute_b32 v2, v74, v1
	s_wait_dscnt 0x0
	v_max_num_f32_e32 v2, v2, v2
	s_delay_alu instid0(VALU_DEP_1)
	v_max_num_f32_e32 v1, v1, v2
	ds_bpermute_b32 v2, v3, v1
	s_and_saveexec_b32 s27, s26
	s_wait_alu 0xfffe
	s_xor_b32 s26, exec_lo, s27
	s_cbranch_execz .LBB72_27
; %bb.26:                               ;   in Loop: Header=BB72_9 Depth=1
	v_add_f32_e64 v75, |v70|, |v70|
	s_delay_alu instid0(VALU_DEP_1) | instskip(SKIP_1) | instid1(VALU_DEP_2)
	v_mul_f32_e32 v76, 0x3fb8aa3b, v75
	v_cmp_ngt_f32_e32 vcc_lo, 0xc2ce8ed0, v75
	v_rndne_f32_e32 v87, v76
	v_fma_f32 v88, 0x3fb8aa3b, v75, -v76
	s_delay_alu instid0(VALU_DEP_2) | instskip(NEXT) | instid1(VALU_DEP_2)
	v_sub_f32_e32 v76, v76, v87
	v_fmac_f32_e32 v88, 0x32a5705f, v75
	v_cvt_i32_f32_e32 v87, v87
	s_delay_alu instid0(VALU_DEP_2) | instskip(NEXT) | instid1(VALU_DEP_1)
	v_add_f32_e32 v76, v76, v88
	v_exp_f32_e32 v76, v76
	s_delay_alu instid0(TRANS32_DEP_1) | instskip(SKIP_1) | instid1(VALU_DEP_1)
	v_ldexp_f32 v76, v76, v87
	s_wait_alu 0xfffd
	v_cndmask_b32_e32 v76, 0, v76, vcc_lo
	v_cmp_nlt_f32_e32 vcc_lo, 0x42b17218, v75
	s_wait_alu 0xfffd
	s_delay_alu instid0(VALU_DEP_2) | instskip(NEXT) | instid1(VALU_DEP_1)
	v_cndmask_b32_e32 v75, 0x7f800000, v76, vcc_lo
	v_add_f32_e32 v75, 1.0, v75
	s_delay_alu instid0(VALU_DEP_1) | instskip(NEXT) | instid1(TRANS32_DEP_1)
	v_rcp_f32_e32 v75, v75
	v_fma_f32 v75, v75, -2.0, 1.0
.LBB72_27:                              ;   in Loop: Header=BB72_9 Depth=1
	s_wait_alu 0xfffe
	s_and_not1_saveexec_b32 s26, s26
	s_cbranch_execz .LBB72_29
; %bb.28:                               ;   in Loop: Header=BB72_9 Depth=1
	v_mul_f32_e32 v75, v70, v70
	s_delay_alu instid0(VALU_DEP_1) | instskip(NEXT) | instid1(VALU_DEP_1)
	v_fmaak_f32 v76, s3, v75, 0x3ca908c9
	v_fmaak_f32 v76, v75, v76, 0xbd5c1c4e
	s_delay_alu instid0(VALU_DEP_1) | instskip(NEXT) | instid1(VALU_DEP_1)
	v_fmaak_f32 v76, v75, v76, 0x3e088382
	v_fmaak_f32 v76, v75, v76, 0xbeaaaa99
	s_delay_alu instid0(VALU_DEP_1) | instskip(NEXT) | instid1(VALU_DEP_1)
	v_mul_f32_e64 v76, |v70|, v76
	v_fma_f32 v75, v75, v76, |v70|
.LBB72_29:                              ;   in Loop: Header=BB72_9 Depth=1
	s_wait_alu 0xfffe
	s_or_b32 exec_lo, exec_lo, s26
	v_cmp_ngt_f32_e64 s26, 0x3f200000, |v71|
                                        ; implicit-def: $vgpr87
	s_and_saveexec_b32 s27, s26
	s_wait_alu 0xfffe
	s_xor_b32 s26, exec_lo, s27
	s_cbranch_execz .LBB72_31
; %bb.30:                               ;   in Loop: Header=BB72_9 Depth=1
	v_add_f32_e64 v76, |v71|, |v71|
	s_delay_alu instid0(VALU_DEP_1) | instskip(SKIP_1) | instid1(VALU_DEP_2)
	v_mul_f32_e32 v87, 0x3fb8aa3b, v76
	v_cmp_ngt_f32_e32 vcc_lo, 0xc2ce8ed0, v76
	v_rndne_f32_e32 v88, v87
	v_fma_f32 v89, 0x3fb8aa3b, v76, -v87
	s_delay_alu instid0(VALU_DEP_2) | instskip(NEXT) | instid1(VALU_DEP_2)
	v_sub_f32_e32 v87, v87, v88
	v_fmac_f32_e32 v89, 0x32a5705f, v76
	v_cvt_i32_f32_e32 v88, v88
	s_delay_alu instid0(VALU_DEP_2) | instskip(NEXT) | instid1(VALU_DEP_1)
	v_add_f32_e32 v87, v87, v89
	v_exp_f32_e32 v87, v87
	s_delay_alu instid0(TRANS32_DEP_1) | instskip(SKIP_1) | instid1(VALU_DEP_1)
	v_ldexp_f32 v87, v87, v88
	s_wait_alu 0xfffd
	v_cndmask_b32_e32 v87, 0, v87, vcc_lo
	v_cmp_nlt_f32_e32 vcc_lo, 0x42b17218, v76
	s_wait_alu 0xfffd
	s_delay_alu instid0(VALU_DEP_2) | instskip(NEXT) | instid1(VALU_DEP_1)
	v_cndmask_b32_e32 v76, 0x7f800000, v87, vcc_lo
	v_add_f32_e32 v76, 1.0, v76
	s_delay_alu instid0(VALU_DEP_1) | instskip(NEXT) | instid1(TRANS32_DEP_1)
	v_rcp_f32_e32 v76, v76
	v_fma_f32 v87, v76, -2.0, 1.0
.LBB72_31:                              ;   in Loop: Header=BB72_9 Depth=1
	s_wait_alu 0xfffe
	s_and_not1_saveexec_b32 s26, s26
	s_cbranch_execz .LBB72_33
; %bb.32:                               ;   in Loop: Header=BB72_9 Depth=1
	v_mul_f32_e32 v76, v71, v71
	s_delay_alu instid0(VALU_DEP_1) | instskip(NEXT) | instid1(VALU_DEP_1)
	v_fmaak_f32 v87, s3, v76, 0x3ca908c9
	v_fmaak_f32 v87, v76, v87, 0xbd5c1c4e
	s_delay_alu instid0(VALU_DEP_1) | instskip(NEXT) | instid1(VALU_DEP_1)
	v_fmaak_f32 v87, v76, v87, 0x3e088382
	v_fmaak_f32 v87, v76, v87, 0xbeaaaa99
	s_delay_alu instid0(VALU_DEP_1) | instskip(NEXT) | instid1(VALU_DEP_1)
	v_mul_f32_e64 v87, |v71|, v87
	v_fma_f32 v87, v76, v87, |v71|
.LBB72_33:                              ;   in Loop: Header=BB72_9 Depth=1
	s_wait_alu 0xfffe
	s_or_b32 exec_lo, exec_lo, s26
	v_cmp_ngt_f32_e64 s26, 0x3f200000, |v72|
                                        ; implicit-def: $vgpr88
	s_and_saveexec_b32 s27, s26
	s_wait_alu 0xfffe
	s_xor_b32 s26, exec_lo, s27
	s_cbranch_execz .LBB72_35
; %bb.34:                               ;   in Loop: Header=BB72_9 Depth=1
	v_add_f32_e64 v76, |v72|, |v72|
	s_delay_alu instid0(VALU_DEP_1) | instskip(SKIP_1) | instid1(VALU_DEP_2)
	v_mul_f32_e32 v88, 0x3fb8aa3b, v76
	v_cmp_ngt_f32_e32 vcc_lo, 0xc2ce8ed0, v76
	v_rndne_f32_e32 v89, v88
	v_fma_f32 v90, 0x3fb8aa3b, v76, -v88
	s_delay_alu instid0(VALU_DEP_2) | instskip(NEXT) | instid1(VALU_DEP_2)
	v_sub_f32_e32 v88, v88, v89
	v_fmac_f32_e32 v90, 0x32a5705f, v76
	v_cvt_i32_f32_e32 v89, v89
	s_delay_alu instid0(VALU_DEP_2) | instskip(NEXT) | instid1(VALU_DEP_1)
	v_add_f32_e32 v88, v88, v90
	v_exp_f32_e32 v88, v88
	s_delay_alu instid0(TRANS32_DEP_1) | instskip(SKIP_1) | instid1(VALU_DEP_1)
	v_ldexp_f32 v88, v88, v89
	s_wait_alu 0xfffd
	v_cndmask_b32_e32 v88, 0, v88, vcc_lo
	v_cmp_nlt_f32_e32 vcc_lo, 0x42b17218, v76
	s_wait_alu 0xfffd
	s_delay_alu instid0(VALU_DEP_2) | instskip(NEXT) | instid1(VALU_DEP_1)
	v_cndmask_b32_e32 v76, 0x7f800000, v88, vcc_lo
	v_add_f32_e32 v76, 1.0, v76
	s_delay_alu instid0(VALU_DEP_1) | instskip(NEXT) | instid1(TRANS32_DEP_1)
	v_rcp_f32_e32 v76, v76
	v_fma_f32 v88, v76, -2.0, 1.0
.LBB72_35:                              ;   in Loop: Header=BB72_9 Depth=1
	s_wait_alu 0xfffe
	s_and_not1_saveexec_b32 s26, s26
	s_cbranch_execz .LBB72_37
; %bb.36:                               ;   in Loop: Header=BB72_9 Depth=1
	v_mul_f32_e32 v76, v72, v72
	s_delay_alu instid0(VALU_DEP_1) | instskip(NEXT) | instid1(VALU_DEP_1)
	v_fmaak_f32 v88, s3, v76, 0x3ca908c9
	v_fmaak_f32 v88, v76, v88, 0xbd5c1c4e
	s_delay_alu instid0(VALU_DEP_1) | instskip(NEXT) | instid1(VALU_DEP_1)
	v_fmaak_f32 v88, v76, v88, 0x3e088382
	v_fmaak_f32 v88, v76, v88, 0xbeaaaa99
	s_delay_alu instid0(VALU_DEP_1) | instskip(NEXT) | instid1(VALU_DEP_1)
	v_mul_f32_e64 v88, |v72|, v88
	v_fma_f32 v88, v76, v88, |v72|
.LBB72_37:                              ;   in Loop: Header=BB72_9 Depth=1
	s_wait_alu 0xfffe
	s_or_b32 exec_lo, exec_lo, s26
	v_cmp_ngt_f32_e64 s26, 0x3f200000, |v73|
                                        ; implicit-def: $vgpr89
	s_and_saveexec_b32 s27, s26
	s_wait_alu 0xfffe
	s_xor_b32 s26, exec_lo, s27
	s_cbranch_execz .LBB72_39
; %bb.38:                               ;   in Loop: Header=BB72_9 Depth=1
	v_add_f32_e64 v76, |v73|, |v73|
	s_delay_alu instid0(VALU_DEP_1) | instskip(SKIP_1) | instid1(VALU_DEP_2)
	v_mul_f32_e32 v89, 0x3fb8aa3b, v76
	v_cmp_ngt_f32_e32 vcc_lo, 0xc2ce8ed0, v76
	v_rndne_f32_e32 v90, v89
	v_fma_f32 v91, 0x3fb8aa3b, v76, -v89
	s_delay_alu instid0(VALU_DEP_2) | instskip(NEXT) | instid1(VALU_DEP_2)
	v_sub_f32_e32 v89, v89, v90
	v_fmac_f32_e32 v91, 0x32a5705f, v76
	v_cvt_i32_f32_e32 v90, v90
	s_delay_alu instid0(VALU_DEP_2) | instskip(NEXT) | instid1(VALU_DEP_1)
	v_add_f32_e32 v89, v89, v91
	v_exp_f32_e32 v89, v89
	s_delay_alu instid0(TRANS32_DEP_1) | instskip(SKIP_1) | instid1(VALU_DEP_1)
	v_ldexp_f32 v89, v89, v90
	s_wait_alu 0xfffd
	v_cndmask_b32_e32 v89, 0, v89, vcc_lo
	v_cmp_nlt_f32_e32 vcc_lo, 0x42b17218, v76
	s_wait_alu 0xfffd
	s_delay_alu instid0(VALU_DEP_2) | instskip(NEXT) | instid1(VALU_DEP_1)
	v_cndmask_b32_e32 v76, 0x7f800000, v89, vcc_lo
	v_add_f32_e32 v76, 1.0, v76
	s_delay_alu instid0(VALU_DEP_1) | instskip(NEXT) | instid1(TRANS32_DEP_1)
	v_rcp_f32_e32 v76, v76
	v_fma_f32 v89, v76, -2.0, 1.0
.LBB72_39:                              ;   in Loop: Header=BB72_9 Depth=1
	s_wait_alu 0xfffe
	s_and_not1_saveexec_b32 s26, s26
	s_cbranch_execz .LBB72_41
; %bb.40:                               ;   in Loop: Header=BB72_9 Depth=1
	v_mul_f32_e32 v76, v73, v73
	s_delay_alu instid0(VALU_DEP_1) | instskip(NEXT) | instid1(VALU_DEP_1)
	v_fmaak_f32 v89, s3, v76, 0x3ca908c9
	v_fmaak_f32 v89, v76, v89, 0xbd5c1c4e
	s_delay_alu instid0(VALU_DEP_1) | instskip(NEXT) | instid1(VALU_DEP_1)
	v_fmaak_f32 v89, v76, v89, 0x3e088382
	v_fmaak_f32 v89, v76, v89, 0xbeaaaa99
	s_delay_alu instid0(VALU_DEP_1) | instskip(NEXT) | instid1(VALU_DEP_1)
	v_mul_f32_e64 v89, |v73|, v89
	v_fma_f32 v89, v76, v89, |v73|
.LBB72_41:                              ;   in Loop: Header=BB72_9 Depth=1
	s_wait_alu 0xfffe
	s_or_b32 exec_lo, exec_lo, s26
	v_cvt_f32_f16_e32 v76, v83
	v_bfi_b32 v83, 0x7fffffff, v75, v70
	v_cvt_f32_f16_e32 v75, v84
	v_bfi_b32 v84, 0x7fffffff, v87, v71
	v_cvt_f32_f16_e32 v71, v85
	v_cvt_f32_f16_e32 v70, v86
	v_fma_f32 v83, s5, v83, v76
	v_bfi_b32 v72, 0x7fffffff, v88, v72
	v_fma_f32 v84, s5, v84, v75
	v_bfi_b32 v85, 0x7fffffff, v89, v73
	v_cmp_ngt_f32_e64 s26, 0x3f200000, |v66|
	v_add_f32_e32 v86, 0x40051340, v83
	v_fma_f32 v73, s5, v72, v71
	v_add_f32_e32 v87, 0x40051340, v84
	v_fma_f32 v72, s5, v85, v70
	s_delay_alu instid0(VALU_DEP_3) | instskip(NEXT) | instid1(VALU_DEP_3)
	v_add_f32_e32 v85, 0x40051340, v73
	v_max3_num_f32 v86, v58, v86, v87
	s_delay_alu instid0(VALU_DEP_3) | instskip(NEXT) | instid1(VALU_DEP_1)
	v_add_f32_e32 v87, 0x40051340, v72
	v_max3_num_f32 v85, v86, v85, v87
	ds_bpermute_b32 v86, v0, v85
	s_wait_dscnt 0x0
	v_max_num_f32_e32 v86, v86, v86
	s_delay_alu instid0(VALU_DEP_1) | instskip(SKIP_3) | instid1(VALU_DEP_1)
	v_max_num_f32_e32 v85, v85, v86
	ds_bpermute_b32 v86, v82, v85
	s_wait_dscnt 0x0
	v_max_num_f32_e32 v86, v86, v86
	v_max_num_f32_e32 v85, v85, v86
	ds_bpermute_b32 v86, v77, v85
	s_wait_dscnt 0x0
	v_max_num_f32_e32 v86, v86, v86
	s_delay_alu instid0(VALU_DEP_1) | instskip(SKIP_3) | instid1(VALU_DEP_1)
	v_max_num_f32_e32 v85, v85, v86
	ds_bpermute_b32 v86, v74, v85
	s_wait_dscnt 0x0
	v_max_num_f32_e32 v86, v86, v86
	v_max_num_f32_e32 v86, v85, v86
                                        ; implicit-def: $vgpr85
	ds_bpermute_b32 v87, v3, v86
	s_and_saveexec_b32 s27, s26
	s_wait_alu 0xfffe
	s_xor_b32 s26, exec_lo, s27
	s_cbranch_execz .LBB72_43
; %bb.42:                               ;   in Loop: Header=BB72_9 Depth=1
	v_add_f32_e64 v85, |v66|, |v66|
	s_delay_alu instid0(VALU_DEP_1) | instskip(SKIP_1) | instid1(VALU_DEP_2)
	v_mul_f32_e32 v88, 0x3fb8aa3b, v85
	v_cmp_ngt_f32_e32 vcc_lo, 0xc2ce8ed0, v85
	v_rndne_f32_e32 v89, v88
	v_fma_f32 v90, 0x3fb8aa3b, v85, -v88
	s_delay_alu instid0(VALU_DEP_2) | instskip(NEXT) | instid1(VALU_DEP_2)
	v_sub_f32_e32 v88, v88, v89
	v_fmac_f32_e32 v90, 0x32a5705f, v85
	v_cvt_i32_f32_e32 v89, v89
	s_delay_alu instid0(VALU_DEP_2) | instskip(NEXT) | instid1(VALU_DEP_1)
	v_add_f32_e32 v88, v88, v90
	v_exp_f32_e32 v88, v88
	s_delay_alu instid0(TRANS32_DEP_1) | instskip(SKIP_1) | instid1(VALU_DEP_1)
	v_ldexp_f32 v88, v88, v89
	s_wait_alu 0xfffd
	v_cndmask_b32_e32 v88, 0, v88, vcc_lo
	v_cmp_nlt_f32_e32 vcc_lo, 0x42b17218, v85
	s_wait_alu 0xfffd
	s_delay_alu instid0(VALU_DEP_2) | instskip(NEXT) | instid1(VALU_DEP_1)
	v_cndmask_b32_e32 v85, 0x7f800000, v88, vcc_lo
	v_add_f32_e32 v85, 1.0, v85
	s_delay_alu instid0(VALU_DEP_1) | instskip(NEXT) | instid1(TRANS32_DEP_1)
	v_rcp_f32_e32 v85, v85
	v_fma_f32 v85, v85, -2.0, 1.0
.LBB72_43:                              ;   in Loop: Header=BB72_9 Depth=1
	s_wait_alu 0xfffe
	s_and_not1_saveexec_b32 s26, s26
	s_cbranch_execz .LBB72_45
; %bb.44:                               ;   in Loop: Header=BB72_9 Depth=1
	v_mul_f32_e32 v85, v66, v66
	s_delay_alu instid0(VALU_DEP_1) | instskip(NEXT) | instid1(VALU_DEP_1)
	v_fmaak_f32 v88, s3, v85, 0x3ca908c9
	v_fmaak_f32 v88, v85, v88, 0xbd5c1c4e
	s_delay_alu instid0(VALU_DEP_1) | instskip(NEXT) | instid1(VALU_DEP_1)
	v_fmaak_f32 v88, v85, v88, 0x3e088382
	v_fmaak_f32 v88, v85, v88, 0xbeaaaa99
	s_delay_alu instid0(VALU_DEP_1) | instskip(NEXT) | instid1(VALU_DEP_1)
	v_mul_f32_e64 v88, |v66|, v88
	v_fma_f32 v85, v85, v88, |v66|
.LBB72_45:                              ;   in Loop: Header=BB72_9 Depth=1
	s_wait_alu 0xfffe
	s_or_b32 exec_lo, exec_lo, s26
	v_cmp_ngt_f32_e64 s26, 0x3f200000, |v67|
                                        ; implicit-def: $vgpr88
	s_and_saveexec_b32 s27, s26
	s_wait_alu 0xfffe
	s_xor_b32 s26, exec_lo, s27
	s_cbranch_execz .LBB72_47
; %bb.46:                               ;   in Loop: Header=BB72_9 Depth=1
	v_add_f32_e64 v88, |v67|, |v67|
	s_delay_alu instid0(VALU_DEP_1) | instskip(SKIP_1) | instid1(VALU_DEP_2)
	v_mul_f32_e32 v89, 0x3fb8aa3b, v88
	v_cmp_ngt_f32_e32 vcc_lo, 0xc2ce8ed0, v88
	v_rndne_f32_e32 v90, v89
	v_fma_f32 v91, 0x3fb8aa3b, v88, -v89
	s_delay_alu instid0(VALU_DEP_2) | instskip(NEXT) | instid1(VALU_DEP_2)
	v_sub_f32_e32 v89, v89, v90
	v_fmac_f32_e32 v91, 0x32a5705f, v88
	v_cvt_i32_f32_e32 v90, v90
	s_delay_alu instid0(VALU_DEP_2) | instskip(NEXT) | instid1(VALU_DEP_1)
	v_add_f32_e32 v89, v89, v91
	v_exp_f32_e32 v89, v89
	s_delay_alu instid0(TRANS32_DEP_1) | instskip(SKIP_1) | instid1(VALU_DEP_1)
	v_ldexp_f32 v89, v89, v90
	s_wait_alu 0xfffd
	v_cndmask_b32_e32 v89, 0, v89, vcc_lo
	v_cmp_nlt_f32_e32 vcc_lo, 0x42b17218, v88
	s_wait_alu 0xfffd
	s_delay_alu instid0(VALU_DEP_2) | instskip(NEXT) | instid1(VALU_DEP_1)
	v_cndmask_b32_e32 v88, 0x7f800000, v89, vcc_lo
	v_add_f32_e32 v88, 1.0, v88
	s_delay_alu instid0(VALU_DEP_1) | instskip(NEXT) | instid1(TRANS32_DEP_1)
	v_rcp_f32_e32 v88, v88
	v_fma_f32 v88, v88, -2.0, 1.0
.LBB72_47:                              ;   in Loop: Header=BB72_9 Depth=1
	s_wait_alu 0xfffe
	s_and_not1_saveexec_b32 s26, s26
	s_cbranch_execz .LBB72_49
; %bb.48:                               ;   in Loop: Header=BB72_9 Depth=1
	v_mul_f32_e32 v88, v67, v67
	s_delay_alu instid0(VALU_DEP_1) | instskip(NEXT) | instid1(VALU_DEP_1)
	v_fmaak_f32 v89, s3, v88, 0x3ca908c9
	v_fmaak_f32 v89, v88, v89, 0xbd5c1c4e
	s_delay_alu instid0(VALU_DEP_1) | instskip(NEXT) | instid1(VALU_DEP_1)
	v_fmaak_f32 v89, v88, v89, 0x3e088382
	v_fmaak_f32 v89, v88, v89, 0xbeaaaa99
	s_delay_alu instid0(VALU_DEP_1) | instskip(NEXT) | instid1(VALU_DEP_1)
	v_mul_f32_e64 v89, |v67|, v89
	v_fma_f32 v88, v88, v89, |v67|
.LBB72_49:                              ;   in Loop: Header=BB72_9 Depth=1
	s_wait_alu 0xfffe
	s_or_b32 exec_lo, exec_lo, s26
	v_cmp_ngt_f32_e64 s26, 0x3f200000, |v68|
                                        ; implicit-def: $vgpr89
	s_and_saveexec_b32 s27, s26
	s_wait_alu 0xfffe
	s_xor_b32 s26, exec_lo, s27
	s_cbranch_execz .LBB72_51
; %bb.50:                               ;   in Loop: Header=BB72_9 Depth=1
	v_add_f32_e64 v89, |v68|, |v68|
	s_delay_alu instid0(VALU_DEP_1) | instskip(SKIP_1) | instid1(VALU_DEP_2)
	v_mul_f32_e32 v90, 0x3fb8aa3b, v89
	v_cmp_ngt_f32_e32 vcc_lo, 0xc2ce8ed0, v89
	v_rndne_f32_e32 v91, v90
	v_fma_f32 v92, 0x3fb8aa3b, v89, -v90
	s_delay_alu instid0(VALU_DEP_2) | instskip(NEXT) | instid1(VALU_DEP_2)
	v_sub_f32_e32 v90, v90, v91
	v_fmac_f32_e32 v92, 0x32a5705f, v89
	v_cvt_i32_f32_e32 v91, v91
	s_delay_alu instid0(VALU_DEP_2) | instskip(NEXT) | instid1(VALU_DEP_1)
	v_add_f32_e32 v90, v90, v92
	v_exp_f32_e32 v90, v90
	s_delay_alu instid0(TRANS32_DEP_1) | instskip(SKIP_1) | instid1(VALU_DEP_1)
	v_ldexp_f32 v90, v90, v91
	s_wait_alu 0xfffd
	v_cndmask_b32_e32 v90, 0, v90, vcc_lo
	v_cmp_nlt_f32_e32 vcc_lo, 0x42b17218, v89
	s_wait_alu 0xfffd
	s_delay_alu instid0(VALU_DEP_2) | instskip(NEXT) | instid1(VALU_DEP_1)
	v_cndmask_b32_e32 v89, 0x7f800000, v90, vcc_lo
	v_add_f32_e32 v89, 1.0, v89
	s_delay_alu instid0(VALU_DEP_1) | instskip(NEXT) | instid1(TRANS32_DEP_1)
	v_rcp_f32_e32 v89, v89
	v_fma_f32 v89, v89, -2.0, 1.0
.LBB72_51:                              ;   in Loop: Header=BB72_9 Depth=1
	s_wait_alu 0xfffe
	s_and_not1_saveexec_b32 s26, s26
	s_cbranch_execz .LBB72_53
; %bb.52:                               ;   in Loop: Header=BB72_9 Depth=1
	v_mul_f32_e32 v89, v68, v68
	s_delay_alu instid0(VALU_DEP_1) | instskip(NEXT) | instid1(VALU_DEP_1)
	v_fmaak_f32 v90, s3, v89, 0x3ca908c9
	v_fmaak_f32 v90, v89, v90, 0xbd5c1c4e
	s_delay_alu instid0(VALU_DEP_1) | instskip(NEXT) | instid1(VALU_DEP_1)
	v_fmaak_f32 v90, v89, v90, 0x3e088382
	v_fmaak_f32 v90, v89, v90, 0xbeaaaa99
	s_delay_alu instid0(VALU_DEP_1) | instskip(NEXT) | instid1(VALU_DEP_1)
	v_mul_f32_e64 v90, |v68|, v90
	v_fma_f32 v89, v89, v90, |v68|
.LBB72_53:                              ;   in Loop: Header=BB72_9 Depth=1
	s_wait_alu 0xfffe
	s_or_b32 exec_lo, exec_lo, s26
	v_cmp_ngt_f32_e64 s26, 0x3f200000, |v69|
                                        ; implicit-def: $vgpr90
	s_and_saveexec_b32 s27, s26
	s_wait_alu 0xfffe
	s_xor_b32 s26, exec_lo, s27
	s_cbranch_execz .LBB72_55
; %bb.54:                               ;   in Loop: Header=BB72_9 Depth=1
	v_add_f32_e64 v90, |v69|, |v69|
	s_delay_alu instid0(VALU_DEP_1) | instskip(SKIP_1) | instid1(VALU_DEP_2)
	v_mul_f32_e32 v91, 0x3fb8aa3b, v90
	v_cmp_ngt_f32_e32 vcc_lo, 0xc2ce8ed0, v90
	v_rndne_f32_e32 v92, v91
	v_fma_f32 v93, 0x3fb8aa3b, v90, -v91
	s_delay_alu instid0(VALU_DEP_2) | instskip(NEXT) | instid1(VALU_DEP_2)
	v_sub_f32_e32 v91, v91, v92
	v_fmac_f32_e32 v93, 0x32a5705f, v90
	v_cvt_i32_f32_e32 v92, v92
	s_delay_alu instid0(VALU_DEP_2) | instskip(NEXT) | instid1(VALU_DEP_1)
	v_add_f32_e32 v91, v91, v93
	v_exp_f32_e32 v91, v91
	s_delay_alu instid0(TRANS32_DEP_1) | instskip(SKIP_1) | instid1(VALU_DEP_1)
	v_ldexp_f32 v91, v91, v92
	s_wait_alu 0xfffd
	v_cndmask_b32_e32 v91, 0, v91, vcc_lo
	v_cmp_nlt_f32_e32 vcc_lo, 0x42b17218, v90
	s_wait_alu 0xfffd
	s_delay_alu instid0(VALU_DEP_2) | instskip(NEXT) | instid1(VALU_DEP_1)
	v_cndmask_b32_e32 v90, 0x7f800000, v91, vcc_lo
	v_add_f32_e32 v90, 1.0, v90
	s_delay_alu instid0(VALU_DEP_1) | instskip(NEXT) | instid1(TRANS32_DEP_1)
	v_rcp_f32_e32 v90, v90
	v_fma_f32 v90, v90, -2.0, 1.0
.LBB72_55:                              ;   in Loop: Header=BB72_9 Depth=1
	s_wait_alu 0xfffe
	s_and_not1_saveexec_b32 s26, s26
	s_cbranch_execz .LBB72_57
; %bb.56:                               ;   in Loop: Header=BB72_9 Depth=1
	v_mul_f32_e32 v90, v69, v69
	s_delay_alu instid0(VALU_DEP_1) | instskip(NEXT) | instid1(VALU_DEP_1)
	v_fmaak_f32 v91, s3, v90, 0x3ca908c9
	v_fmaak_f32 v91, v90, v91, 0xbd5c1c4e
	s_delay_alu instid0(VALU_DEP_1) | instskip(NEXT) | instid1(VALU_DEP_1)
	v_fmaak_f32 v91, v90, v91, 0x3e088382
	v_fmaak_f32 v91, v90, v91, 0xbeaaaa99
	s_delay_alu instid0(VALU_DEP_1) | instskip(NEXT) | instid1(VALU_DEP_1)
	v_mul_f32_e64 v91, |v69|, v91
	v_fma_f32 v90, v90, v91, |v69|
.LBB72_57:                              ;   in Loop: Header=BB72_9 Depth=1
	s_wait_alu 0xfffe
	s_or_b32 exec_lo, exec_lo, s26
	v_bfi_b32 v66, 0x7fffffff, v85, v66
	v_bfi_b32 v67, 0x7fffffff, v88, v67
	;; [unrolled: 1-line block ×3, first 2 shown]
	v_cmp_ngt_f32_e64 s26, 0x3f200000, |v62|
	s_delay_alu instid0(VALU_DEP_4) | instskip(NEXT) | instid1(VALU_DEP_4)
	v_fma_f32 v85, s5, v66, v76
	v_fma_f32 v68, s5, v67, v75
	v_bfi_b32 v66, 0x7fffffff, v90, v69
	v_fma_f32 v67, s5, v88, v71
	s_delay_alu instid0(VALU_DEP_3) | instskip(NEXT) | instid1(VALU_DEP_3)
	v_dual_add_f32 v69, 0x40051340, v85 :: v_dual_add_f32 v88, 0x40051340, v68
	v_fma_f32 v66, s5, v66, v70
	s_delay_alu instid0(VALU_DEP_3) | instskip(NEXT) | instid1(VALU_DEP_3)
	v_add_f32_e32 v89, 0x40051340, v67
	v_max3_num_f32 v69, v56, v69, v88
	s_delay_alu instid0(VALU_DEP_3) | instskip(NEXT) | instid1(VALU_DEP_1)
	v_add_f32_e32 v88, 0x40051340, v66
	v_max3_num_f32 v69, v69, v89, v88
                                        ; implicit-def: $vgpr89
	ds_bpermute_b32 v88, v0, v69
	s_wait_dscnt 0x0
	v_max_num_f32_e32 v88, v88, v88
	s_delay_alu instid0(VALU_DEP_1) | instskip(SKIP_3) | instid1(VALU_DEP_1)
	v_max_num_f32_e32 v69, v69, v88
	ds_bpermute_b32 v88, v82, v69
	s_wait_dscnt 0x0
	v_max_num_f32_e32 v88, v88, v88
	v_max_num_f32_e32 v69, v69, v88
	ds_bpermute_b32 v88, v77, v69
	s_wait_dscnt 0x0
	v_max_num_f32_e32 v88, v88, v88
	s_delay_alu instid0(VALU_DEP_1) | instskip(SKIP_3) | instid1(VALU_DEP_1)
	v_max_num_f32_e32 v69, v69, v88
	ds_bpermute_b32 v88, v74, v69
	s_wait_dscnt 0x0
	v_max_num_f32_e32 v88, v88, v88
	v_max_num_f32_e32 v69, v69, v88
	ds_bpermute_b32 v88, v3, v69
	s_and_saveexec_b32 s27, s26
	s_wait_alu 0xfffe
	s_xor_b32 s26, exec_lo, s27
	s_cbranch_execz .LBB72_59
; %bb.58:                               ;   in Loop: Header=BB72_9 Depth=1
	v_add_f32_e64 v89, |v62|, |v62|
	s_delay_alu instid0(VALU_DEP_1) | instskip(SKIP_1) | instid1(VALU_DEP_2)
	v_mul_f32_e32 v90, 0x3fb8aa3b, v89
	v_cmp_ngt_f32_e32 vcc_lo, 0xc2ce8ed0, v89
	v_rndne_f32_e32 v91, v90
	v_fma_f32 v92, 0x3fb8aa3b, v89, -v90
	s_delay_alu instid0(VALU_DEP_2) | instskip(NEXT) | instid1(VALU_DEP_2)
	v_sub_f32_e32 v90, v90, v91
	v_fmac_f32_e32 v92, 0x32a5705f, v89
	v_cvt_i32_f32_e32 v91, v91
	s_delay_alu instid0(VALU_DEP_2) | instskip(NEXT) | instid1(VALU_DEP_1)
	v_add_f32_e32 v90, v90, v92
	v_exp_f32_e32 v90, v90
	s_delay_alu instid0(TRANS32_DEP_1) | instskip(SKIP_1) | instid1(VALU_DEP_1)
	v_ldexp_f32 v90, v90, v91
	s_wait_alu 0xfffd
	v_cndmask_b32_e32 v90, 0, v90, vcc_lo
	v_cmp_nlt_f32_e32 vcc_lo, 0x42b17218, v89
	s_wait_alu 0xfffd
	s_delay_alu instid0(VALU_DEP_2) | instskip(NEXT) | instid1(VALU_DEP_1)
	v_cndmask_b32_e32 v89, 0x7f800000, v90, vcc_lo
	v_add_f32_e32 v89, 1.0, v89
	s_delay_alu instid0(VALU_DEP_1) | instskip(NEXT) | instid1(TRANS32_DEP_1)
	v_rcp_f32_e32 v89, v89
	v_fma_f32 v89, v89, -2.0, 1.0
.LBB72_59:                              ;   in Loop: Header=BB72_9 Depth=1
	s_wait_alu 0xfffe
	s_and_not1_saveexec_b32 s26, s26
	s_cbranch_execz .LBB72_61
; %bb.60:                               ;   in Loop: Header=BB72_9 Depth=1
	v_mul_f32_e32 v89, v62, v62
	s_delay_alu instid0(VALU_DEP_1) | instskip(NEXT) | instid1(VALU_DEP_1)
	v_fmaak_f32 v90, s3, v89, 0x3ca908c9
	v_fmaak_f32 v90, v89, v90, 0xbd5c1c4e
	s_delay_alu instid0(VALU_DEP_1) | instskip(NEXT) | instid1(VALU_DEP_1)
	v_fmaak_f32 v90, v89, v90, 0x3e088382
	v_fmaak_f32 v90, v89, v90, 0xbeaaaa99
	s_delay_alu instid0(VALU_DEP_1) | instskip(NEXT) | instid1(VALU_DEP_1)
	v_mul_f32_e64 v90, |v62|, v90
	v_fma_f32 v89, v89, v90, |v62|
.LBB72_61:                              ;   in Loop: Header=BB72_9 Depth=1
	s_wait_alu 0xfffe
	s_or_b32 exec_lo, exec_lo, s26
	v_cmp_ngt_f32_e64 s26, 0x3f200000, |v63|
                                        ; implicit-def: $vgpr90
	s_and_saveexec_b32 s27, s26
	s_wait_alu 0xfffe
	s_xor_b32 s26, exec_lo, s27
	s_cbranch_execz .LBB72_63
; %bb.62:                               ;   in Loop: Header=BB72_9 Depth=1
	v_add_f32_e64 v90, |v63|, |v63|
	s_delay_alu instid0(VALU_DEP_1) | instskip(SKIP_1) | instid1(VALU_DEP_2)
	v_mul_f32_e32 v91, 0x3fb8aa3b, v90
	v_cmp_ngt_f32_e32 vcc_lo, 0xc2ce8ed0, v90
	v_rndne_f32_e32 v92, v91
	v_fma_f32 v93, 0x3fb8aa3b, v90, -v91
	s_delay_alu instid0(VALU_DEP_2) | instskip(NEXT) | instid1(VALU_DEP_2)
	v_sub_f32_e32 v91, v91, v92
	v_fmac_f32_e32 v93, 0x32a5705f, v90
	v_cvt_i32_f32_e32 v92, v92
	s_delay_alu instid0(VALU_DEP_2) | instskip(NEXT) | instid1(VALU_DEP_1)
	v_add_f32_e32 v91, v91, v93
	v_exp_f32_e32 v91, v91
	s_delay_alu instid0(TRANS32_DEP_1) | instskip(SKIP_1) | instid1(VALU_DEP_1)
	v_ldexp_f32 v91, v91, v92
	s_wait_alu 0xfffd
	v_cndmask_b32_e32 v91, 0, v91, vcc_lo
	v_cmp_nlt_f32_e32 vcc_lo, 0x42b17218, v90
	s_wait_alu 0xfffd
	s_delay_alu instid0(VALU_DEP_2) | instskip(NEXT) | instid1(VALU_DEP_1)
	v_cndmask_b32_e32 v90, 0x7f800000, v91, vcc_lo
	v_add_f32_e32 v90, 1.0, v90
	s_delay_alu instid0(VALU_DEP_1) | instskip(NEXT) | instid1(TRANS32_DEP_1)
	v_rcp_f32_e32 v90, v90
	v_fma_f32 v90, v90, -2.0, 1.0
.LBB72_63:                              ;   in Loop: Header=BB72_9 Depth=1
	s_wait_alu 0xfffe
	s_and_not1_saveexec_b32 s26, s26
	s_cbranch_execz .LBB72_65
; %bb.64:                               ;   in Loop: Header=BB72_9 Depth=1
	v_mul_f32_e32 v90, v63, v63
	s_delay_alu instid0(VALU_DEP_1) | instskip(NEXT) | instid1(VALU_DEP_1)
	v_fmaak_f32 v91, s3, v90, 0x3ca908c9
	v_fmaak_f32 v91, v90, v91, 0xbd5c1c4e
	s_delay_alu instid0(VALU_DEP_1) | instskip(NEXT) | instid1(VALU_DEP_1)
	v_fmaak_f32 v91, v90, v91, 0x3e088382
	v_fmaak_f32 v91, v90, v91, 0xbeaaaa99
	s_delay_alu instid0(VALU_DEP_1) | instskip(NEXT) | instid1(VALU_DEP_1)
	v_mul_f32_e64 v91, |v63|, v91
	v_fma_f32 v90, v90, v91, |v63|
.LBB72_65:                              ;   in Loop: Header=BB72_9 Depth=1
	s_wait_alu 0xfffe
	s_or_b32 exec_lo, exec_lo, s26
	v_cmp_ngt_f32_e64 s26, 0x3f200000, |v64|
                                        ; implicit-def: $vgpr91
	s_and_saveexec_b32 s27, s26
	s_wait_alu 0xfffe
	s_xor_b32 s26, exec_lo, s27
	s_cbranch_execz .LBB72_67
; %bb.66:                               ;   in Loop: Header=BB72_9 Depth=1
	v_add_f32_e64 v91, |v64|, |v64|
	s_delay_alu instid0(VALU_DEP_1) | instskip(SKIP_1) | instid1(VALU_DEP_2)
	v_mul_f32_e32 v92, 0x3fb8aa3b, v91
	v_cmp_ngt_f32_e32 vcc_lo, 0xc2ce8ed0, v91
	v_rndne_f32_e32 v93, v92
	v_fma_f32 v94, 0x3fb8aa3b, v91, -v92
	s_delay_alu instid0(VALU_DEP_2) | instskip(NEXT) | instid1(VALU_DEP_2)
	v_sub_f32_e32 v92, v92, v93
	v_fmac_f32_e32 v94, 0x32a5705f, v91
	v_cvt_i32_f32_e32 v93, v93
	s_delay_alu instid0(VALU_DEP_2) | instskip(NEXT) | instid1(VALU_DEP_1)
	v_add_f32_e32 v92, v92, v94
	v_exp_f32_e32 v92, v92
	s_delay_alu instid0(TRANS32_DEP_1) | instskip(SKIP_1) | instid1(VALU_DEP_1)
	v_ldexp_f32 v92, v92, v93
	s_wait_alu 0xfffd
	v_cndmask_b32_e32 v92, 0, v92, vcc_lo
	v_cmp_nlt_f32_e32 vcc_lo, 0x42b17218, v91
	s_wait_alu 0xfffd
	s_delay_alu instid0(VALU_DEP_2) | instskip(NEXT) | instid1(VALU_DEP_1)
	v_cndmask_b32_e32 v91, 0x7f800000, v92, vcc_lo
	v_add_f32_e32 v91, 1.0, v91
	s_delay_alu instid0(VALU_DEP_1) | instskip(NEXT) | instid1(TRANS32_DEP_1)
	v_rcp_f32_e32 v91, v91
	v_fma_f32 v91, v91, -2.0, 1.0
.LBB72_67:                              ;   in Loop: Header=BB72_9 Depth=1
	s_wait_alu 0xfffe
	s_and_not1_saveexec_b32 s26, s26
	s_cbranch_execz .LBB72_69
; %bb.68:                               ;   in Loop: Header=BB72_9 Depth=1
	v_mul_f32_e32 v91, v64, v64
	s_delay_alu instid0(VALU_DEP_1) | instskip(NEXT) | instid1(VALU_DEP_1)
	v_fmaak_f32 v92, s3, v91, 0x3ca908c9
	v_fmaak_f32 v92, v91, v92, 0xbd5c1c4e
	s_delay_alu instid0(VALU_DEP_1) | instskip(NEXT) | instid1(VALU_DEP_1)
	v_fmaak_f32 v92, v91, v92, 0x3e088382
	v_fmaak_f32 v92, v91, v92, 0xbeaaaa99
	s_delay_alu instid0(VALU_DEP_1) | instskip(NEXT) | instid1(VALU_DEP_1)
	v_mul_f32_e64 v92, |v64|, v92
	v_fma_f32 v91, v91, v92, |v64|
.LBB72_69:                              ;   in Loop: Header=BB72_9 Depth=1
	s_wait_alu 0xfffe
	s_or_b32 exec_lo, exec_lo, s26
	v_cmp_ngt_f32_e64 s26, 0x3f200000, |v65|
                                        ; implicit-def: $vgpr92
	s_and_saveexec_b32 s27, s26
	s_wait_alu 0xfffe
	s_xor_b32 s26, exec_lo, s27
	s_cbranch_execz .LBB72_71
; %bb.70:                               ;   in Loop: Header=BB72_9 Depth=1
	v_add_f32_e64 v92, |v65|, |v65|
	s_delay_alu instid0(VALU_DEP_1) | instskip(SKIP_1) | instid1(VALU_DEP_2)
	v_mul_f32_e32 v93, 0x3fb8aa3b, v92
	v_cmp_ngt_f32_e32 vcc_lo, 0xc2ce8ed0, v92
	v_rndne_f32_e32 v94, v93
	v_fma_f32 v95, 0x3fb8aa3b, v92, -v93
	s_delay_alu instid0(VALU_DEP_2) | instskip(NEXT) | instid1(VALU_DEP_2)
	v_sub_f32_e32 v93, v93, v94
	v_fmac_f32_e32 v95, 0x32a5705f, v92
	v_cvt_i32_f32_e32 v94, v94
	s_delay_alu instid0(VALU_DEP_2) | instskip(NEXT) | instid1(VALU_DEP_1)
	v_add_f32_e32 v93, v93, v95
	v_exp_f32_e32 v93, v93
	s_delay_alu instid0(TRANS32_DEP_1) | instskip(SKIP_1) | instid1(VALU_DEP_1)
	v_ldexp_f32 v93, v93, v94
	s_wait_alu 0xfffd
	v_cndmask_b32_e32 v93, 0, v93, vcc_lo
	v_cmp_nlt_f32_e32 vcc_lo, 0x42b17218, v92
	s_wait_alu 0xfffd
	s_delay_alu instid0(VALU_DEP_2) | instskip(NEXT) | instid1(VALU_DEP_1)
	v_cndmask_b32_e32 v92, 0x7f800000, v93, vcc_lo
	v_add_f32_e32 v92, 1.0, v92
	s_delay_alu instid0(VALU_DEP_1) | instskip(NEXT) | instid1(TRANS32_DEP_1)
	v_rcp_f32_e32 v92, v92
	v_fma_f32 v92, v92, -2.0, 1.0
.LBB72_71:                              ;   in Loop: Header=BB72_9 Depth=1
	s_wait_alu 0xfffe
	s_and_not1_saveexec_b32 s26, s26
	s_cbranch_execz .LBB72_73
; %bb.72:                               ;   in Loop: Header=BB72_9 Depth=1
	v_mul_f32_e32 v92, v65, v65
	s_delay_alu instid0(VALU_DEP_1) | instskip(NEXT) | instid1(VALU_DEP_1)
	v_fmaak_f32 v93, s3, v92, 0x3ca908c9
	v_fmaak_f32 v93, v92, v93, 0xbd5c1c4e
	s_delay_alu instid0(VALU_DEP_1) | instskip(NEXT) | instid1(VALU_DEP_1)
	v_fmaak_f32 v93, v92, v93, 0x3e088382
	v_fmaak_f32 v93, v92, v93, 0xbeaaaa99
	s_delay_alu instid0(VALU_DEP_1) | instskip(NEXT) | instid1(VALU_DEP_1)
	v_mul_f32_e64 v93, |v65|, v93
	v_fma_f32 v92, v92, v93, |v65|
.LBB72_73:                              ;   in Loop: Header=BB72_9 Depth=1
	s_wait_alu 0xfffe
	s_or_b32 exec_lo, exec_lo, s26
	v_bfi_b32 v62, 0x7fffffff, v89, v62
	v_bfi_b32 v63, 0x7fffffff, v90, v63
	;; [unrolled: 1-line block ×4, first 2 shown]
	s_mul_u64 s[26:27], s[10:11], s[14:15]
	s_delay_alu instid0(VALU_DEP_3) | instskip(NEXT) | instid1(VALU_DEP_2)
	v_dual_fmac_f32 v76, s5, v62 :: v_dual_fmac_f32 v75, s5, v63
	v_dual_fmac_f32 v71, s5, v64 :: v_dual_fmac_f32 v70, s5, v65
	s_wait_dscnt 0x0
	v_max_num_f32_e32 v64, v88, v88
	s_delay_alu instid0(VALU_DEP_3) | instskip(NEXT) | instid1(VALU_DEP_3)
	v_dual_add_f32 v62, 0x40051340, v76 :: v_dual_add_f32 v63, 0x40051340, v75
	v_dual_add_f32 v65, 0x40051340, v71 :: v_dual_add_f32 v88, 0x40051340, v70
	s_wait_alu 0xfffe
	s_lshl_b64 s[26:27], s[26:27], 2
	v_max_num_f32_e32 v86, v86, v86
	v_max3_num_f32 v62, v55, v62, v63
	v_max_num_f32_e32 v63, v69, v69
	v_max_num_f32_e32 v69, v87, v87
	;; [unrolled: 1-line block ×3, first 2 shown]
	s_wait_alu 0xfffe
	s_add_nc_u64 s[26:27], s[8:9], s[26:27]
	v_max3_num_f32 v62, v62, v65, v88
	v_max_num_f32_e32 v2, v63, v64
	s_wait_alu 0xfffe
	v_add_co_u32 v63, vcc_lo, s26, v16
	s_wait_alu 0xfffd
	v_add_co_ci_u32_e64 v64, null, s27, v17, vcc_lo
	ds_bpermute_b32 v88, v0, v62
	v_max_num_f32_e32 v65, v1, v1
	s_wait_dscnt 0x0
	s_barrier_signal -1
	s_barrier_wait -1
	global_inv scope:SCOPE_SE
	v_sub_f32_e32 v67, v67, v2
	v_sub_f32_e32 v68, v68, v2
	v_sub_f32_e32 v56, v56, v2
	v_sub_f32_e32 v66, v66, v2
	v_dual_max_num_f32 v88, v88, v88 :: v_dual_max_num_f32 v1, v86, v69
	v_max_num_f32_e32 v0, v65, v87
	v_add_co_u32 v65, vcc_lo, s26, v18
	s_wait_alu 0xfffd
	v_add_co_ci_u32_e64 v69, null, s27, v19, vcc_lo
	s_delay_alu instid0(VALU_DEP_3)
	v_dual_sub_f32 v99, v78, v0 :: v_dual_sub_f32 v84, v84, v1
	v_sub_f32_e32 v98, v79, v0
	v_dual_max_num_f32 v79, v62, v88 :: v_dual_sub_f32 v102, v83, v1
	v_add_co_u32 v86, vcc_lo, s26, v20
	s_wait_alu 0xfffd
	v_add_co_ci_u32_e64 v87, null, s27, v21, vcc_lo
	ds_bpermute_b32 v78, v82, v79
	v_add_co_u32 v89, vcc_lo, s26, v22
	s_wait_alu 0xfffd
	v_add_co_ci_u32_e64 v90, null, s27, v23, vcc_lo
	v_sub_f32_e32 v101, v81, v0
	v_add_co_u32 v62, vcc_lo, v63, v44
	s_wait_alu 0xfffd
	v_add_co_ci_u32_e64 v63, null, 0, v64, vcc_lo
	v_add_co_u32 v64, vcc_lo, v65, v44
	s_wait_alu 0xfffd
	v_add_co_ci_u32_e64 v65, null, 0, v69, vcc_lo
	;; [unrolled: 3-line block ×3, first 2 shown]
	v_add_co_u32 v94, vcc_lo, v89, v44
	s_wait_dscnt 0x0
	v_max_num_f32_e32 v78, v78, v78
	s_wait_alu 0xfffd
	v_add_co_ci_u32_e64 v95, null, 0, v90, vcc_lo
	v_dual_sub_f32 v100, v80, v0 :: v_dual_mul_f32 v105, 0x3fb8aa3b, v101
	s_delay_alu instid0(VALU_DEP_3)
	v_max_num_f32_e32 v108, v79, v78
	s_clause 0x3
	global_load_b128 v[78:81], v[62:63], off
	global_load_b128 v[86:89], v[64:65], off
	;; [unrolled: 1-line block ×4, first 2 shown]
	v_mul_f32_e32 v63, 0x3fb8aa3b, v84
	v_dual_mul_f32 v103, 0x3fb8aa3b, v99 :: v_dual_sub_f32 v60, v60, v0
	v_mul_f32_e32 v69, 0x3fb8aa3b, v98
	ds_bpermute_b32 v62, v77, v108
	v_dual_mul_f32 v104, 0x3fb8aa3b, v100 :: v_dual_mul_f32 v107, 0x3fb8aa3b, v102
	v_rndne_f32_e32 v82, v103
	v_rndne_f32_e32 v65, v69
	v_mul_f32_e32 v106, 0x3fb8aa3b, v60
	s_delay_alu instid0(VALU_DEP_4)
	v_fma_f32 v83, 0x3fb8aa3b, v100, -v104
	v_fma_f32 v64, 0x3fb8aa3b, v98, -v69
	v_rndne_f32_e32 v109, v104
	v_rndne_f32_e32 v115, v107
	v_sub_f32_e32 v69, v69, v65
	v_fma_f32 v112, 0x3fb8aa3b, v60, -v106
	v_rndne_f32_e32 v113, v106
	v_fmac_f32_e32 v83, 0x32a5705f, v100
	v_fma_f32 v77, 0x3fb8aa3b, v99, -v103
	v_fma_f32 v114, 0x3fb8aa3b, v102, -v107
	v_fmac_f32_e32 v64, 0x32a5705f, v98
	v_dual_sub_f32 v103, v103, v82 :: v_dual_sub_f32 v104, v104, v109
	v_dual_fmac_f32 v112, 0x32a5705f, v60 :: v_dual_sub_f32 v107, v107, v115
	s_wait_dscnt 0x0
	v_max_num_f32_e32 v62, v62, v62
	v_dual_sub_f32 v106, v106, v113 :: v_dual_fmac_f32 v77, 0x32a5705f, v99
	v_add_f32_e32 v64, v69, v64
	v_fma_f32 v110, 0x3fb8aa3b, v101, -v105
	s_delay_alu instid0(VALU_DEP_4)
	v_max_num_f32_e32 v62, v108, v62
	v_rndne_f32_e32 v111, v105
	v_cvt_i32_f32_e32 v65, v65
	v_cvt_i32_f32_e32 v82, v82
	v_fmac_f32_e32 v110, 0x32a5705f, v101
	ds_bpermute_b32 v69, v74, v62
	v_dual_fmac_f32 v114, 0x32a5705f, v102 :: v_dual_sub_f32 v105, v105, v111
	v_dual_add_f32 v74, v103, v77 :: v_dual_add_f32 v77, v104, v83
	v_cmp_ngt_f32_e32 vcc_lo, 0xc2ce8ed0, v98
	v_add_f32_e32 v103, v106, v112
	s_delay_alu instid0(VALU_DEP_4) | instskip(NEXT) | instid1(VALU_DEP_4)
	v_add_f32_e32 v83, v105, v110
	v_exp_f32_e32 v74, v74
	v_exp_f32_e32 v77, v77
	v_cvt_i32_f32_e32 v104, v109
	v_exp_f32_e32 v103, v103
	v_exp_f32_e32 v83, v83
	v_cvt_i32_f32_e32 v105, v111
	v_cvt_i32_f32_e32 v106, v113
	s_or_b32 s26, s10, 64
	s_wait_alu 0xfffe
	s_ashr_i32 s27, s26, 31
	s_wait_alu 0xfffe
	s_mul_u64 s[26:27], s[26:27], s[14:15]
	s_wait_dscnt 0x0
	v_max_num_f32_e32 v69, v69, v69
	v_add_f32_e32 v107, v107, v114
	v_exp_f32_e32 v64, v64
	s_wait_alu 0xfffe
	s_lshl_b64 s[26:27], s[26:27], 2
	s_wait_alu 0xfffe
	s_add_nc_u64 s[26:27], s[8:9], s[26:27]
	s_delay_alu instid0(TRANS32_DEP_1)
	v_ldexp_f32 v64, v64, v65
	v_ldexp_f32 v65, v74, v82
	v_ldexp_f32 v74, v77, v104
	v_ldexp_f32 v77, v83, v105
	v_ldexp_f32 v82, v103, v106
	s_wait_alu 0xfffd
	v_cndmask_b32_e32 v64, 0, v64, vcc_lo
	v_cmp_ngt_f32_e32 vcc_lo, 0xc2ce8ed0, v99
	s_wait_alu 0xfffd
	v_cndmask_b32_e32 v65, 0, v65, vcc_lo
	v_cmp_ngt_f32_e32 vcc_lo, 0xc2ce8ed0, v100
	s_wait_alu 0xfffd
	v_dual_max_num_f32 v69, v62, v69 :: v_dual_cndmask_b32 v62, 0, v74
	v_cmp_ngt_f32_e32 vcc_lo, 0xc2ce8ed0, v101
	ds_bpermute_b32 v3, v3, v69
	s_wait_alu 0xfffd
	v_cndmask_b32_e32 v74, 0, v77, vcc_lo
	v_cmp_nlt_f32_e32 vcc_lo, 0x42b17218, v98
	s_wait_alu 0xfffd
	v_cndmask_b32_e32 v64, 0x7f800000, v64, vcc_lo
	v_cmp_nlt_f32_e32 vcc_lo, 0x42b17218, v99
	s_wait_alu 0xfffd
	v_cndmask_b32_e32 v65, 0x7f800000, v65, vcc_lo
	v_cmp_ngt_f32_e32 vcc_lo, 0xc2ce8ed0, v60
	s_wait_dscnt 0x0
	v_max_num_f32_e32 v3, v3, v3
	s_wait_alu 0xfffd
	v_cndmask_b32_e32 v77, 0, v82, vcc_lo
	v_cmp_nlt_f32_e32 vcc_lo, 0x42b17218, v100
	s_delay_alu instid0(VALU_DEP_3)
	v_max_num_f32_e32 v3, v69, v3
	v_sub_f32_e32 v69, v73, v1
	v_cvt_i32_f32_e32 v73, v115
	s_wait_alu 0xfffd
	v_cndmask_b32_e32 v82, 0x7f800000, v62, vcc_lo
	v_cmp_nlt_f32_e32 vcc_lo, 0x42b17218, v101
	v_dual_sub_f32 v75, v75, v3 :: v_dual_mul_f32 v98, 0x3fb8aa3b, v69
	v_sub_f32_e32 v76, v76, v3
	s_wait_alu 0xfffd
	v_cndmask_b32_e32 v74, 0x7f800000, v74, vcc_lo
	v_cmp_nlt_f32_e32 vcc_lo, 0x42b17218, v60
	s_wait_alu 0xfffd
	v_cndmask_b32_e32 v60, 0x7f800000, v77, vcc_lo
	v_exp_f32_e32 v77, v107
	v_cmp_ngt_f32_e32 vcc_lo, 0xc2ce8ed0, v102
	s_delay_alu instid0(VALU_DEP_2) | instskip(SKIP_2) | instid1(VALU_DEP_2)
	v_cvt_f16_f32_e32 v83, v60
	v_add_f32_e32 v62, v64, v65
	v_cvt_f16_f32_e32 v64, v64
	v_dual_add_f32 v62, v82, v62 :: v_dual_and_b32 v83, 0xffff, v83
	v_cvt_f16_f32_e32 v65, v65
	v_cvt_f16_f32_e32 v82, v82
	s_delay_alu instid0(VALU_DEP_3) | instskip(NEXT) | instid1(VALU_DEP_4)
	v_mul_u32_u24_e32 v83, 0x10001, v83
	v_add_f32_e32 v62, v74, v62
	v_cvt_f16_f32_e32 v74, v74
	s_delay_alu instid0(VALU_DEP_3) | instskip(NEXT) | instid1(VALU_DEP_3)
	v_pk_mul_f16 v99, v52, v83
	v_fmac_f32_e32 v62, v59, v60
	v_fma_f32 v59, 0x3fb8aa3b, v84, -v63
	v_rndne_f32_e32 v60, v63
	s_delay_alu instid0(VALU_DEP_2) | instskip(NEXT) | instid1(VALU_DEP_2)
	v_fmac_f32_e32 v59, 0x32a5705f, v84
	v_sub_f32_e32 v63, v63, v60
	v_cvt_i32_f32_e32 v60, v60
	s_delay_alu instid0(VALU_DEP_2) | instskip(SKIP_1) | instid1(VALU_DEP_2)
	v_add_f32_e32 v59, v63, v59
	v_fma_f32 v63, 0x3fb8aa3b, v69, -v98
	v_exp_f32_e32 v59, v59
	s_delay_alu instid0(VALU_DEP_1) | instskip(SKIP_4) | instid1(VALU_DEP_1)
	v_fmac_f32_e32 v63, 0x32a5705f, v69
	v_sub_f32_e32 v52, v58, v1
	v_ldexp_f32 v58, v77, v73
	v_rndne_f32_e32 v73, v98
	s_wait_alu 0xfffd
	v_dual_cndmask_b32 v58, 0, v58 :: v_dual_sub_f32 v77, v98, v73
	v_cmp_nlt_f32_e32 vcc_lo, 0x42b17218, v102
	s_delay_alu instid0(TRANS32_DEP_1) | instskip(SKIP_1) | instid1(VALU_DEP_4)
	v_ldexp_f32 v59, v59, v60
	v_cvt_i32_f32_e32 v73, v73
	v_dual_add_f32 v63, v77, v63 :: v_dual_sub_f32 v72, v72, v1
	v_mul_f32_e32 v101, 0x3fb8aa3b, v52
	s_wait_alu 0xfffd
	v_cndmask_b32_e32 v58, 0x7f800000, v58, vcc_lo
	v_cmp_ngt_f32_e32 vcc_lo, 0xc2ce8ed0, v84
	v_exp_f32_e32 v60, v63
	v_mul_f32_e32 v98, 0x3fb8aa3b, v72
	v_rndne_f32_e32 v102, v101
	s_wait_alu 0xfffd
	v_cndmask_b32_e32 v59, 0, v59, vcc_lo
	v_cmp_nlt_f32_e32 vcc_lo, 0x42b17218, v84
	v_fma_f32 v77, 0x3fb8aa3b, v72, -v98
	v_rndne_f32_e32 v100, v98
	s_wait_alu 0xfffd
	v_cndmask_b32_e32 v59, 0x7f800000, v59, vcc_lo
	v_ldexp_f32 v60, v60, v73
	s_delay_alu instid0(VALU_DEP_3)
	v_sub_f32_e32 v63, v98, v100
	v_fmac_f32_e32 v77, 0x32a5705f, v72
	v_fma_f32 v98, 0x3fb8aa3b, v52, -v101
	v_cvt_f16_f32_e32 v84, v58
	v_add_f32_e32 v58, v58, v59
	v_cmp_ngt_f32_e32 vcc_lo, 0xc2ce8ed0, v69
	s_delay_alu instid0(VALU_DEP_4) | instskip(SKIP_2) | instid1(VALU_DEP_2)
	v_dual_add_f32 v63, v63, v77 :: v_dual_fmac_f32 v98, 0x32a5705f, v52
	s_wait_alu 0xfffd
	v_dual_sub_f32 v77, v101, v102 :: v_dual_cndmask_b32 v60, 0, v60
	v_exp_f32_e32 v63, v63
	v_cmp_nlt_f32_e32 vcc_lo, 0x42b17218, v69
	s_delay_alu instid0(VALU_DEP_2)
	v_add_f32_e32 v73, v77, v98
	v_cvt_i32_f32_e32 v77, v100
	v_cvt_i32_f32_e32 v69, v102
	v_mul_f32_e32 v100, 0x3fb8aa3b, v66
	s_wait_alu 0xfffd
	v_cndmask_b32_e32 v60, 0x7f800000, v60, vcc_lo
	v_cmp_ngt_f32_e32 vcc_lo, 0xc2ce8ed0, v72
	v_exp_f32_e32 v73, v73
	v_ldexp_f32 v63, v63, v77
	s_delay_alu instid0(VALU_DEP_3) | instskip(SKIP_2) | instid1(VALU_DEP_3)
	v_add_f32_e32 v58, v60, v58
	v_cvt_f16_f32_e32 v59, v59
	s_wait_alu 0xfffd
	v_cndmask_b32_e32 v63, 0, v63, vcc_lo
	v_cmp_nlt_f32_e32 vcc_lo, 0x42b17218, v72
	v_sub_f32_e32 v85, v85, v2
	s_delay_alu instid0(TRANS32_DEP_1) | instskip(SKIP_2) | instid1(VALU_DEP_3)
	v_ldexp_f32 v69, v73, v69
	s_wait_alu 0xfffd
	v_cndmask_b32_e32 v72, 0x7f800000, v63, vcc_lo
	v_mul_f32_e32 v77, 0x3fb8aa3b, v85
	v_cmp_ngt_f32_e32 vcc_lo, 0xc2ce8ed0, v52
	s_delay_alu instid0(VALU_DEP_3) | instskip(NEXT) | instid1(VALU_DEP_3)
	v_add_f32_e32 v63, v72, v58
	v_fma_f32 v73, 0x3fb8aa3b, v85, -v77
	v_rndne_f32_e32 v98, v77
	s_wait_alu 0xfffd
	v_cndmask_b32_e32 v69, 0, v69, vcc_lo
	v_cmp_nlt_f32_e32 vcc_lo, 0x42b17218, v52
	v_cvt_f16_f32_e32 v72, v72
	v_fmac_f32_e32 v73, 0x32a5705f, v85
	s_wait_alu 0xfffd
	v_dual_sub_f32 v77, v77, v98 :: v_dual_cndmask_b32 v52, 0x7f800000, v69
	v_mul_f32_e32 v69, 0x3fb8aa3b, v68
	v_cmp_ngt_f32_e32 vcc_lo, 0xc2ce8ed0, v85
	s_delay_alu instid0(VALU_DEP_3)
	v_add_f32_e32 v58, v77, v73
	v_cvt_f16_f32_e32 v73, v60
	v_cvt_i32_f32_e32 v77, v98
	v_rndne_f32_e32 v60, v69
	v_dual_mul_f32 v98, 0x3fb8aa3b, v67 :: v_dual_fmac_f32 v63, v57, v52
	v_exp_f32_e32 v57, v58
	v_fma_f32 v58, 0x3fb8aa3b, v68, -v69
	s_delay_alu instid0(VALU_DEP_3) | instskip(SKIP_2) | instid1(VALU_DEP_4)
	v_sub_f32_e32 v69, v69, v60
	v_cvt_f16_f32_e32 v52, v52
	v_cvt_i32_f32_e32 v60, v60
	v_fmac_f32_e32 v58, 0x32a5705f, v68
	s_delay_alu instid0(VALU_DEP_3) | instskip(NEXT) | instid1(TRANS32_DEP_1)
	v_and_b32_e32 v52, 0xffff, v52
	v_ldexp_f32 v57, v57, v77
	s_delay_alu instid0(VALU_DEP_3)
	v_add_f32_e32 v58, v69, v58
	v_fma_f32 v69, 0x3fb8aa3b, v67, -v98
	v_rndne_f32_e32 v77, v98
	s_wait_alu 0xfffd
	v_cndmask_b32_e32 v57, 0, v57, vcc_lo
	v_exp_f32_e32 v58, v58
	v_cmp_nlt_f32_e32 vcc_lo, 0x42b17218, v85
	v_sub_f32_e32 v98, v98, v77
	v_fma_f32 v85, 0x3fb8aa3b, v66, -v100
	v_cvt_i32_f32_e32 v77, v77
	s_wait_alu 0xfffd
	v_cndmask_b32_e32 v57, 0x7f800000, v57, vcc_lo
	v_cmp_ngt_f32_e32 vcc_lo, 0xc2ce8ed0, v68
	v_fmac_f32_e32 v85, 0x32a5705f, v66
	s_delay_alu instid0(TRANS32_DEP_1) | instskip(SKIP_3) | instid1(VALU_DEP_2)
	v_ldexp_f32 v58, v58, v60
	v_fmac_f32_e32 v69, 0x32a5705f, v67
	v_cvt_f16_f32_e32 v101, v57
	s_wait_alu 0xfffd
	v_dual_cndmask_b32 v58, 0, v58 :: v_dual_add_f32 v69, v98, v69
	v_rndne_f32_e32 v98, v100
	v_cmp_nlt_f32_e32 vcc_lo, 0x42b17218, v68
	s_delay_alu instid0(VALU_DEP_3) | instskip(NEXT) | instid1(VALU_DEP_2)
	v_exp_f32_e32 v60, v69
	v_dual_sub_f32 v69, v100, v98 :: v_dual_mul_f32 v100, 0x3fb8aa3b, v56
	s_wait_alu 0xfffd
	v_cndmask_b32_e32 v58, 0x7f800000, v58, vcc_lo
	v_cmp_ngt_f32_e32 vcc_lo, 0xc2ce8ed0, v67
	s_delay_alu instid0(VALU_DEP_3) | instskip(SKIP_2) | instid1(TRANS32_DEP_1)
	v_add_f32_e32 v69, v69, v85
	v_fma_f32 v85, 0x3fb8aa3b, v56, -v100
	v_rndne_f32_e32 v102, v100
	v_ldexp_f32 v60, v60, v77
	s_delay_alu instid0(VALU_DEP_4) | instskip(SKIP_1) | instid1(VALU_DEP_3)
	v_exp_f32_e32 v68, v69
	v_add_f32_e32 v77, v57, v58
	v_sub_f32_e32 v69, v100, v102
	s_wait_alu 0xfffd
	v_cndmask_b32_e32 v57, 0, v60, vcc_lo
	v_cvt_i32_f32_e32 v60, v98
	v_cmp_nlt_f32_e32 vcc_lo, 0x42b17218, v67
	s_wait_alu 0xfffd
	s_delay_alu instid0(VALU_DEP_3)
	v_cndmask_b32_e32 v67, 0x7f800000, v57, vcc_lo
	v_cvt_f16_f32_e32 v57, v58
	v_ldexp_f32 v58, v68, v60
	v_cmp_ngt_f32_e32 vcc_lo, 0xc2ce8ed0, v66
	v_fmac_f32_e32 v85, 0x32a5705f, v56
	v_mul_f32_e32 v68, 0x3fb8aa3b, v76
	s_wait_alu 0xfffd
	v_cndmask_b32_e32 v58, 0, v58, vcc_lo
	v_cmp_nlt_f32_e32 vcc_lo, 0x42b17218, v66
	v_add_f32_e32 v69, v69, v85
	v_cvt_i32_f32_e32 v85, v102
	v_fma_f32 v98, 0x3fb8aa3b, v76, -v68
	v_rndne_f32_e32 v100, v68
	s_wait_alu 0xfffd
	v_cndmask_b32_e32 v66, 0x7f800000, v58, vcc_lo
	v_exp_f32_e32 v60, v69
	v_cmp_ngt_f32_e32 vcc_lo, 0xc2ce8ed0, v56
	v_fmac_f32_e32 v98, 0x32a5705f, v76
	s_delay_alu instid0(TRANS32_DEP_1)
	v_ldexp_f32 v58, v60, v85
	v_sub_f32_e32 v60, v68, v100
	v_mul_f32_e32 v68, 0x3fb8aa3b, v75
	v_cvt_f16_f32_e32 v85, v66
	s_wait_alu 0xfffd
	v_cndmask_b32_e32 v58, 0, v58, vcc_lo
	v_add_f32_e32 v60, v60, v98
	v_rndne_f32_e32 v102, v68
	v_cmp_nlt_f32_e32 vcc_lo, 0x42b17218, v56
	v_cvt_f16_f32_e32 v69, v67
	s_delay_alu instid0(VALU_DEP_4)
	v_exp_f32_e32 v56, v60
	s_wait_alu 0xfffd
	v_cndmask_b32_e32 v103, 0x7f800000, v58, vcc_lo
	v_sub_f32_e32 v58, v68, v102
	v_fma_f32 v98, 0x3fb8aa3b, v75, -v68
	v_sub_f32_e32 v68, v70, v3
	v_cvt_i32_f32_e32 v70, v100
	v_cmp_ngt_f32_e32 vcc_lo, 0xc2ce8ed0, v76
	v_sub_f32_e32 v71, v71, v3
	v_fmac_f32_e32 v98, 0x32a5705f, v75
	v_sub_f32_e32 v100, v55, v3
	v_ldexp_f32 v56, v56, v70
	v_cvt_i32_f32_e32 v102, v102
	s_delay_alu instid0(VALU_DEP_4) | instskip(SKIP_1) | instid1(VALU_DEP_3)
	v_dual_add_f32 v55, v58, v98 :: v_dual_mul_f32 v98, 0x3fb8aa3b, v68
	s_wait_alu 0xfffd
	v_cndmask_b32_e32 v56, 0, v56, vcc_lo
	v_cmp_nlt_f32_e32 vcc_lo, 0x42b17218, v76
	s_delay_alu instid0(VALU_DEP_3)
	v_exp_f32_e32 v55, v55
	v_fma_f32 v104, 0x3fb8aa3b, v68, -v98
	v_rndne_f32_e32 v105, v98
	s_wait_alu 0xfffd
	v_cndmask_b32_e32 v76, 0x7f800000, v56, vcc_lo
	v_mul_f32_e32 v60, 0x3fb8aa3b, v71
	v_cmp_ngt_f32_e32 vcc_lo, 0xc2ce8ed0, v75
	v_fmac_f32_e32 v104, 0x32a5705f, v68
	s_delay_alu instid0(VALU_DEP_3) | instskip(SKIP_2) | instid1(VALU_DEP_3)
	v_fma_f32 v58, 0x3fb8aa3b, v71, -v60
	v_rndne_f32_e32 v70, v60
	v_ldexp_f32 v55, v55, v102
	v_fmac_f32_e32 v58, 0x32a5705f, v71
	s_wait_alu 0xfffd
	s_delay_alu instid0(VALU_DEP_2) | instskip(SKIP_2) | instid1(VALU_DEP_3)
	v_dual_sub_f32 v60, v60, v70 :: v_dual_cndmask_b32 v55, 0, v55
	v_cvt_i32_f32_e32 v70, v70
	v_cmp_nlt_f32_e32 vcc_lo, 0x42b17218, v75
	v_add_f32_e32 v58, v60, v58
	v_mul_f32_e32 v60, 0x3fb8aa3b, v100
	s_delay_alu instid0(VALU_DEP_2) | instskip(NEXT) | instid1(VALU_DEP_1)
	v_exp_f32_e32 v58, v58
	v_rndne_f32_e32 v102, v60
	s_delay_alu instid0(TRANS32_DEP_1)
	v_ldexp_f32 v58, v58, v70
	s_wait_alu 0xfffd
	v_cndmask_b32_e32 v70, 0x7f800000, v55, vcc_lo
	v_cmp_ngt_f32_e32 vcc_lo, 0xc2ce8ed0, v71
	s_wait_alu 0xfffd
	v_cndmask_b32_e32 v58, 0, v58, vcc_lo
	v_sub_f32_e32 v98, v98, v105
	v_cmp_ngt_f32_e32 vcc_lo, 0xc2ce8ed0, v68
	s_delay_alu instid0(VALU_DEP_2) | instskip(SKIP_3) | instid1(VALU_DEP_4)
	v_add_f32_e32 v56, v98, v104
	v_cvt_i32_f32_e32 v104, v105
	v_fma_f32 v98, 0x3fb8aa3b, v100, -v60
	v_sub_f32_e32 v60, v60, v102
	v_exp_f32_e32 v56, v56
	s_delay_alu instid0(VALU_DEP_2) | instskip(NEXT) | instid1(TRANS32_DEP_1)
	v_fmac_f32_e32 v98, 0x32a5705f, v100
	v_ldexp_f32 v55, v56, v104
	s_delay_alu instid0(VALU_DEP_2)
	v_add_f32_e32 v56, v60, v98
	v_cvt_f16_f32_e32 v60, v70
	v_add_nc_u32_e32 v104, v39, v11
	s_wait_alu 0xfffd
	v_cndmask_b32_e32 v55, 0, v55, vcc_lo
	v_cmp_nlt_f32_e32 vcc_lo, 0x42b17218, v71
	v_exp_f32_e32 v56, v56
	s_wait_alu 0xfffd
	v_cndmask_b32_e32 v71, 0x7f800000, v58, vcc_lo
	v_cmp_nlt_f32_e32 vcc_lo, 0x42b17218, v68
	v_cvt_f16_f32_e32 v58, v76
	s_delay_alu instid0(VALU_DEP_3) | instskip(SKIP_4) | instid1(VALU_DEP_3)
	v_cvt_f16_f32_e32 v68, v71
	s_wait_alu 0xfffd
	v_cndmask_b32_e32 v75, 0x7f800000, v55, vcc_lo
	v_cvt_i32_f32_e32 v55, v102
	v_cmp_ngt_f32_e32 vcc_lo, 0xc2ce8ed0, v100
	v_cvt_f16_f32_e32 v98, v75
	s_delay_alu instid0(VALU_DEP_3)
	v_ldexp_f32 v102, v56, v55
	v_pack_b32_f16 v56, v101, v58
	v_pack_b32_f16 v55, v64, v84
	;; [unrolled: 1-line block ×8, first 2 shown]
	ds_store_2addr_b64 v104, v[55:56], v[57:58] offset1:32
	ds_store_2addr_b64 v104, v[59:60], v[64:65] offset0:64 offset1:96
	s_wait_loadcnt 0x3
	ds_store_b128 v38, v[78:81]
	s_wait_loadcnt 0x2
	ds_store_b128 v40, v[86:89]
	;; [unrolled: 2-line block ×4, first 2 shown]
	s_wait_dscnt 0x0
	s_barrier_signal -1
	s_barrier_wait -1
	global_inv scope:SCOPE_SE
	ds_load_b128 v[55:58], v39
	v_add_f32_e32 v64, v67, v77
	v_cvt_f16_f32_e32 v68, v103
	s_wait_alu 0xfffd
	v_cndmask_b32_e32 v69, 0, v102, vcc_lo
	v_cmp_nlt_f32_e32 vcc_lo, 0x42b17218, v100
	v_mul_u32_u24_e32 v78, 0x10001, v52
	v_add_f32_e32 v65, v66, v64
	v_and_b32_e32 v52, 0xffff, v68
	s_wait_alu 0xfffd
	v_cndmask_b32_e32 v60, 0x7f800000, v69, vcc_lo
	ds_load_2addr_b64 v[66:69], v11 offset1:32
	v_fmac_f32_e32 v65, v53, v103
	v_add_f32_e32 v59, v76, v70
	v_mul_u32_u24_e32 v79, 0x10001, v52
	v_cvt_f16_f32_e32 v70, v60
	v_pk_mul_f16 v50, v50, v78
	s_wait_alu 0xfffe
	v_add_co_u32 v142, vcc_lo, s26, v16
	s_delay_alu instid0(VALU_DEP_3)
	v_dual_add_f32 v59, v71, v59 :: v_dual_and_b32 v52, 0xffff, v70
	ds_load_b128 v[70:73], v39 offset:16
	s_wait_dscnt 0x2
	v_and_b32_e32 v53, 0xffff, v55
	v_pk_mul_f16 v48, v48, v79
	v_add_f32_e32 v64, v75, v59
	v_mul_u32_u24_e32 v52, 0x10001, v52
	s_wait_alu 0xfffd
	v_add_co_ci_u32_e64 v143, null, s27, v17, vcc_lo
	v_mul_u32_u24_e32 v59, 0x10001, v53
	v_fmac_f32_e32 v64, v54, v60
	v_lshrrev_b32_e32 v54, 16, v55
	v_and_b32_e32 v55, 0xffff, v56
	v_lshrrev_b32_e32 v56, 16, v56
	v_pk_mul_f16 v46, v46, v52
	v_pk_mul_f16 v81, v45, v52
	v_mul_u32_u24_e32 v60, 0x10001, v54
	v_mul_u32_u24_e32 v80, 0x10001, v55
	;; [unrolled: 1-line block ×3, first 2 shown]
	s_wait_dscnt 0x1
	v_pk_mul_f16 v45, v66, v59
	ds_load_b128 v[52:55], v39 offset:32
	ds_load_b128 v[74:77], v39 offset:48
	v_pk_mul_f16 v82, v66, v60
	v_pk_mul_f16 v84, v66, v80
	v_pk_fma_f16 v66, v66, v56, v46
	v_pk_fma_f16 v51, v51, v83, v45
	v_and_b32_e32 v45, 0xffff, v57
	v_lshrrev_b32_e32 v46, 16, v57
	v_pk_fma_f16 v49, v49, v78, v82
	v_pk_fma_f16 v78, v47, v79, v84
	;; [unrolled: 1-line block ×4, first 2 shown]
	v_and_b32_e32 v60, 0xffff, v58
	v_lshrrev_b32_e32 v58, 16, v58
	v_mul_u32_u24_e32 v79, 0x10001, v45
	v_mul_u32_u24_e32 v80, 0x10001, v46
	ds_load_2addr_b64 v[45:48], v11 offset0:64 offset1:96
	v_mul_u32_u24_e32 v60, 0x10001, v60
	v_mul_u32_u24_e32 v58, 0x10001, v58
	v_pk_fma_f16 v59, v67, v59, v99
	v_pk_fma_f16 v56, v67, v56, v81
	;; [unrolled: 1-line block ×6, first 2 shown]
	s_wait_dscnt 0x3
	v_and_b32_e32 v68, 0xffff, v70
	v_lshrrev_b32_e32 v70, 16, v70
	v_and_b32_e32 v78, 0xffff, v71
	v_lshrrev_b32_e32 v71, 16, v71
	v_pk_fma_f16 v59, v69, v79, v59
	v_pk_fma_f16 v50, v69, v80, v50
	v_pk_fma_f16 v57, v69, v60, v57
	v_mul_u32_u24_e32 v60, 0x10001, v68
	v_mul_u32_u24_e32 v68, 0x10001, v70
	;; [unrolled: 1-line block ×4, first 2 shown]
	v_pk_fma_f16 v69, v69, v58, v56
	v_and_b32_e32 v56, 0xffff, v72
	v_lshrrev_b32_e32 v58, 16, v72
	s_wait_dscnt 0x0
	v_pk_fma_f16 v51, v45, v60, v51
	v_pk_fma_f16 v49, v45, v68, v49
	v_pk_fma_f16 v67, v45, v70, v67
	v_pk_fma_f16 v45, v45, v71, v66
	v_pk_fma_f16 v60, v46, v60, v59
	v_pk_fma_f16 v50, v46, v68, v50
	v_pk_fma_f16 v66, v46, v70, v57
	v_and_b32_e32 v68, 0xffff, v73
	v_lshrrev_b32_e32 v70, 16, v73
	v_mul_u32_u24_e32 v72, 0x10001, v56
	v_mul_u32_u24_e32 v73, 0x10001, v58
	ds_load_2addr_b64 v[56:59], v11 offset0:128 offset1:160
	v_mul_u32_u24_e32 v68, 0x10001, v68
	v_mul_u32_u24_e32 v70, 0x10001, v70
	v_pk_fma_f16 v46, v46, v71, v69
	v_pk_fma_f16 v51, v47, v72, v51
	;; [unrolled: 1-line block ×6, first 2 shown]
	v_and_b32_e32 v60, 0xffff, v52
	v_lshrrev_b32_e32 v52, 16, v52
	v_and_b32_e32 v69, 0xffff, v53
	v_lshrrev_b32_e32 v53, 16, v53
	v_pk_fma_f16 v66, v48, v68, v66
	v_mul_u32_u24_e32 v60, 0x10001, v60
	v_mul_u32_u24_e32 v52, 0x10001, v52
	;; [unrolled: 1-line block ×4, first 2 shown]
	v_pk_fma_f16 v50, v48, v73, v50
	v_pk_fma_f16 v46, v48, v70, v46
	s_wait_dscnt 0x0
	v_pk_fma_f16 v51, v56, v60, v51
	v_pk_fma_f16 v69, v56, v52, v49
	;; [unrolled: 1-line block ×5, first 2 shown]
	v_and_b32_e32 v47, 0xffff, v54
	v_lshrrev_b32_e32 v48, 16, v54
	v_pk_fma_f16 v52, v57, v52, v50
	v_pk_fma_f16 v54, v57, v68, v66
	v_and_b32_e32 v60, 0xffff, v55
	v_lshrrev_b32_e32 v55, 16, v55
	v_mul_u32_u24_e32 v66, 0x10001, v47
	v_mul_u32_u24_e32 v68, 0x10001, v48
	ds_load_2addr_b64 v[47:50], v11 offset0:192 offset1:224
	v_mul_u32_u24_e32 v60, 0x10001, v60
	v_mul_u32_u24_e32 v55, 0x10001, v55
	v_pk_fma_f16 v46, v57, v53, v46
	v_pk_fma_f16 v51, v58, v66, v51
	;; [unrolled: 1-line block ×6, first 2 shown]
	v_and_b32_e32 v58, 0xffff, v74
	v_lshrrev_b32_e32 v66, 16, v74
	v_pk_fma_f16 v52, v59, v68, v52
	v_and_b32_e32 v67, 0xffff, v75
	v_lshrrev_b32_e32 v68, 16, v75
	v_pk_fma_f16 v60, v59, v60, v54
	v_mul_u32_u24_e32 v54, 0x10001, v58
	v_mul_u32_u24_e32 v58, 0x10001, v66
	;; [unrolled: 1-line block ×4, first 2 shown]
	v_pk_fma_f16 v46, v59, v55, v46
	s_wait_dscnt 0x0
	v_pk_fma_f16 v59, v47, v54, v51
	v_pk_fma_f16 v68, v47, v58, v53
	;; [unrolled: 1-line block ×4, first 2 shown]
	ds_load_b128 v[51:54], v39 offset:64
	v_pk_fma_f16 v69, v47, v66, v57
	v_pk_fma_f16 v45, v47, v67, v45
	v_and_b32_e32 v55, 0xffff, v76
	v_lshrrev_b32_e32 v56, 16, v76
	v_and_b32_e32 v57, 0xffff, v77
	v_add_nc_u32_e32 v47, 0x800, v11
	v_pk_fma_f16 v60, v48, v66, v60
	v_lshrrev_b32_e32 v66, 16, v77
	v_mul_u32_u24_e32 v72, 0x10001, v55
	v_mul_u32_u24_e32 v73, 0x10001, v56
	;; [unrolled: 1-line block ×3, first 2 shown]
	ds_load_2addr_b64 v[55:58], v47 offset1:32
	v_mul_u32_u24_e32 v75, 0x10001, v66
	v_pk_fma_f16 v46, v48, v67, v46
	v_pk_fma_f16 v48, v49, v72, v59
	;; [unrolled: 1-line block ×7, first 2 shown]
	ds_load_b128 v[66:69], v39 offset:80
	s_wait_dscnt 0x2
	v_and_b32_e32 v71, 0xffff, v51
	v_lshrrev_b32_e32 v51, 16, v51
	v_and_b32_e32 v72, 0xffff, v52
	v_lshrrev_b32_e32 v52, 16, v52
	v_pk_fma_f16 v60, v50, v74, v60
	v_mul_u32_u24_e32 v71, 0x10001, v71
	v_mul_u32_u24_e32 v51, 0x10001, v51
	;; [unrolled: 1-line block ×4, first 2 shown]
	v_pk_fma_f16 v46, v50, v75, v46
	s_wait_dscnt 0x1
	v_pk_fma_f16 v73, v55, v71, v48
	v_pk_fma_f16 v59, v55, v51, v59
	;; [unrolled: 1-line block ×5, first 2 shown]
	v_and_b32_e32 v48, 0xffff, v53
	v_lshrrev_b32_e32 v49, 16, v53
	v_pk_fma_f16 v70, v56, v51, v70
	v_pk_fma_f16 v53, v56, v72, v60
	v_and_b32_e32 v60, 0xffff, v54
	v_lshrrev_b32_e32 v54, 16, v54
	v_mul_u32_u24_e32 v71, 0x10001, v48
	v_mul_u32_u24_e32 v72, 0x10001, v49
	ds_load_2addr_b64 v[48:51], v47 offset0:64 offset1:96
	v_mul_u32_u24_e32 v60, 0x10001, v60
	v_mul_u32_u24_e32 v54, 0x10001, v54
	v_pk_fma_f16 v46, v56, v52, v46
	v_pk_fma_f16 v52, v57, v71, v73
	;; [unrolled: 1-line block ×7, first 2 shown]
	s_wait_dscnt 0x1
	v_and_b32_e32 v70, 0xffff, v66
	v_lshrrev_b32_e32 v66, 16, v66
	v_and_b32_e32 v71, 0xffff, v67
	v_lshrrev_b32_e32 v67, 16, v67
	v_pk_fma_f16 v60, v58, v60, v53
	v_mul_u32_u24_e32 v53, 0x10001, v70
	v_mul_u32_u24_e32 v66, 0x10001, v66
	;; [unrolled: 1-line block ×4, first 2 shown]
	v_pk_fma_f16 v46, v58, v54, v46
	s_wait_dscnt 0x0
	v_pk_fma_f16 v71, v48, v53, v52
	v_pk_fma_f16 v72, v48, v66, v56
	;; [unrolled: 1-line block ×5, first 2 shown]
	ds_load_b128 v[52:55], v39 offset:96
	v_pk_fma_f16 v66, v49, v66, v57
	v_and_b32_e32 v56, 0xffff, v68
	v_lshrrev_b32_e32 v57, 16, v68
	v_and_b32_e32 v58, 0xffff, v69
	v_pk_fma_f16 v60, v49, v70, v60
	v_lshrrev_b32_e32 v68, 16, v69
	v_mul_u32_u24_e32 v69, 0x10001, v56
	v_mul_u32_u24_e32 v70, 0x10001, v57
	;; [unrolled: 1-line block ×3, first 2 shown]
	ds_load_2addr_b64 v[56:59], v47 offset0:128 offset1:160
	v_mul_u32_u24_e32 v75, 0x10001, v68
	v_pk_fma_f16 v46, v49, v67, v46
	v_pk_fma_f16 v49, v50, v69, v71
	;; [unrolled: 1-line block ×7, first 2 shown]
	ds_load_b128 v[66:69], v39 offset:112
	s_wait_dscnt 0x2
	v_and_b32_e32 v70, 0xffff, v52
	v_lshrrev_b32_e32 v52, 16, v52
	v_and_b32_e32 v73, 0xffff, v53
	v_lshrrev_b32_e32 v53, 16, v53
	v_pk_fma_f16 v60, v51, v74, v60
	v_mul_u32_u24_e32 v70, 0x10001, v70
	v_mul_u32_u24_e32 v52, 0x10001, v52
	;; [unrolled: 1-line block ×4, first 2 shown]
	v_pk_fma_f16 v46, v51, v75, v46
	s_wait_dscnt 0x1
	v_pk_fma_f16 v74, v56, v70, v49
	v_pk_fma_f16 v71, v56, v52, v71
	;; [unrolled: 1-line block ×5, first 2 shown]
	v_and_b32_e32 v48, 0xffff, v54
	v_lshrrev_b32_e32 v49, 16, v54
	v_pk_fma_f16 v52, v57, v52, v50
	v_pk_fma_f16 v54, v57, v73, v60
	v_and_b32_e32 v60, 0xffff, v55
	v_lshrrev_b32_e32 v55, 16, v55
	v_mul_u32_u24_e32 v70, 0x10001, v48
	v_mul_u32_u24_e32 v73, 0x10001, v49
	ds_load_2addr_b64 v[48:51], v47 offset0:192 offset1:224
	v_mul_u32_u24_e32 v60, 0x10001, v60
	v_mul_u32_u24_e32 v55, 0x10001, v55
	v_pk_fma_f16 v46, v57, v53, v46
	v_pk_fma_f16 v53, v58, v70, v74
	;; [unrolled: 1-line block ×5, first 2 shown]
	s_wait_dscnt 0x1
	v_and_b32_e32 v58, 0xffff, v66
	v_lshrrev_b32_e32 v66, 16, v66
	v_pk_fma_f16 v56, v59, v70, v56
	v_pk_fma_f16 v52, v59, v73, v52
	v_and_b32_e32 v70, 0xffff, v67
	v_lshrrev_b32_e32 v67, 16, v67
	v_pk_fma_f16 v60, v59, v60, v54
	v_mul_u32_u24_e32 v54, 0x10001, v58
	v_mul_u32_u24_e32 v58, 0x10001, v66
	;; [unrolled: 1-line block ×4, first 2 shown]
	v_pk_fma_f16 v46, v59, v55, v46
	s_wait_dscnt 0x0
	v_pk_fma_f16 v70, v48, v54, v53
	v_pk_fma_f16 v73, v49, v54, v56
	;; [unrolled: 1-line block ×3, first 2 shown]
	ds_load_b128 v[52:55], v39 offset:128
	v_pk_fma_f16 v72, v48, v58, v57
	v_pk_fma_f16 v71, v48, v66, v71
	;; [unrolled: 1-line block ×3, first 2 shown]
	v_and_b32_e32 v56, 0xffff, v68
	v_lshrrev_b32_e32 v57, 16, v68
	v_and_b32_e32 v58, 0xffff, v69
	v_add_nc_u32_e32 v48, 0x1000, v11
	v_pk_fma_f16 v60, v49, v66, v60
	v_lshrrev_b32_e32 v66, 16, v69
	v_mul_u32_u24_e32 v68, 0x10001, v56
	v_mul_u32_u24_e32 v69, 0x10001, v57
	v_mul_u32_u24_e32 v75, 0x10001, v58
	ds_load_2addr_b64 v[56:59], v48 offset1:32
	v_mul_u32_u24_e32 v76, 0x10001, v66
	v_pk_fma_f16 v46, v49, v67, v46
	v_pk_fma_f16 v49, v50, v68, v70
	;; [unrolled: 1-line block ×7, first 2 shown]
	ds_load_b128 v[66:69], v39 offset:144
	s_wait_dscnt 0x2
	v_and_b32_e32 v73, 0xffff, v52
	v_lshrrev_b32_e32 v52, 16, v52
	v_and_b32_e32 v74, 0xffff, v53
	v_lshrrev_b32_e32 v53, 16, v53
	v_pk_fma_f16 v60, v51, v75, v60
	v_mul_u32_u24_e32 v73, 0x10001, v73
	v_mul_u32_u24_e32 v52, 0x10001, v52
	;; [unrolled: 1-line block ×4, first 2 shown]
	v_pk_fma_f16 v46, v51, v76, v46
	s_wait_dscnt 0x1
	v_pk_fma_f16 v75, v56, v73, v49
	v_pk_fma_f16 v70, v56, v52, v70
	;; [unrolled: 1-line block ×5, first 2 shown]
	v_and_b32_e32 v49, 0xffff, v54
	v_lshrrev_b32_e32 v50, 16, v54
	v_pk_fma_f16 v72, v57, v52, v72
	v_pk_fma_f16 v54, v57, v74, v60
	v_and_b32_e32 v60, 0xffff, v55
	v_lshrrev_b32_e32 v55, 16, v55
	v_mul_u32_u24_e32 v73, 0x10001, v49
	v_mul_u32_u24_e32 v74, 0x10001, v50
	ds_load_2addr_b64 v[49:52], v48 offset0:64 offset1:96
	v_mul_u32_u24_e32 v60, 0x10001, v60
	v_mul_u32_u24_e32 v55, 0x10001, v55
	v_pk_fma_f16 v46, v57, v53, v46
	v_pk_fma_f16 v53, v58, v73, v75
	v_pk_fma_f16 v57, v58, v74, v70
	v_pk_fma_f16 v70, v58, v60, v71
	v_pk_fma_f16 v45, v58, v55, v45
	v_pk_fma_f16 v58, v59, v74, v72
	s_wait_dscnt 0x1
	v_and_b32_e32 v71, 0xffff, v66
	v_lshrrev_b32_e32 v66, 16, v66
	v_and_b32_e32 v72, 0xffff, v67
	v_lshrrev_b32_e32 v67, 16, v67
	v_pk_fma_f16 v56, v59, v73, v56
	v_pk_fma_f16 v60, v59, v60, v54
	v_mul_u32_u24_e32 v54, 0x10001, v71
	v_mul_u32_u24_e32 v66, 0x10001, v66
	;; [unrolled: 1-line block ×4, first 2 shown]
	v_pk_fma_f16 v46, v59, v55, v46
	s_wait_dscnt 0x0
	v_pk_fma_f16 v72, v49, v54, v53
	v_pk_fma_f16 v73, v49, v66, v57
	;; [unrolled: 1-line block ×5, first 2 shown]
	ds_load_b128 v[53:56], v39 offset:160
	v_pk_fma_f16 v66, v50, v66, v58
	v_and_b32_e32 v57, 0xffff, v68
	v_lshrrev_b32_e32 v58, 16, v68
	v_and_b32_e32 v59, 0xffff, v69
	v_pk_fma_f16 v71, v50, v71, v60
	v_lshrrev_b32_e32 v68, 16, v69
	v_mul_u32_u24_e32 v69, 0x10001, v57
	v_mul_u32_u24_e32 v74, 0x10001, v58
	;; [unrolled: 1-line block ×3, first 2 shown]
	ds_load_2addr_b64 v[57:60], v48 offset0:128 offset1:160
	v_mul_u32_u24_e32 v76, 0x10001, v68
	v_pk_fma_f16 v46, v50, v67, v46
	v_pk_fma_f16 v50, v51, v69, v72
	;; [unrolled: 1-line block ×7, first 2 shown]
	ds_load_b128 v[66:69], v39 offset:176
	s_wait_dscnt 0x2
	v_and_b32_e32 v73, 0xffff, v53
	v_lshrrev_b32_e32 v53, 16, v53
	v_and_b32_e32 v74, 0xffff, v54
	v_lshrrev_b32_e32 v54, 16, v54
	v_pk_fma_f16 v71, v52, v75, v71
	v_mul_u32_u24_e32 v73, 0x10001, v73
	v_mul_u32_u24_e32 v53, 0x10001, v53
	;; [unrolled: 1-line block ×4, first 2 shown]
	v_pk_fma_f16 v46, v52, v76, v46
	s_wait_dscnt 0x1
	v_pk_fma_f16 v75, v57, v73, v50
	v_pk_fma_f16 v72, v57, v53, v72
	;; [unrolled: 1-line block ×5, first 2 shown]
	v_and_b32_e32 v49, 0xffff, v55
	v_lshrrev_b32_e32 v50, 16, v55
	v_pk_fma_f16 v53, v58, v53, v51
	v_pk_fma_f16 v55, v58, v74, v71
	v_and_b32_e32 v71, 0xffff, v56
	v_lshrrev_b32_e32 v56, 16, v56
	v_mul_u32_u24_e32 v73, 0x10001, v49
	v_mul_u32_u24_e32 v74, 0x10001, v50
	ds_load_2addr_b64 v[49:52], v48 offset0:192 offset1:224
	v_mul_u32_u24_e32 v71, 0x10001, v71
	v_mul_u32_u24_e32 v56, 0x10001, v56
	v_pk_fma_f16 v46, v58, v54, v46
	v_pk_fma_f16 v54, v59, v73, v75
	;; [unrolled: 1-line block ×5, first 2 shown]
	s_wait_dscnt 0x1
	v_and_b32_e32 v59, 0xffff, v66
	v_lshrrev_b32_e32 v66, 16, v66
	v_pk_fma_f16 v57, v60, v73, v57
	v_pk_fma_f16 v53, v60, v74, v53
	v_and_b32_e32 v72, 0xffff, v67
	v_lshrrev_b32_e32 v67, 16, v67
	v_pk_fma_f16 v71, v60, v71, v55
	v_mul_u32_u24_e32 v55, 0x10001, v59
	v_mul_u32_u24_e32 v59, 0x10001, v66
	;; [unrolled: 1-line block ×4, first 2 shown]
	v_pk_fma_f16 v46, v60, v56, v46
	s_wait_dscnt 0x0
	v_pk_fma_f16 v72, v49, v55, v54
	v_pk_fma_f16 v74, v50, v55, v57
	;; [unrolled: 1-line block ×3, first 2 shown]
	ds_load_b128 v[53:56], v39 offset:192
	v_pk_fma_f16 v73, v49, v59, v58
	v_pk_fma_f16 v70, v49, v66, v70
	;; [unrolled: 1-line block ×3, first 2 shown]
	v_and_b32_e32 v57, 0xffff, v68
	v_lshrrev_b32_e32 v58, 16, v68
	v_and_b32_e32 v59, 0xffff, v69
	v_add_nc_u32_e32 v49, 0x1800, v11
	v_pk_fma_f16 v71, v50, v66, v71
	v_lshrrev_b32_e32 v66, 16, v69
	v_mul_u32_u24_e32 v68, 0x10001, v57
	v_mul_u32_u24_e32 v69, 0x10001, v58
	;; [unrolled: 1-line block ×3, first 2 shown]
	ds_load_2addr_b64 v[57:60], v49 offset1:32
	v_mul_u32_u24_e32 v77, 0x10001, v66
	v_pk_fma_f16 v46, v50, v67, v46
	v_pk_fma_f16 v50, v51, v68, v72
	;; [unrolled: 1-line block ×7, first 2 shown]
	ds_load_b128 v[66:69], v39 offset:208
	s_wait_dscnt 0x2
	v_and_b32_e32 v74, 0xffff, v53
	v_lshrrev_b32_e32 v53, 16, v53
	v_and_b32_e32 v75, 0xffff, v54
	v_lshrrev_b32_e32 v54, 16, v54
	v_pk_fma_f16 v71, v52, v76, v71
	v_mul_u32_u24_e32 v74, 0x10001, v74
	v_mul_u32_u24_e32 v53, 0x10001, v53
	;; [unrolled: 1-line block ×4, first 2 shown]
	v_pk_fma_f16 v46, v52, v77, v46
	s_wait_dscnt 0x1
	v_pk_fma_f16 v76, v57, v74, v50
	v_pk_fma_f16 v72, v57, v53, v72
	;; [unrolled: 1-line block ×5, first 2 shown]
	v_and_b32_e32 v50, 0xffff, v55
	v_lshrrev_b32_e32 v51, 16, v55
	v_pk_fma_f16 v73, v58, v53, v73
	v_pk_fma_f16 v55, v58, v75, v71
	v_and_b32_e32 v71, 0xffff, v56
	v_lshrrev_b32_e32 v56, 16, v56
	v_mul_u32_u24_e32 v74, 0x10001, v50
	v_mul_u32_u24_e32 v75, 0x10001, v51
	ds_load_2addr_b64 v[50:53], v49 offset0:64 offset1:96
	v_mul_u32_u24_e32 v71, 0x10001, v71
	v_mul_u32_u24_e32 v56, 0x10001, v56
	v_pk_fma_f16 v46, v58, v54, v46
	v_pk_fma_f16 v54, v59, v74, v76
	;; [unrolled: 1-line block ×6, first 2 shown]
	s_wait_dscnt 0x1
	v_and_b32_e32 v72, 0xffff, v66
	v_lshrrev_b32_e32 v66, 16, v66
	v_and_b32_e32 v73, 0xffff, v67
	v_lshrrev_b32_e32 v67, 16, v67
	v_pk_fma_f16 v57, v60, v74, v57
	v_pk_fma_f16 v71, v60, v71, v55
	v_mul_u32_u24_e32 v55, 0x10001, v72
	v_mul_u32_u24_e32 v66, 0x10001, v66
	;; [unrolled: 1-line block ×4, first 2 shown]
	v_pk_fma_f16 v46, v60, v56, v46
	s_wait_dscnt 0x0
	v_pk_fma_f16 v60, v50, v55, v54
	v_pk_fma_f16 v58, v50, v66, v58
	;; [unrolled: 1-line block ×5, first 2 shown]
	ds_load_b128 v[54:57], v39 offset:224
	v_pk_fma_f16 v59, v51, v66, v59
	v_and_b32_e32 v66, 0xffff, v68
	v_lshrrev_b32_e32 v67, 16, v68
	v_and_b32_e32 v68, 0xffff, v69
	v_pk_fma_f16 v74, v51, v72, v71
	v_lshrrev_b32_e32 v71, 16, v69
	v_mul_u32_u24_e32 v72, 0x10001, v66
	v_mul_u32_u24_e32 v75, 0x10001, v67
	;; [unrolled: 1-line block ×3, first 2 shown]
	ds_load_2addr_b64 v[66:69], v49 offset0:128 offset1:160
	v_mul_u32_u24_e32 v77, 0x10001, v71
	v_pk_fma_f16 v46, v51, v73, v46
	v_pk_fma_f16 v51, v52, v72, v60
	;; [unrolled: 1-line block ×7, first 2 shown]
	ds_load_b128 v[70:73], v39 offset:240
	s_wait_dscnt 0x2
	v_and_b32_e32 v59, 0xffff, v54
	v_lshrrev_b32_e32 v54, 16, v54
	v_and_b32_e32 v75, 0xffff, v55
	v_lshrrev_b32_e32 v55, 16, v55
	v_pk_fma_f16 v74, v53, v76, v74
	v_mul_u32_u24_e32 v59, 0x10001, v59
	v_mul_u32_u24_e32 v54, 0x10001, v54
	;; [unrolled: 1-line block ×4, first 2 shown]
	v_pk_fma_f16 v46, v53, v77, v46
	s_wait_dscnt 0x1
	v_pk_fma_f16 v76, v66, v59, v51
	v_pk_fma_f16 v59, v67, v59, v50
	v_and_b32_e32 v50, 0xffff, v56
	v_lshrrev_b32_e32 v51, 16, v56
	v_pk_fma_f16 v58, v66, v54, v58
	v_pk_fma_f16 v60, v66, v75, v60
	v_pk_fma_f16 v45, v66, v55, v45
	v_pk_fma_f16 v54, v67, v54, v52
	v_pk_fma_f16 v56, v67, v75, v74
	v_and_b32_e32 v66, 0xffff, v57
	v_lshrrev_b32_e32 v57, 16, v57
	v_mul_u32_u24_e32 v74, 0x10001, v50
	v_mul_u32_u24_e32 v75, 0x10001, v51
	ds_load_2addr_b64 v[50:53], v49 offset0:192 offset1:224
	v_mul_u32_u24_e32 v66, 0x10001, v66
	v_mul_u32_u24_e32 v57, 0x10001, v57
	v_pk_fma_f16 v46, v67, v55, v46
	v_pk_fma_f16 v55, v68, v74, v76
	;; [unrolled: 1-line block ×5, first 2 shown]
	s_wait_dscnt 0x1
	v_and_b32_e32 v67, 0xffff, v70
	v_lshrrev_b32_e32 v68, 16, v70
	v_pk_fma_f16 v59, v69, v74, v59
	v_pk_fma_f16 v54, v69, v75, v54
	v_and_b32_e32 v70, 0xffff, v71
	v_lshrrev_b32_e32 v71, 16, v71
	v_pk_fma_f16 v66, v69, v66, v56
	v_mul_u32_u24_e32 v56, 0x10001, v67
	v_mul_u32_u24_e32 v67, 0x10001, v68
	;; [unrolled: 1-line block ×4, first 2 shown]
	v_pk_fma_f16 v46, v69, v57, v46
	s_wait_dscnt 0x0
	v_pk_fma_f16 v71, v50, v56, v55
	v_pk_fma_f16 v59, v51, v56, v59
	;; [unrolled: 1-line block ×3, first 2 shown]
	ds_load_b128 v[54:57], v39 offset:256
	v_pk_fma_f16 v58, v50, v67, v58
	v_pk_fma_f16 v60, v50, v68, v60
	;; [unrolled: 1-line block ×4, first 2 shown]
	v_and_b32_e32 v66, 0xffff, v72
	v_lshrrev_b32_e32 v67, 16, v72
	v_and_b32_e32 v68, 0xffff, v73
	v_add_nc_u32_e32 v50, 0x2000, v11
	v_lshrrev_b32_e32 v72, 16, v73
	v_mul_u32_u24_e32 v73, 0x10001, v66
	v_mul_u32_u24_e32 v76, 0x10001, v67
	;; [unrolled: 1-line block ×3, first 2 shown]
	ds_load_2addr_b64 v[66:69], v50 offset1:32
	v_mul_u32_u24_e32 v78, 0x10001, v72
	v_pk_fma_f16 v46, v51, v70, v46
	v_pk_fma_f16 v51, v52, v73, v71
	;; [unrolled: 1-line block ×7, first 2 shown]
	ds_load_b128 v[70:73], v39 offset:272
	s_wait_dscnt 0x2
	v_and_b32_e32 v74, 0xffff, v54
	v_lshrrev_b32_e32 v54, 16, v54
	v_and_b32_e32 v76, 0xffff, v55
	v_lshrrev_b32_e32 v55, 16, v55
	v_pk_fma_f16 v75, v53, v77, v75
	v_mul_u32_u24_e32 v74, 0x10001, v74
	v_mul_u32_u24_e32 v54, 0x10001, v54
	;; [unrolled: 1-line block ×4, first 2 shown]
	v_pk_fma_f16 v46, v53, v78, v46
	s_wait_dscnt 0x1
	v_pk_fma_f16 v77, v66, v74, v51
	v_pk_fma_f16 v58, v66, v54, v58
	;; [unrolled: 1-line block ×5, first 2 shown]
	v_and_b32_e32 v51, 0xffff, v56
	v_lshrrev_b32_e32 v52, 16, v56
	v_pk_fma_f16 v59, v67, v54, v59
	v_pk_fma_f16 v56, v67, v76, v75
	v_and_b32_e32 v74, 0xffff, v57
	v_lshrrev_b32_e32 v57, 16, v57
	v_mul_u32_u24_e32 v75, 0x10001, v51
	v_mul_u32_u24_e32 v76, 0x10001, v52
	ds_load_2addr_b64 v[51:54], v50 offset0:64 offset1:96
	v_mul_u32_u24_e32 v74, 0x10001, v74
	v_mul_u32_u24_e32 v57, 0x10001, v57
	v_pk_fma_f16 v46, v67, v55, v46
	v_pk_fma_f16 v55, v68, v75, v77
	;; [unrolled: 1-line block ×5, first 2 shown]
	s_wait_dscnt 0x1
	v_and_b32_e32 v67, 0xffff, v70
	v_lshrrev_b32_e32 v68, 16, v70
	v_and_b32_e32 v70, 0xffff, v71
	v_lshrrev_b32_e32 v71, 16, v71
	v_pk_fma_f16 v66, v69, v75, v66
	v_pk_fma_f16 v74, v69, v74, v56
	v_mul_u32_u24_e32 v56, 0x10001, v67
	v_mul_u32_u24_e32 v67, 0x10001, v68
	;; [unrolled: 1-line block ×4, first 2 shown]
	v_pk_fma_f16 v59, v69, v76, v59
	v_pk_fma_f16 v46, v69, v57, v46
	s_wait_dscnt 0x0
	v_pk_fma_f16 v71, v51, v56, v55
	v_pk_fma_f16 v75, v51, v67, v58
	v_pk_fma_f16 v60, v51, v68, v60
	v_pk_fma_f16 v45, v51, v70, v45
	v_pk_fma_f16 v51, v52, v56, v66
	ds_load_b128 v[55:58], v39 offset:288
	v_pk_fma_f16 v59, v52, v67, v59
	v_and_b32_e32 v66, 0xffff, v72
	v_lshrrev_b32_e32 v67, 16, v72
	v_and_b32_e32 v69, 0xffff, v73
	v_pk_fma_f16 v74, v52, v68, v74
	v_lshrrev_b32_e32 v72, 16, v73
	v_mul_u32_u24_e32 v73, 0x10001, v66
	v_mul_u32_u24_e32 v76, 0x10001, v67
	;; [unrolled: 1-line block ×3, first 2 shown]
	ds_load_2addr_b64 v[66:69], v50 offset0:128 offset1:160
	v_mul_u32_u24_e32 v78, 0x10001, v72
	v_pk_fma_f16 v46, v52, v70, v46
	v_pk_fma_f16 v52, v53, v73, v71
	;; [unrolled: 1-line block ×7, first 2 shown]
	ds_load_b128 v[70:73], v39 offset:304
	s_wait_dscnt 0x2
	v_and_b32_e32 v59, 0xffff, v55
	v_lshrrev_b32_e32 v55, 16, v55
	v_and_b32_e32 v76, 0xffff, v56
	v_lshrrev_b32_e32 v56, 16, v56
	v_pk_fma_f16 v74, v54, v77, v74
	v_mul_u32_u24_e32 v59, 0x10001, v59
	v_mul_u32_u24_e32 v55, 0x10001, v55
	;; [unrolled: 1-line block ×4, first 2 shown]
	v_pk_fma_f16 v46, v54, v78, v46
	s_wait_dscnt 0x1
	v_pk_fma_f16 v77, v66, v59, v52
	v_pk_fma_f16 v59, v67, v59, v51
	v_and_b32_e32 v51, 0xffff, v57
	v_lshrrev_b32_e32 v52, 16, v57
	v_pk_fma_f16 v75, v66, v55, v75
	v_pk_fma_f16 v60, v66, v76, v60
	;; [unrolled: 1-line block ×5, first 2 shown]
	v_and_b32_e32 v66, 0xffff, v58
	v_lshrrev_b32_e32 v58, 16, v58
	v_mul_u32_u24_e32 v74, 0x10001, v51
	v_mul_u32_u24_e32 v76, 0x10001, v52
	ds_load_2addr_b64 v[51:54], v50 offset0:192 offset1:224
	v_mul_u32_u24_e32 v66, 0x10001, v66
	v_mul_u32_u24_e32 v58, 0x10001, v58
	v_pk_fma_f16 v46, v67, v56, v46
	v_pk_fma_f16 v56, v68, v74, v77
	;; [unrolled: 1-line block ×5, first 2 shown]
	s_wait_dscnt 0x1
	v_and_b32_e32 v68, 0xffff, v70
	v_lshrrev_b32_e32 v70, 16, v70
	v_pk_fma_f16 v59, v69, v74, v59
	v_pk_fma_f16 v55, v69, v76, v55
	v_and_b32_e32 v74, 0xffff, v71
	v_lshrrev_b32_e32 v71, 16, v71
	v_pk_fma_f16 v66, v69, v66, v57
	v_mul_u32_u24_e32 v57, 0x10001, v68
	v_mul_u32_u24_e32 v68, 0x10001, v70
	;; [unrolled: 1-line block ×4, first 2 shown]
	v_pk_fma_f16 v46, v69, v58, v46
	s_wait_dscnt 0x0
	v_pk_fma_f16 v74, v51, v57, v56
	v_pk_fma_f16 v59, v52, v57, v59
	;; [unrolled: 1-line block ×3, first 2 shown]
	ds_load_b128 v[55:58], v39 offset:320
	v_pk_fma_f16 v75, v51, v68, v67
	v_pk_fma_f16 v60, v51, v70, v60
	;; [unrolled: 1-line block ×4, first 2 shown]
	v_and_b32_e32 v66, 0xffff, v72
	v_lshrrev_b32_e32 v67, 16, v72
	v_and_b32_e32 v68, 0xffff, v73
	v_add_nc_u32_e32 v51, 0x2800, v11
	v_lshrrev_b32_e32 v70, 16, v73
	v_mul_u32_u24_e32 v72, 0x10001, v66
	v_mul_u32_u24_e32 v73, 0x10001, v67
	v_mul_u32_u24_e32 v78, 0x10001, v68
	ds_load_2addr_b64 v[66:69], v51 offset1:32
	v_mul_u32_u24_e32 v79, 0x10001, v70
	v_pk_fma_f16 v46, v52, v71, v46
	v_pk_fma_f16 v52, v53, v72, v74
	;; [unrolled: 1-line block ×7, first 2 shown]
	ds_load_b128 v[70:73], v39 offset:336
	s_wait_dscnt 0x2
	v_and_b32_e32 v75, 0xffff, v55
	v_lshrrev_b32_e32 v55, 16, v55
	v_and_b32_e32 v76, 0xffff, v56
	v_lshrrev_b32_e32 v56, 16, v56
	v_pk_fma_f16 v77, v54, v78, v77
	v_mul_u32_u24_e32 v75, 0x10001, v75
	v_mul_u32_u24_e32 v55, 0x10001, v55
	;; [unrolled: 1-line block ×4, first 2 shown]
	v_pk_fma_f16 v46, v54, v79, v46
	s_wait_dscnt 0x1
	v_pk_fma_f16 v78, v66, v75, v52
	v_pk_fma_f16 v74, v66, v55, v74
	;; [unrolled: 1-line block ×5, first 2 shown]
	v_and_b32_e32 v52, 0xffff, v57
	v_lshrrev_b32_e32 v53, 16, v57
	v_pk_fma_f16 v59, v67, v55, v59
	v_pk_fma_f16 v57, v67, v76, v77
	v_and_b32_e32 v75, 0xffff, v58
	v_lshrrev_b32_e32 v58, 16, v58
	v_mul_u32_u24_e32 v76, 0x10001, v52
	v_mul_u32_u24_e32 v77, 0x10001, v53
	ds_load_2addr_b64 v[52:55], v51 offset0:64 offset1:96
	v_mul_u32_u24_e32 v75, 0x10001, v75
	v_mul_u32_u24_e32 v58, 0x10001, v58
	v_add_co_u32 v144, vcc_lo, s26, v18
	s_wait_alu 0xfffd
	v_add_co_ci_u32_e64 v145, null, s27, v19, vcc_lo
	v_pk_fma_f16 v46, v67, v56, v46
	v_pk_fma_f16 v56, v68, v76, v78
	;; [unrolled: 1-line block ×5, first 2 shown]
	s_wait_dscnt 0x1
	v_and_b32_e32 v68, 0xffff, v70
	v_lshrrev_b32_e32 v70, 16, v70
	v_and_b32_e32 v74, 0xffff, v71
	v_lshrrev_b32_e32 v71, 16, v71
	v_add_co_u32 v142, vcc_lo, v142, v44
	s_wait_alu 0xfffd
	v_add_co_ci_u32_e64 v143, null, 0, v143, vcc_lo
	v_add_co_u32 v146, vcc_lo, v144, v44
	s_wait_alu 0xfffd
	v_add_co_ci_u32_e64 v147, null, 0, v145, vcc_lo
	v_add_co_u32 v144, vcc_lo, s26, v20
	v_pk_fma_f16 v158, v69, v75, v57
	v_mul_u32_u24_e32 v57, 0x10001, v68
	v_mul_u32_u24_e32 v68, 0x10001, v70
	;; [unrolled: 1-line block ×4, first 2 shown]
	s_wait_alu 0xfffd
	v_add_co_ci_u32_e64 v145, null, s27, v21, vcc_lo
	v_add_co_u32 v148, vcc_lo, s26, v22
	s_wait_alu 0xfffd
	v_add_co_ci_u32_e64 v149, null, s27, v23, vcc_lo
	v_add_co_u32 v150, vcc_lo, v144, v44
	v_pk_fma_f16 v66, v69, v76, v66
	v_pk_fma_f16 v59, v69, v77, v59
	;; [unrolled: 1-line block ×3, first 2 shown]
	s_wait_dscnt 0x0
	v_pk_fma_f16 v162, v52, v57, v56
	v_pk_fma_f16 v163, v52, v68, v67
	;; [unrolled: 1-line block ×4, first 2 shown]
	v_add_nc_u32_e32 v46, 0x3000, v11
	v_add_nc_u32_e32 v45, 0x3800, v11
	s_wait_alu 0xfffd
	v_add_co_ci_u32_e64 v151, null, 0, v145, vcc_lo
	v_add_co_u32 v154, vcc_lo, v148, v44
	s_wait_alu 0xfffd
	v_add_co_ci_u32_e64 v155, null, 0, v149, vcc_lo
	v_pk_fma_f16 v164, v53, v57, v66
	v_pk_fma_f16 v165, v53, v68, v59
	v_lshrrev_b32_e32 v166, 16, v72
	v_lshrrev_b32_e32 v167, 16, v73
	v_and_b32_e32 v168, 0xffff, v72
	v_and_b32_e32 v169, 0xffff, v73
	ds_load_2addr_b64 v[56:59], v51 offset0:128 offset1:160
	ds_load_2addr_b64 v[66:69], v51 offset0:192 offset1:224
	ds_load_b128 v[70:73], v39 offset:352
	ds_load_b128 v[74:77], v39 offset:368
	ds_load_2addr_b64 v[78:81], v46 offset1:32
	ds_load_2addr_b64 v[82:85], v46 offset0:64 offset1:96
	ds_load_b128 v[86:89], v39 offset:384
	ds_load_b128 v[90:93], v39 offset:400
	ds_load_2addr_b64 v[94:97], v46 offset0:128 offset1:160
	ds_load_2addr_b64 v[98:101], v46 offset0:192 offset1:224
	ds_load_b128 v[102:105], v39 offset:416
	ds_load_b128 v[106:109], v39 offset:432
	ds_load_2addr_b64 v[110:113], v45 offset1:32
	ds_load_2addr_b64 v[114:117], v45 offset0:64 offset1:96
	ds_load_b128 v[118:121], v39 offset:448
	ds_load_b128 v[122:125], v39 offset:464
	ds_load_2addr_b64 v[126:129], v45 offset0:128 offset1:160
	ds_load_2addr_b64 v[130:133], v45 offset0:192 offset1:224
	ds_load_b128 v[134:137], v39 offset:480
	ds_load_b128 v[138:141], v39 offset:496
	s_wait_loadcnt_dscnt 0x0
	s_barrier_signal -1
	s_barrier_wait -1
	global_inv scope:SCOPE_SE
	s_clause 0x3
	global_load_b128 v[142:145], v[142:143], off
	global_load_b128 v[146:149], v[146:147], off
	;; [unrolled: 1-line block ×4, first 2 shown]
	v_pk_fma_f16 v158, v53, v159, v158
	v_mul_u32_u24_e32 v159, 0x10001, v168
	v_mul_u32_u24_e32 v166, 0x10001, v166
	;; [unrolled: 1-line block ×4, first 2 shown]
	v_pk_fma_f16 v53, v53, v160, v161
	v_pk_fma_f16 v160, v54, v159, v162
	;; [unrolled: 1-line block ×3, first 2 shown]
	v_and_b32_e32 v162, 0xffff, v70
	v_lshrrev_b32_e32 v70, 16, v70
	v_and_b32_e32 v163, 0xffff, v71
	v_lshrrev_b32_e32 v71, 16, v71
	v_pk_fma_f16 v60, v54, v168, v60
	v_pk_fma_f16 v52, v54, v167, v52
	;; [unrolled: 1-line block ×4, first 2 shown]
	v_mul_u32_u24_e32 v162, 0x10001, v162
	v_mul_u32_u24_e32 v70, 0x10001, v70
	;; [unrolled: 1-line block ×4, first 2 shown]
	v_pk_fma_f16 v158, v55, v168, v158
	v_pk_fma_f16 v53, v55, v167, v53
	;; [unrolled: 1-line block ×7, first 2 shown]
	v_and_b32_e32 v70, 0xffff, v72
	v_lshrrev_b32_e32 v72, 16, v72
	v_and_b32_e32 v159, 0xffff, v73
	v_lshrrev_b32_e32 v73, 16, v73
	v_pk_fma_f16 v54, v57, v162, v54
	v_mul_u32_u24_e32 v70, 0x10001, v70
	v_mul_u32_u24_e32 v72, 0x10001, v72
	;; [unrolled: 1-line block ×4, first 2 shown]
	v_pk_fma_f16 v158, v57, v163, v158
	v_pk_fma_f16 v53, v57, v71, v53
	;; [unrolled: 1-line block ×6, first 2 shown]
	v_and_b32_e32 v58, 0xffff, v74
	v_pk_fma_f16 v54, v59, v70, v54
	v_and_b32_e32 v71, 0xffff, v75
	v_lshrrev_b32_e32 v70, 16, v74
	v_pk_fma_f16 v56, v59, v72, v56
	v_mul_u32_u24_e32 v58, 0x10001, v58
	v_pk_fma_f16 v74, v59, v159, v158
	v_mul_u32_u24_e32 v71, 0x10001, v71
	v_mul_u32_u24_e32 v70, 0x10001, v70
	v_pk_fma_f16 v53, v59, v73, v53
	v_pk_fma_f16 v55, v66, v58, v55
	;; [unrolled: 1-line block ×3, first 2 shown]
	v_and_b32_e32 v58, 0xffff, v76
	v_pk_fma_f16 v59, v66, v71, v60
	v_lshrrev_b32_e32 v60, 16, v76
	v_pk_fma_f16 v57, v66, v70, v57
	v_pk_fma_f16 v56, v67, v70, v56
	v_mul_u32_u24_e32 v58, 0x10001, v58
	v_lshrrev_b32_e32 v72, 16, v75
	v_mul_u32_u24_e32 v60, 0x10001, v60
	v_lshrrev_b32_e32 v70, 16, v77
	v_pk_fma_f16 v71, v67, v71, v74
	v_pk_fma_f16 v55, v68, v58, v55
	;; [unrolled: 1-line block ×3, first 2 shown]
	v_and_b32_e32 v58, 0xffff, v86
	v_pk_fma_f16 v57, v68, v60, v57
	v_pk_fma_f16 v56, v69, v60, v56
	v_lshrrev_b32_e32 v60, 16, v86
	v_mul_u32_u24_e32 v72, 0x10001, v72
	v_mul_u32_u24_e32 v58, 0x10001, v58
	v_mul_u32_u24_e32 v70, 0x10001, v70
	s_wait_loadcnt 0x3
	ds_store_b128 v38, v[142:145]
	s_wait_loadcnt 0x2
	ds_store_b128 v40, v[146:149]
	;; [unrolled: 2-line block ×4, first 2 shown]
	v_mul_u32_u24_e32 v60, 0x10001, v60
	v_pk_fma_f16 v55, v78, v58, v55
	v_pk_fma_f16 v54, v79, v58, v54
	v_and_b32_e32 v58, 0xffff, v88
	v_pk_fma_f16 v52, v66, v72, v52
	v_pk_fma_f16 v57, v78, v60, v57
	;; [unrolled: 1-line block ×3, first 2 shown]
	v_lshrrev_b32_e32 v60, 16, v88
	v_mul_u32_u24_e32 v58, 0x10001, v58
	v_and_b32_e32 v66, 0xffff, v77
	v_pk_fma_f16 v53, v67, v72, v53
	v_pk_fma_f16 v52, v68, v70, v52
	v_mul_u32_u24_e32 v60, 0x10001, v60
	v_pk_fma_f16 v55, v80, v58, v55
	v_pk_fma_f16 v54, v81, v58, v54
	v_and_b32_e32 v58, 0xffff, v90
	v_mul_u32_u24_e32 v66, 0x10001, v66
	v_pk_fma_f16 v57, v80, v60, v57
	v_pk_fma_f16 v56, v81, v60, v56
	v_lshrrev_b32_e32 v60, 16, v90
	v_mul_u32_u24_e32 v58, 0x10001, v58
	v_pk_fma_f16 v59, v68, v66, v59
	v_and_b32_e32 v67, 0xffff, v87
	v_lshrrev_b32_e32 v68, 16, v87
	v_mul_u32_u24_e32 v60, 0x10001, v60
	v_pk_fma_f16 v55, v82, v58, v55
	v_pk_fma_f16 v54, v83, v58, v54
	v_and_b32_e32 v58, 0xffff, v92
	v_pk_fma_f16 v66, v69, v66, v71
	v_pk_fma_f16 v57, v82, v60, v57
	;; [unrolled: 1-line block ×3, first 2 shown]
	v_lshrrev_b32_e32 v60, 16, v92
	v_mul_u32_u24_e32 v58, 0x10001, v58
	v_mul_u32_u24_e32 v67, 0x10001, v67
	v_mul_u32_u24_e32 v68, 0x10001, v68
	v_pk_fma_f16 v53, v69, v70, v53
	v_mul_u32_u24_e32 v60, 0x10001, v60
	v_pk_fma_f16 v55, v84, v58, v55
	v_pk_fma_f16 v54, v85, v58, v54
	v_and_b32_e32 v58, 0xffff, v102
	v_and_b32_e32 v69, 0xffff, v89
	v_pk_fma_f16 v57, v84, v60, v57
	v_pk_fma_f16 v56, v85, v60, v56
	v_lshrrev_b32_e32 v60, 16, v102
	v_mul_u32_u24_e32 v58, 0x10001, v58
	v_lshrrev_b32_e32 v70, 16, v89
	v_pk_fma_f16 v59, v78, v67, v59
	v_pk_fma_f16 v52, v78, v68, v52
	v_mul_u32_u24_e32 v60, 0x10001, v60
	v_pk_fma_f16 v55, v94, v58, v55
	v_pk_fma_f16 v54, v95, v58, v54
	v_and_b32_e32 v58, 0xffff, v104
	v_pk_fma_f16 v66, v79, v67, v66
	v_pk_fma_f16 v57, v94, v60, v57
	;; [unrolled: 1-line block ×3, first 2 shown]
	v_lshrrev_b32_e32 v60, 16, v104
	v_mul_u32_u24_e32 v58, 0x10001, v58
	v_mul_u32_u24_e32 v67, 0x10001, v69
	;; [unrolled: 1-line block ×3, first 2 shown]
	v_pk_fma_f16 v53, v79, v68, v53
	v_mul_u32_u24_e32 v60, 0x10001, v60
	v_pk_fma_f16 v55, v96, v58, v55
	v_pk_fma_f16 v54, v97, v58, v54
	v_and_b32_e32 v58, 0xffff, v106
	v_and_b32_e32 v68, 0xffff, v91
	v_pk_fma_f16 v57, v96, v60, v57
	v_pk_fma_f16 v56, v97, v60, v56
	v_lshrrev_b32_e32 v60, 16, v106
	v_mul_u32_u24_e32 v58, 0x10001, v58
	v_lshrrev_b32_e32 v70, 16, v91
	v_pk_fma_f16 v59, v80, v67, v59
	v_pk_fma_f16 v52, v80, v69, v52
	v_mul_u32_u24_e32 v60, 0x10001, v60
	v_pk_fma_f16 v55, v98, v58, v55
	v_pk_fma_f16 v54, v99, v58, v54
	v_and_b32_e32 v58, 0xffff, v108
	v_pk_fma_f16 v66, v81, v67, v66
	v_pk_fma_f16 v57, v98, v60, v57
	;; [unrolled: 1-line block ×3, first 2 shown]
	v_lshrrev_b32_e32 v60, 16, v108
	v_mul_u32_u24_e32 v58, 0x10001, v58
	v_mul_u32_u24_e32 v67, 0x10001, v68
	;; [unrolled: 1-line block ×3, first 2 shown]
	v_pk_fma_f16 v53, v81, v69, v53
	v_mul_u32_u24_e32 v60, 0x10001, v60
	v_pk_fma_f16 v55, v100, v58, v55
	v_pk_fma_f16 v54, v101, v58, v54
	v_and_b32_e32 v58, 0xffff, v118
	v_and_b32_e32 v69, 0xffff, v93
	v_lshrrev_b32_e32 v70, 16, v93
	v_pk_fma_f16 v57, v100, v60, v57
	v_pk_fma_f16 v56, v101, v60, v56
	v_lshrrev_b32_e32 v60, 16, v118
	v_mul_u32_u24_e32 v58, 0x10001, v58
	v_pk_fma_f16 v59, v82, v67, v59
	v_pk_fma_f16 v52, v82, v68, v52
	v_pk_fma_f16 v66, v83, v67, v66
	v_mul_u32_u24_e32 v67, 0x10001, v69
	v_mul_u32_u24_e32 v69, 0x10001, v70
	v_pk_fma_f16 v53, v83, v68, v53
	v_and_b32_e32 v68, 0xffff, v103
	v_lshrrev_b32_e32 v70, 16, v103
	v_mul_u32_u24_e32 v60, 0x10001, v60
	v_pk_fma_f16 v55, v110, v58, v55
	v_pk_fma_f16 v54, v111, v58, v54
	v_and_b32_e32 v58, 0xffff, v120
	v_pk_fma_f16 v59, v84, v67, v59
	v_pk_fma_f16 v52, v84, v69, v52
	v_pk_fma_f16 v66, v85, v67, v66
	v_mul_u32_u24_e32 v67, 0x10001, v68
	v_mul_u32_u24_e32 v68, 0x10001, v70
	v_pk_fma_f16 v53, v85, v69, v53
	v_and_b32_e32 v69, 0xffff, v105
	v_lshrrev_b32_e32 v70, 16, v105
	v_pk_fma_f16 v57, v110, v60, v57
	v_pk_fma_f16 v56, v111, v60, v56
	v_lshrrev_b32_e32 v60, 16, v120
	v_mul_u32_u24_e32 v58, 0x10001, v58
	v_pk_fma_f16 v59, v94, v67, v59
	v_pk_fma_f16 v52, v94, v68, v52
	v_pk_fma_f16 v66, v95, v67, v66
	v_mul_u32_u24_e32 v67, 0x10001, v69
	v_mul_u32_u24_e32 v69, 0x10001, v70
	v_pk_fma_f16 v53, v95, v68, v53
	v_and_b32_e32 v68, 0xffff, v107
	v_lshrrev_b32_e32 v70, 16, v107
	v_mul_u32_u24_e32 v60, 0x10001, v60
	v_pk_fma_f16 v55, v112, v58, v55
	v_pk_fma_f16 v54, v113, v58, v54
	v_and_b32_e32 v58, 0xffff, v122
	v_pk_fma_f16 v59, v96, v67, v59
	v_pk_fma_f16 v52, v96, v69, v52
	v_pk_fma_f16 v66, v97, v67, v66
	v_mul_u32_u24_e32 v67, 0x10001, v68
	v_mul_u32_u24_e32 v68, 0x10001, v70
	v_pk_fma_f16 v53, v97, v69, v53
	;; [unrolled: 24-line block ×5, first 2 shown]
	v_pk_fma_f16 v57, v126, v60, v57
	v_pk_fma_f16 v56, v127, v60, v56
	v_lshrrev_b32_e32 v60, 16, v136
	v_and_b32_e32 v69, 0xffff, v137
	v_lshrrev_b32_e32 v70, 16, v137
	v_mul_u32_u24_e32 v58, 0x10001, v58
	v_pk_fma_f16 v59, v126, v67, v59
	v_pk_fma_f16 v52, v126, v68, v52
	;; [unrolled: 1-line block ×3, first 2 shown]
	v_mul_u32_u24_e32 v60, 0x10001, v60
	v_mul_u32_u24_e32 v67, 0x10001, v69
	;; [unrolled: 1-line block ×3, first 2 shown]
	v_pk_fma_f16 v53, v127, v68, v53
	v_pk_fma_f16 v55, v128, v58, v55
	;; [unrolled: 1-line block ×3, first 2 shown]
	v_and_b32_e32 v58, 0xffff, v138
	v_and_b32_e32 v68, 0xffff, v139
	v_lshrrev_b32_e32 v70, 16, v139
	v_pk_fma_f16 v57, v128, v60, v57
	v_pk_fma_f16 v59, v128, v67, v59
	v_pk_fma_f16 v52, v128, v69, v52
	v_pk_fma_f16 v56, v129, v60, v56
	v_lshrrev_b32_e32 v60, 16, v138
	v_pk_fma_f16 v66, v129, v67, v66
	v_mul_u32_u24_e32 v58, 0x10001, v58
	v_mul_u32_u24_e32 v67, 0x10001, v68
	;; [unrolled: 1-line block ×4, first 2 shown]
	v_pk_fma_f16 v69, v129, v69, v53
	v_pk_fma_f16 v70, v130, v58, v55
	;; [unrolled: 1-line block ×4, first 2 shown]
	s_wait_dscnt 0x0
	s_barrier_signal -1
	s_barrier_wait -1
	global_inv scope:SCOPE_SE
	ds_load_b128 v[52:55], v39 offset:512
	v_pk_fma_f16 v71, v130, v60, v57
	v_pk_fma_f16 v72, v130, v67, v59
	;; [unrolled: 1-line block ×3, first 2 shown]
	v_and_b32_e32 v56, 0xffff, v140
	v_lshrrev_b32_e32 v57, 16, v140
	v_and_b32_e32 v58, 0xffff, v141
	v_lshrrev_b32_e32 v59, 16, v141
	v_pk_fma_f16 v66, v131, v67, v66
	v_pk_fma_f16 v75, v131, v68, v69
	v_mul_u32_u24_e32 v67, 0x10001, v56
	v_mul_u32_u24_e32 v68, 0x10001, v57
	v_mul_u32_u24_e32 v69, 0x10001, v58
	v_mul_u32_u24_e32 v76, 0x10001, v59
	ds_load_2addr_b64 v[56:59], v11 offset1:32
	v_pk_fma_f16 v78, v132, v67, v70
	v_pk_fma_f16 v79, v132, v68, v71
	;; [unrolled: 1-line block ×6, first 2 shown]
	ds_load_b128 v[66:69], v39 offset:528
	s_wait_dscnt 0x2
	v_and_b32_e32 v70, 0xffff, v52
	v_lshrrev_b32_e32 v52, 16, v52
	v_and_b32_e32 v71, 0xffff, v53
	v_lshrrev_b32_e32 v53, 16, v53
	v_pk_fma_f16 v81, v132, v76, v73
	v_mul_u32_u24_e32 v85, 0x10001, v70
	v_mul_u32_u24_e32 v52, 0x10001, v52
	;; [unrolled: 1-line block ×4, first 2 shown]
	v_lshrrev_b32_e32 v53, 16, v54
	v_pk_fma_f16 v84, v133, v76, v75
	ds_load_b128 v[70:73], v39 offset:544
	ds_load_b128 v[74:77], v39 offset:560
	s_wait_dscnt 0x3
	v_pk_fma_f16 v79, v56, v52, v79
	v_pk_fma_f16 v60, v57, v52, v60
	v_and_b32_e32 v52, 0xffff, v54
	v_pk_fma_f16 v78, v56, v85, v78
	v_pk_fma_f16 v80, v56, v86, v80
	;; [unrolled: 1-line block ×5, first 2 shown]
	v_and_b32_e32 v83, 0xffff, v55
	v_lshrrev_b32_e32 v85, 16, v55
	v_mul_u32_u24_e32 v86, 0x10001, v52
	v_mul_u32_u24_e32 v88, 0x10001, v53
	ds_load_2addr_b64 v[52:55], v11 offset0:64 offset1:96
	v_mul_u32_u24_e32 v83, 0x10001, v83
	v_mul_u32_u24_e32 v85, 0x10001, v85
	v_pk_fma_f16 v57, v57, v87, v84
	v_pk_fma_f16 v78, v58, v86, v78
	;; [unrolled: 1-line block ×6, first 2 shown]
	s_wait_dscnt 0x3
	v_and_b32_e32 v81, 0xffff, v66
	v_lshrrev_b32_e32 v66, 16, v66
	v_and_b32_e32 v84, 0xffff, v67
	v_lshrrev_b32_e32 v67, 16, v67
	v_pk_fma_f16 v82, v59, v83, v82
	v_mul_u32_u24_e32 v81, 0x10001, v81
	v_mul_u32_u24_e32 v66, 0x10001, v66
	;; [unrolled: 1-line block ×4, first 2 shown]
	v_pk_fma_f16 v60, v59, v88, v60
	v_pk_fma_f16 v84, v59, v85, v57
	s_wait_dscnt 0x0
	v_pk_fma_f16 v78, v52, v81, v78
	v_pk_fma_f16 v79, v52, v66, v79
	;; [unrolled: 1-line block ×4, first 2 shown]
	v_and_b32_e32 v56, 0xffff, v68
	v_lshrrev_b32_e32 v57, 16, v68
	v_pk_fma_f16 v81, v53, v81, v58
	v_pk_fma_f16 v60, v53, v66, v60
	;; [unrolled: 1-line block ×3, first 2 shown]
	v_and_b32_e32 v68, 0xffff, v69
	v_lshrrev_b32_e32 v69, 16, v69
	v_mul_u32_u24_e32 v82, 0x10001, v56
	v_mul_u32_u24_e32 v83, 0x10001, v57
	ds_load_2addr_b64 v[56:59], v11 offset0:128 offset1:160
	v_mul_u32_u24_e32 v68, 0x10001, v68
	v_mul_u32_u24_e32 v69, 0x10001, v69
	v_pk_fma_f16 v53, v53, v67, v84
	v_pk_fma_f16 v67, v54, v82, v78
	;; [unrolled: 1-line block ×6, first 2 shown]
	v_and_b32_e32 v80, 0xffff, v70
	v_lshrrev_b32_e32 v70, 16, v70
	v_and_b32_e32 v81, 0xffff, v71
	v_lshrrev_b32_e32 v71, 16, v71
	v_pk_fma_f16 v66, v55, v68, v66
	v_mul_u32_u24_e32 v68, 0x10001, v80
	v_mul_u32_u24_e32 v70, 0x10001, v70
	;; [unrolled: 1-line block ×4, first 2 shown]
	v_pk_fma_f16 v60, v55, v83, v60
	v_pk_fma_f16 v69, v55, v69, v53
	s_wait_dscnt 0x0
	v_pk_fma_f16 v67, v56, v68, v67
	v_pk_fma_f16 v78, v56, v70, v78
	;; [unrolled: 1-line block ×4, first 2 shown]
	v_and_b32_e32 v52, 0xffff, v72
	v_lshrrev_b32_e32 v53, 16, v72
	v_pk_fma_f16 v68, v57, v68, v54
	v_pk_fma_f16 v60, v57, v70, v60
	;; [unrolled: 1-line block ×3, first 2 shown]
	v_and_b32_e32 v70, 0xffff, v73
	v_lshrrev_b32_e32 v72, 16, v73
	v_mul_u32_u24_e32 v73, 0x10001, v52
	v_mul_u32_u24_e32 v80, 0x10001, v53
	ds_load_2addr_b64 v[52:55], v11 offset0:192 offset1:224
	v_mul_u32_u24_e32 v70, 0x10001, v70
	v_mul_u32_u24_e32 v72, 0x10001, v72
	v_pk_fma_f16 v57, v57, v71, v69
	v_pk_fma_f16 v67, v58, v73, v67
	;; [unrolled: 1-line block ×6, first 2 shown]
	v_and_b32_e32 v68, 0xffff, v74
	v_lshrrev_b32_e32 v73, 16, v74
	v_and_b32_e32 v74, 0xffff, v75
	v_lshrrev_b32_e32 v75, 16, v75
	v_pk_fma_f16 v66, v59, v70, v66
	v_mul_u32_u24_e32 v68, 0x10001, v68
	v_mul_u32_u24_e32 v70, 0x10001, v73
	;; [unrolled: 1-line block ×4, first 2 shown]
	v_pk_fma_f16 v60, v59, v80, v60
	v_pk_fma_f16 v72, v59, v72, v57
	s_wait_dscnt 0x0
	v_pk_fma_f16 v75, v52, v68, v67
	v_pk_fma_f16 v78, v52, v70, v69
	v_pk_fma_f16 v71, v52, v73, v71
	v_pk_fma_f16 v52, v52, v74, v56
	v_pk_fma_f16 v79, v53, v68, v58
	ds_load_b128 v[56:59], v39 offset:576
	v_and_b32_e32 v67, 0xffff, v76
	v_lshrrev_b32_e32 v68, 16, v76
	v_and_b32_e32 v69, 0xffff, v77
	v_pk_fma_f16 v60, v53, v70, v60
	v_pk_fma_f16 v76, v53, v73, v66
	v_lshrrev_b32_e32 v70, 16, v77
	v_mul_u32_u24_e32 v73, 0x10001, v67
	v_mul_u32_u24_e32 v77, 0x10001, v68
	;; [unrolled: 1-line block ×3, first 2 shown]
	ds_load_2addr_b64 v[66:69], v47 offset1:32
	v_mul_u32_u24_e32 v81, 0x10001, v70
	v_pk_fma_f16 v53, v53, v74, v72
	v_pk_fma_f16 v74, v54, v73, v75
	;; [unrolled: 1-line block ×7, first 2 shown]
	ds_load_b128 v[70:73], v39 offset:592
	s_wait_dscnt 0x2
	v_and_b32_e32 v77, 0xffff, v56
	v_lshrrev_b32_e32 v56, 16, v56
	v_and_b32_e32 v79, 0xffff, v57
	v_lshrrev_b32_e32 v57, 16, v57
	v_pk_fma_f16 v76, v55, v80, v76
	v_mul_u32_u24_e32 v77, 0x10001, v77
	v_mul_u32_u24_e32 v56, 0x10001, v56
	;; [unrolled: 1-line block ×4, first 2 shown]
	v_pk_fma_f16 v80, v55, v81, v53
	s_wait_dscnt 0x1
	v_pk_fma_f16 v74, v66, v77, v74
	v_pk_fma_f16 v75, v66, v56, v75
	;; [unrolled: 1-line block ×4, first 2 shown]
	v_and_b32_e32 v52, 0xffff, v58
	v_lshrrev_b32_e32 v53, 16, v58
	v_pk_fma_f16 v77, v67, v77, v54
	v_pk_fma_f16 v56, v67, v56, v60
	;; [unrolled: 1-line block ×3, first 2 shown]
	v_and_b32_e32 v60, 0xffff, v59
	v_lshrrev_b32_e32 v59, 16, v59
	v_mul_u32_u24_e32 v76, 0x10001, v52
	v_mul_u32_u24_e32 v79, 0x10001, v53
	ds_load_2addr_b64 v[52:55], v47 offset0:64 offset1:96
	v_mul_u32_u24_e32 v60, 0x10001, v60
	v_mul_u32_u24_e32 v59, 0x10001, v59
	v_pk_fma_f16 v57, v67, v57, v80
	v_pk_fma_f16 v67, v68, v76, v74
	;; [unrolled: 1-line block ×7, first 2 shown]
	s_wait_dscnt 0x1
	v_and_b32_e32 v56, 0xffff, v70
	v_lshrrev_b32_e32 v70, 16, v70
	v_and_b32_e32 v77, 0xffff, v71
	v_lshrrev_b32_e32 v71, 16, v71
	v_pk_fma_f16 v60, v69, v60, v58
	v_mul_u32_u24_e32 v56, 0x10001, v56
	v_mul_u32_u24_e32 v70, 0x10001, v70
	;; [unrolled: 1-line block ×4, first 2 shown]
	v_pk_fma_f16 v78, v69, v59, v57
	s_wait_dscnt 0x0
	v_pk_fma_f16 v79, v52, v56, v67
	v_pk_fma_f16 v80, v53, v56, v68
	ds_load_b128 v[56:59], v39 offset:608
	v_pk_fma_f16 v74, v52, v70, v74
	v_pk_fma_f16 v75, v52, v77, v75
	;; [unrolled: 1-line block ×3, first 2 shown]
	v_and_b32_e32 v66, 0xffff, v72
	v_lshrrev_b32_e32 v67, 16, v72
	v_and_b32_e32 v68, 0xffff, v73
	v_pk_fma_f16 v70, v53, v70, v76
	v_pk_fma_f16 v60, v53, v77, v60
	v_lshrrev_b32_e32 v72, 16, v73
	v_mul_u32_u24_e32 v73, 0x10001, v66
	v_mul_u32_u24_e32 v76, 0x10001, v67
	;; [unrolled: 1-line block ×3, first 2 shown]
	ds_load_2addr_b64 v[66:69], v47 offset0:128 offset1:160
	v_mul_u32_u24_e32 v81, 0x10001, v72
	v_pk_fma_f16 v53, v53, v71, v78
	v_pk_fma_f16 v78, v54, v73, v79
	;; [unrolled: 1-line block ×7, first 2 shown]
	ds_load_b128 v[70:73], v39 offset:624
	s_wait_dscnt 0x2
	v_and_b32_e32 v79, 0xffff, v56
	v_lshrrev_b32_e32 v56, 16, v56
	v_and_b32_e32 v80, 0xffff, v57
	v_lshrrev_b32_e32 v57, 16, v57
	v_pk_fma_f16 v60, v55, v77, v60
	v_mul_u32_u24_e32 v77, 0x10001, v79
	v_mul_u32_u24_e32 v56, 0x10001, v56
	;; [unrolled: 1-line block ×4, first 2 shown]
	v_pk_fma_f16 v80, v55, v81, v53
	s_wait_dscnt 0x1
	v_pk_fma_f16 v78, v66, v77, v78
	v_pk_fma_f16 v74, v66, v56, v74
	;; [unrolled: 1-line block ×4, first 2 shown]
	v_and_b32_e32 v52, 0xffff, v58
	v_lshrrev_b32_e32 v53, 16, v58
	v_pk_fma_f16 v77, v67, v77, v54
	v_pk_fma_f16 v56, v67, v56, v76
	;; [unrolled: 1-line block ×3, first 2 shown]
	v_and_b32_e32 v60, 0xffff, v59
	v_mul_u32_u24_e32 v76, 0x10001, v52
	v_mul_u32_u24_e32 v79, 0x10001, v53
	ds_load_2addr_b64 v[52:55], v47 offset0:192 offset1:224
	v_lshrrev_b32_e32 v59, 16, v59
	v_mul_u32_u24_e32 v47, 0x10001, v60
	v_pk_fma_f16 v57, v67, v57, v80
	v_pk_fma_f16 v67, v68, v79, v74
	;; [unrolled: 1-line block ×3, first 2 shown]
	v_mul_u32_u24_e32 v59, 0x10001, v59
	v_pk_fma_f16 v74, v68, v47, v75
	v_pk_fma_f16 v75, v69, v79, v56
	s_wait_dscnt 0x1
	v_and_b32_e32 v56, 0xffff, v70
	v_lshrrev_b32_e32 v70, 16, v70
	v_pk_fma_f16 v66, v68, v59, v66
	v_pk_fma_f16 v68, v69, v76, v77
	v_and_b32_e32 v76, 0xffff, v71
	v_lshrrev_b32_e32 v71, 16, v71
	v_mul_u32_u24_e32 v56, 0x10001, v56
	v_pk_fma_f16 v47, v69, v47, v58
	v_mul_u32_u24_e32 v70, 0x10001, v70
	v_mul_u32_u24_e32 v76, 0x10001, v76
	;; [unrolled: 1-line block ×3, first 2 shown]
	v_pk_fma_f16 v77, v69, v59, v57
	s_wait_dscnt 0x0
	v_pk_fma_f16 v60, v52, v56, v60
	v_pk_fma_f16 v79, v53, v56, v68
	ds_load_b128 v[56:59], v39 offset:640
	v_pk_fma_f16 v78, v52, v70, v67
	v_pk_fma_f16 v74, v52, v76, v74
	;; [unrolled: 1-line block ×3, first 2 shown]
	v_and_b32_e32 v66, 0xffff, v72
	v_lshrrev_b32_e32 v67, 16, v72
	v_and_b32_e32 v68, 0xffff, v73
	v_pk_fma_f16 v70, v53, v70, v75
	v_pk_fma_f16 v47, v53, v76, v47
	v_lshrrev_b32_e32 v72, 16, v73
	v_mul_u32_u24_e32 v73, 0x10001, v66
	v_mul_u32_u24_e32 v75, 0x10001, v67
	;; [unrolled: 1-line block ×3, first 2 shown]
	ds_load_2addr_b64 v[66:69], v48 offset1:32
	v_mul_u32_u24_e32 v80, 0x10001, v72
	v_pk_fma_f16 v53, v53, v71, v77
	v_pk_fma_f16 v60, v54, v73, v60
	;; [unrolled: 1-line block ×7, first 2 shown]
	ds_load_b128 v[70:73], v39 offset:656
	s_wait_dscnt 0x2
	v_and_b32_e32 v78, 0xffff, v56
	v_lshrrev_b32_e32 v56, 16, v56
	v_and_b32_e32 v79, 0xffff, v57
	v_lshrrev_b32_e32 v57, 16, v57
	v_pk_fma_f16 v47, v55, v76, v47
	v_mul_u32_u24_e32 v76, 0x10001, v78
	v_mul_u32_u24_e32 v56, 0x10001, v56
	;; [unrolled: 1-line block ×4, first 2 shown]
	v_pk_fma_f16 v79, v55, v80, v53
	s_wait_dscnt 0x1
	v_pk_fma_f16 v60, v66, v76, v60
	v_pk_fma_f16 v77, v66, v56, v77
	;; [unrolled: 1-line block ×4, first 2 shown]
	v_and_b32_e32 v52, 0xffff, v58
	v_lshrrev_b32_e32 v53, 16, v58
	v_pk_fma_f16 v76, v67, v76, v54
	v_pk_fma_f16 v56, v67, v56, v75
	;; [unrolled: 1-line block ×3, first 2 shown]
	v_and_b32_e32 v58, 0xffff, v59
	v_lshrrev_b32_e32 v59, 16, v59
	v_mul_u32_u24_e32 v75, 0x10001, v52
	v_mul_u32_u24_e32 v78, 0x10001, v53
	ds_load_2addr_b64 v[52:55], v48 offset0:64 offset1:96
	v_mul_u32_u24_e32 v58, 0x10001, v58
	v_mul_u32_u24_e32 v59, 0x10001, v59
	v_pk_fma_f16 v57, v67, v57, v79
	v_pk_fma_f16 v60, v68, v75, v60
	;; [unrolled: 1-line block ×7, first 2 shown]
	s_wait_dscnt 0x1
	v_and_b32_e32 v56, 0xffff, v70
	v_lshrrev_b32_e32 v70, 16, v70
	v_and_b32_e32 v76, 0xffff, v71
	v_lshrrev_b32_e32 v71, 16, v71
	v_pk_fma_f16 v47, v69, v58, v47
	v_mul_u32_u24_e32 v56, 0x10001, v56
	v_mul_u32_u24_e32 v70, 0x10001, v70
	;; [unrolled: 1-line block ×4, first 2 shown]
	v_pk_fma_f16 v77, v69, v59, v57
	s_wait_dscnt 0x0
	v_pk_fma_f16 v60, v52, v56, v60
	v_pk_fma_f16 v79, v53, v56, v68
	ds_load_b128 v[56:59], v39 offset:672
	v_pk_fma_f16 v78, v52, v70, v67
	v_pk_fma_f16 v74, v52, v76, v74
	v_pk_fma_f16 v52, v52, v71, v66
	v_and_b32_e32 v66, 0xffff, v72
	v_lshrrev_b32_e32 v67, 16, v72
	v_and_b32_e32 v68, 0xffff, v73
	v_pk_fma_f16 v70, v53, v70, v75
	v_pk_fma_f16 v47, v53, v76, v47
	v_lshrrev_b32_e32 v72, 16, v73
	v_mul_u32_u24_e32 v73, 0x10001, v66
	v_mul_u32_u24_e32 v75, 0x10001, v67
	v_mul_u32_u24_e32 v76, 0x10001, v68
	ds_load_2addr_b64 v[66:69], v48 offset0:128 offset1:160
	v_mul_u32_u24_e32 v80, 0x10001, v72
	v_pk_fma_f16 v53, v53, v71, v77
	v_pk_fma_f16 v60, v54, v73, v60
	v_pk_fma_f16 v77, v54, v75, v78
	v_pk_fma_f16 v74, v54, v76, v74
	v_pk_fma_f16 v52, v54, v80, v52
	v_pk_fma_f16 v54, v55, v73, v79
	v_pk_fma_f16 v75, v55, v75, v70
	ds_load_b128 v[70:73], v39 offset:688
	s_wait_dscnt 0x2
	v_and_b32_e32 v78, 0xffff, v56
	v_lshrrev_b32_e32 v56, 16, v56
	v_and_b32_e32 v79, 0xffff, v57
	v_lshrrev_b32_e32 v57, 16, v57
	v_pk_fma_f16 v47, v55, v76, v47
	v_mul_u32_u24_e32 v76, 0x10001, v78
	v_mul_u32_u24_e32 v56, 0x10001, v56
	;; [unrolled: 1-line block ×4, first 2 shown]
	v_pk_fma_f16 v79, v55, v80, v53
	s_wait_dscnt 0x1
	v_pk_fma_f16 v60, v66, v76, v60
	v_pk_fma_f16 v77, v66, v56, v77
	;; [unrolled: 1-line block ×4, first 2 shown]
	v_and_b32_e32 v52, 0xffff, v58
	v_lshrrev_b32_e32 v53, 16, v58
	v_pk_fma_f16 v76, v67, v76, v54
	v_pk_fma_f16 v56, v67, v56, v75
	;; [unrolled: 1-line block ×3, first 2 shown]
	v_and_b32_e32 v58, 0xffff, v59
	v_mul_u32_u24_e32 v75, 0x10001, v52
	v_mul_u32_u24_e32 v78, 0x10001, v53
	ds_load_2addr_b64 v[52:55], v48 offset0:192 offset1:224
	v_lshrrev_b32_e32 v59, 16, v59
	v_mul_u32_u24_e32 v48, 0x10001, v58
	v_pk_fma_f16 v57, v67, v57, v79
	s_delay_alu instid0(VALU_DEP_3) | instskip(NEXT) | instid1(VALU_DEP_3)
	v_mul_u32_u24_e32 v58, 0x10001, v59
	v_pk_fma_f16 v67, v68, v48, v74
	v_pk_fma_f16 v74, v69, v78, v56
	s_wait_dscnt 0x1
	v_and_b32_e32 v56, 0xffff, v70
	v_pk_fma_f16 v59, v68, v75, v60
	v_pk_fma_f16 v60, v68, v78, v77
	;; [unrolled: 1-line block ×4, first 2 shown]
	v_lshrrev_b32_e32 v70, 16, v70
	v_and_b32_e32 v75, 0xffff, v71
	v_lshrrev_b32_e32 v71, 16, v71
	v_pk_fma_f16 v47, v69, v48, v47
	v_mul_u32_u24_e32 v48, 0x10001, v56
	v_mul_u32_u24_e32 v70, 0x10001, v70
	;; [unrolled: 1-line block ×4, first 2 shown]
	v_pk_fma_f16 v76, v69, v58, v57
	s_wait_dscnt 0x0
	v_pk_fma_f16 v77, v52, v48, v59
	ds_load_b128 v[56:59], v39 offset:704
	v_pk_fma_f16 v60, v52, v70, v60
	v_pk_fma_f16 v78, v52, v75, v67
	;; [unrolled: 1-line block ×4, first 2 shown]
	v_and_b32_e32 v66, 0xffff, v72
	v_lshrrev_b32_e32 v67, 16, v72
	v_and_b32_e32 v68, 0xffff, v73
	v_pk_fma_f16 v70, v53, v70, v74
	v_pk_fma_f16 v47, v53, v75, v47
	v_lshrrev_b32_e32 v72, 16, v73
	v_mul_u32_u24_e32 v73, 0x10001, v66
	v_mul_u32_u24_e32 v74, 0x10001, v67
	;; [unrolled: 1-line block ×3, first 2 shown]
	ds_load_2addr_b64 v[66:69], v49 offset1:32
	v_mul_u32_u24_e32 v79, 0x10001, v72
	v_pk_fma_f16 v53, v53, v71, v76
	v_pk_fma_f16 v76, v54, v73, v77
	;; [unrolled: 1-line block ×7, first 2 shown]
	ds_load_b128 v[70:73], v39 offset:720
	s_wait_dscnt 0x2
	v_and_b32_e32 v74, 0xffff, v56
	v_lshrrev_b32_e32 v56, 16, v56
	v_and_b32_e32 v78, 0xffff, v57
	v_lshrrev_b32_e32 v57, 16, v57
	v_pk_fma_f16 v47, v55, v75, v47
	v_mul_u32_u24_e32 v74, 0x10001, v74
	v_mul_u32_u24_e32 v56, 0x10001, v56
	;; [unrolled: 1-line block ×4, first 2 shown]
	v_pk_fma_f16 v78, v55, v79, v53
	s_wait_dscnt 0x1
	v_pk_fma_f16 v76, v66, v74, v76
	v_pk_fma_f16 v60, v66, v56, v60
	;; [unrolled: 1-line block ×4, first 2 shown]
	v_and_b32_e32 v52, 0xffff, v58
	v_lshrrev_b32_e32 v53, 16, v58
	v_pk_fma_f16 v48, v67, v74, v48
	v_pk_fma_f16 v56, v67, v56, v54
	;; [unrolled: 1-line block ×3, first 2 shown]
	v_and_b32_e32 v58, 0xffff, v59
	v_lshrrev_b32_e32 v59, 16, v59
	v_mul_u32_u24_e32 v74, 0x10001, v52
	v_mul_u32_u24_e32 v75, 0x10001, v53
	ds_load_2addr_b64 v[52:55], v49 offset0:64 offset1:96
	v_mul_u32_u24_e32 v58, 0x10001, v58
	v_mul_u32_u24_e32 v59, 0x10001, v59
	v_pk_fma_f16 v57, v67, v57, v78
	v_pk_fma_f16 v67, v68, v74, v76
	;; [unrolled: 1-line block ×6, first 2 shown]
	s_wait_dscnt 0x1
	v_and_b32_e32 v56, 0xffff, v70
	v_pk_fma_f16 v48, v69, v74, v48
	v_lshrrev_b32_e32 v70, 16, v70
	v_and_b32_e32 v74, 0xffff, v71
	v_lshrrev_b32_e32 v71, 16, v71
	v_mul_u32_u24_e32 v56, 0x10001, v56
	v_pk_fma_f16 v47, v69, v58, v47
	v_mul_u32_u24_e32 v70, 0x10001, v70
	v_mul_u32_u24_e32 v74, 0x10001, v74
	;; [unrolled: 1-line block ×3, first 2 shown]
	v_pk_fma_f16 v75, v69, v59, v57
	s_wait_dscnt 0x0
	v_pk_fma_f16 v77, v52, v56, v67
	v_pk_fma_f16 v48, v53, v56, v48
	ds_load_b128 v[56:59], v39 offset:736
	v_pk_fma_f16 v60, v52, v70, v60
	v_pk_fma_f16 v76, v52, v74, v76
	;; [unrolled: 1-line block ×4, first 2 shown]
	v_and_b32_e32 v66, 0xffff, v72
	v_lshrrev_b32_e32 v67, 16, v72
	v_and_b32_e32 v68, 0xffff, v73
	v_pk_fma_f16 v47, v53, v74, v47
	v_lshrrev_b32_e32 v72, 16, v73
	v_mul_u32_u24_e32 v73, 0x10001, v66
	v_mul_u32_u24_e32 v74, 0x10001, v67
	;; [unrolled: 1-line block ×3, first 2 shown]
	ds_load_2addr_b64 v[66:69], v49 offset0:128 offset1:160
	v_mul_u32_u24_e32 v79, 0x10001, v72
	v_pk_fma_f16 v53, v53, v71, v75
	v_pk_fma_f16 v75, v54, v73, v77
	;; [unrolled: 1-line block ×7, first 2 shown]
	ds_load_b128 v[70:73], v39 offset:752
	s_wait_dscnt 0x2
	v_and_b32_e32 v74, 0xffff, v56
	v_lshrrev_b32_e32 v56, 16, v56
	v_and_b32_e32 v77, 0xffff, v57
	v_lshrrev_b32_e32 v57, 16, v57
	v_pk_fma_f16 v47, v55, v78, v47
	v_mul_u32_u24_e32 v74, 0x10001, v74
	v_mul_u32_u24_e32 v56, 0x10001, v56
	;; [unrolled: 1-line block ×4, first 2 shown]
	v_pk_fma_f16 v78, v55, v79, v53
	s_wait_dscnt 0x1
	v_pk_fma_f16 v75, v66, v74, v75
	v_pk_fma_f16 v60, v66, v56, v60
	;; [unrolled: 1-line block ×4, first 2 shown]
	v_and_b32_e32 v52, 0xffff, v58
	v_lshrrev_b32_e32 v53, 16, v58
	v_pk_fma_f16 v48, v67, v74, v48
	v_pk_fma_f16 v56, v67, v56, v54
	;; [unrolled: 1-line block ×3, first 2 shown]
	v_and_b32_e32 v58, 0xffff, v59
	v_lshrrev_b32_e32 v59, 16, v59
	v_mul_u32_u24_e32 v74, 0x10001, v52
	v_mul_u32_u24_e32 v77, 0x10001, v53
	ds_load_2addr_b64 v[52:55], v49 offset0:192 offset1:224
	v_mul_u32_u24_e32 v49, 0x10001, v58
	v_mul_u32_u24_e32 v58, 0x10001, v59
	v_pk_fma_f16 v57, v67, v57, v78
	v_pk_fma_f16 v59, v68, v74, v75
	;; [unrolled: 1-line block ×6, first 2 shown]
	s_wait_dscnt 0x1
	v_and_b32_e32 v56, 0xffff, v70
	v_pk_fma_f16 v48, v69, v74, v48
	v_lshrrev_b32_e32 v70, 16, v70
	v_and_b32_e32 v74, 0xffff, v71
	v_lshrrev_b32_e32 v71, 16, v71
	v_pk_fma_f16 v47, v69, v49, v47
	v_mul_u32_u24_e32 v49, 0x10001, v56
	v_mul_u32_u24_e32 v70, 0x10001, v70
	;; [unrolled: 1-line block ×4, first 2 shown]
	v_pk_fma_f16 v75, v69, v58, v57
	s_wait_dscnt 0x0
	v_pk_fma_f16 v76, v52, v49, v59
	ds_load_b128 v[56:59], v39 offset:768
	v_pk_fma_f16 v60, v52, v70, v60
	v_pk_fma_f16 v77, v52, v74, v67
	;; [unrolled: 1-line block ×5, first 2 shown]
	v_and_b32_e32 v66, 0xffff, v72
	v_lshrrev_b32_e32 v67, 16, v72
	v_and_b32_e32 v68, 0xffff, v73
	v_pk_fma_f16 v47, v53, v74, v47
	v_lshrrev_b32_e32 v70, 16, v73
	v_mul_u32_u24_e32 v72, 0x10001, v66
	v_mul_u32_u24_e32 v73, 0x10001, v67
	v_mul_u32_u24_e32 v74, 0x10001, v68
	ds_load_2addr_b64 v[66:69], v50 offset1:32
	v_mul_u32_u24_e32 v78, 0x10001, v70
	v_pk_fma_f16 v53, v53, v71, v75
	v_pk_fma_f16 v75, v54, v72, v76
	;; [unrolled: 1-line block ×7, first 2 shown]
	ds_load_b128 v[70:73], v39 offset:784
	s_wait_dscnt 0x2
	v_and_b32_e32 v54, 0xffff, v56
	v_lshrrev_b32_e32 v56, 16, v56
	v_and_b32_e32 v77, 0xffff, v57
	v_lshrrev_b32_e32 v57, 16, v57
	v_pk_fma_f16 v47, v55, v74, v47
	v_mul_u32_u24_e32 v54, 0x10001, v54
	v_mul_u32_u24_e32 v56, 0x10001, v56
	;; [unrolled: 1-line block ×4, first 2 shown]
	v_pk_fma_f16 v77, v55, v78, v53
	s_wait_dscnt 0x1
	v_pk_fma_f16 v75, v66, v54, v75
	v_pk_fma_f16 v60, v66, v56, v60
	;; [unrolled: 1-line block ×4, first 2 shown]
	v_and_b32_e32 v52, 0xffff, v58
	v_lshrrev_b32_e32 v53, 16, v58
	v_pk_fma_f16 v48, v67, v54, v48
	v_pk_fma_f16 v49, v67, v56, v49
	;; [unrolled: 1-line block ×3, first 2 shown]
	v_and_b32_e32 v56, 0xffff, v59
	v_lshrrev_b32_e32 v58, 16, v59
	v_mul_u32_u24_e32 v59, 0x10001, v52
	v_mul_u32_u24_e32 v74, 0x10001, v53
	ds_load_2addr_b64 v[52:55], v50 offset0:64 offset1:96
	v_mul_u32_u24_e32 v56, 0x10001, v56
	v_mul_u32_u24_e32 v58, 0x10001, v58
	v_pk_fma_f16 v57, v67, v57, v77
	v_pk_fma_f16 v67, v68, v59, v75
	;; [unrolled: 1-line block ×3, first 2 shown]
	s_wait_dscnt 0x1
	v_and_b32_e32 v59, 0xffff, v70
	v_pk_fma_f16 v60, v68, v74, v60
	v_pk_fma_f16 v75, v68, v56, v76
	;; [unrolled: 1-line block ×3, first 2 shown]
	v_lshrrev_b32_e32 v68, 16, v70
	v_and_b32_e32 v70, 0xffff, v71
	v_lshrrev_b32_e32 v71, 16, v71
	v_pk_fma_f16 v47, v69, v56, v47
	v_mul_u32_u24_e32 v56, 0x10001, v59
	v_pk_fma_f16 v49, v69, v74, v49
	v_mul_u32_u24_e32 v68, 0x10001, v68
	v_mul_u32_u24_e32 v70, 0x10001, v70
	;; [unrolled: 1-line block ×3, first 2 shown]
	v_pk_fma_f16 v74, v69, v58, v57
	s_wait_dscnt 0x0
	v_pk_fma_f16 v76, v52, v56, v67
	v_pk_fma_f16 v48, v53, v56, v48
	ds_load_b128 v[56:59], v39 offset:800
	v_pk_fma_f16 v60, v52, v68, v60
	v_pk_fma_f16 v75, v52, v70, v75
	;; [unrolled: 1-line block ×4, first 2 shown]
	v_and_b32_e32 v66, 0xffff, v72
	v_lshrrev_b32_e32 v67, 16, v72
	v_and_b32_e32 v68, 0xffff, v73
	v_pk_fma_f16 v47, v53, v70, v47
	v_lshrrev_b32_e32 v70, 16, v73
	v_mul_u32_u24_e32 v72, 0x10001, v66
	v_mul_u32_u24_e32 v73, 0x10001, v67
	;; [unrolled: 1-line block ×3, first 2 shown]
	ds_load_2addr_b64 v[66:69], v50 offset0:128 offset1:160
	v_mul_u32_u24_e32 v78, 0x10001, v70
	v_pk_fma_f16 v53, v53, v71, v74
	v_pk_fma_f16 v74, v54, v72, v76
	;; [unrolled: 1-line block ×7, first 2 shown]
	ds_load_b128 v[70:73], v39 offset:816
	s_wait_dscnt 0x2
	v_and_b32_e32 v54, 0xffff, v56
	v_lshrrev_b32_e32 v56, 16, v56
	v_and_b32_e32 v76, 0xffff, v57
	v_lshrrev_b32_e32 v57, 16, v57
	v_pk_fma_f16 v47, v55, v77, v47
	v_mul_u32_u24_e32 v54, 0x10001, v54
	v_mul_u32_u24_e32 v56, 0x10001, v56
	;; [unrolled: 1-line block ×4, first 2 shown]
	v_pk_fma_f16 v53, v55, v78, v53
	s_wait_dscnt 0x1
	v_pk_fma_f16 v55, v66, v54, v74
	v_pk_fma_f16 v60, v66, v56, v60
	;; [unrolled: 1-line block ×4, first 2 shown]
	v_and_b32_e32 v48, 0xffff, v58
	v_lshrrev_b32_e32 v49, 16, v58
	v_pk_fma_f16 v74, v66, v76, v75
	v_pk_fma_f16 v52, v66, v57, v52
	v_pk_fma_f16 v58, v67, v76, v47
	v_and_b32_e32 v66, 0xffff, v59
	v_lshrrev_b32_e32 v59, 16, v59
	v_mul_u32_u24_e32 v75, 0x10001, v48
	v_mul_u32_u24_e32 v76, 0x10001, v49
	ds_load_2addr_b64 v[47:50], v50 offset0:192 offset1:224
	v_mul_u32_u24_e32 v66, 0x10001, v66
	v_mul_u32_u24_e32 v59, 0x10001, v59
	v_pk_fma_f16 v53, v67, v57, v53
	v_pk_fma_f16 v55, v68, v75, v55
	;; [unrolled: 1-line block ×5, first 2 shown]
	s_wait_dscnt 0x1
	v_and_b32_e32 v67, 0xffff, v70
	v_lshrrev_b32_e32 v68, 16, v70
	v_and_b32_e32 v70, 0xffff, v71
	v_lshrrev_b32_e32 v71, 16, v71
	v_pk_fma_f16 v54, v69, v75, v54
	v_pk_fma_f16 v58, v69, v66, v58
	v_mul_u32_u24_e32 v66, 0x10001, v67
	v_mul_u32_u24_e32 v67, 0x10001, v68
	v_mul_u32_u24_e32 v68, 0x10001, v70
	v_mul_u32_u24_e32 v70, 0x10001, v71
	v_pk_fma_f16 v56, v69, v76, v56
	v_pk_fma_f16 v69, v69, v59, v53
	s_wait_dscnt 0x0
	v_pk_fma_f16 v71, v47, v66, v55
	v_pk_fma_f16 v74, v47, v67, v57
	;; [unrolled: 1-line block ×5, first 2 shown]
	ds_load_b128 v[52:55], v39 offset:832
	v_pk_fma_f16 v67, v48, v67, v56
	v_and_b32_e32 v56, 0xffff, v72
	v_lshrrev_b32_e32 v57, 16, v72
	v_and_b32_e32 v59, 0xffff, v73
	v_pk_fma_f16 v72, v48, v68, v58
	v_lshrrev_b32_e32 v68, 16, v73
	v_mul_u32_u24_e32 v73, 0x10001, v56
	v_mul_u32_u24_e32 v75, 0x10001, v57
	v_mul_u32_u24_e32 v76, 0x10001, v59
	ds_load_2addr_b64 v[56:59], v51 offset1:32
	v_mul_u32_u24_e32 v77, 0x10001, v68
	v_pk_fma_f16 v48, v48, v70, v69
	v_pk_fma_f16 v70, v49, v73, v71
	;; [unrolled: 1-line block ×7, first 2 shown]
	ds_load_b128 v[66:69], v39 offset:848
	s_wait_dscnt 0x2
	v_and_b32_e32 v74, 0xffff, v52
	v_lshrrev_b32_e32 v52, 16, v52
	v_and_b32_e32 v75, 0xffff, v53
	v_lshrrev_b32_e32 v53, 16, v53
	v_pk_fma_f16 v72, v50, v76, v72
	v_mul_u32_u24_e32 v74, 0x10001, v74
	v_mul_u32_u24_e32 v52, 0x10001, v52
	v_mul_u32_u24_e32 v75, 0x10001, v75
	v_mul_u32_u24_e32 v53, 0x10001, v53
	v_pk_fma_f16 v76, v50, v77, v48
	s_wait_dscnt 0x1
	v_pk_fma_f16 v70, v56, v74, v70
	v_pk_fma_f16 v71, v56, v52, v71
	;; [unrolled: 1-line block ×4, first 2 shown]
	v_and_b32_e32 v47, 0xffff, v54
	v_lshrrev_b32_e32 v48, 16, v54
	v_pk_fma_f16 v74, v57, v74, v49
	v_pk_fma_f16 v52, v57, v52, v73
	;; [unrolled: 1-line block ×3, first 2 shown]
	v_mul_u32_u24_e32 v73, 0x10001, v47
	v_mul_u32_u24_e32 v75, 0x10001, v48
	ds_load_2addr_b64 v[47:50], v51 offset0:64 offset1:96
	v_and_b32_e32 v72, 0xffff, v55
	v_lshrrev_b32_e32 v55, 16, v55
	v_pk_fma_f16 v53, v57, v53, v76
	v_pk_fma_f16 v57, v58, v73, v70
	;; [unrolled: 1-line block ×3, first 2 shown]
	v_mul_u32_u24_e32 v72, 0x10001, v72
	v_mul_u32_u24_e32 v55, 0x10001, v55
	v_pk_fma_f16 v71, v59, v75, v52
	s_wait_dscnt 0x1
	v_and_b32_e32 v52, 0xffff, v66
	v_lshrrev_b32_e32 v66, 16, v66
	v_pk_fma_f16 v60, v58, v72, v60
	v_pk_fma_f16 v56, v58, v55, v56
	;; [unrolled: 1-line block ×3, first 2 shown]
	v_and_b32_e32 v73, 0xffff, v67
	v_lshrrev_b32_e32 v67, 16, v67
	v_mul_u32_u24_e32 v52, 0x10001, v52
	v_pk_fma_f16 v72, v59, v72, v54
	v_mul_u32_u24_e32 v66, 0x10001, v66
	v_mul_u32_u24_e32 v73, 0x10001, v73
	;; [unrolled: 1-line block ×3, first 2 shown]
	v_pk_fma_f16 v74, v59, v55, v53
	s_wait_dscnt 0x0
	v_pk_fma_f16 v75, v47, v52, v57
	v_pk_fma_f16 v76, v48, v52, v58
	ds_load_b128 v[52:55], v39 offset:864
	v_pk_fma_f16 v70, v47, v66, v70
	v_pk_fma_f16 v60, v47, v73, v60
	;; [unrolled: 1-line block ×3, first 2 shown]
	v_and_b32_e32 v56, 0xffff, v68
	v_lshrrev_b32_e32 v57, 16, v68
	v_and_b32_e32 v58, 0xffff, v69
	v_pk_fma_f16 v66, v48, v66, v71
	v_pk_fma_f16 v71, v48, v73, v72
	v_lshrrev_b32_e32 v68, 16, v69
	v_mul_u32_u24_e32 v69, 0x10001, v56
	v_mul_u32_u24_e32 v72, 0x10001, v57
	;; [unrolled: 1-line block ×3, first 2 shown]
	ds_load_2addr_b64 v[56:59], v51 offset0:128 offset1:160
	v_mul_u32_u24_e32 v77, 0x10001, v68
	v_pk_fma_f16 v48, v48, v67, v74
	v_pk_fma_f16 v74, v49, v69, v75
	;; [unrolled: 1-line block ×7, first 2 shown]
	ds_load_b128 v[66:69], v39 offset:880
	s_wait_dscnt 0x2
	v_and_b32_e32 v75, 0xffff, v52
	v_lshrrev_b32_e32 v52, 16, v52
	v_and_b32_e32 v76, 0xffff, v53
	v_lshrrev_b32_e32 v53, 16, v53
	v_pk_fma_f16 v71, v50, v73, v71
	v_mul_u32_u24_e32 v73, 0x10001, v75
	v_mul_u32_u24_e32 v52, 0x10001, v52
	;; [unrolled: 1-line block ×4, first 2 shown]
	v_pk_fma_f16 v76, v50, v77, v48
	s_wait_dscnt 0x1
	v_pk_fma_f16 v74, v56, v73, v74
	v_pk_fma_f16 v70, v56, v52, v70
	;; [unrolled: 1-line block ×4, first 2 shown]
	v_and_b32_e32 v47, 0xffff, v54
	v_lshrrev_b32_e32 v48, 16, v54
	v_pk_fma_f16 v73, v57, v73, v49
	v_pk_fma_f16 v52, v57, v52, v72
	v_pk_fma_f16 v54, v57, v75, v71
	v_mul_u32_u24_e32 v72, 0x10001, v47
	v_mul_u32_u24_e32 v75, 0x10001, v48
	ds_load_2addr_b64 v[47:50], v51 offset0:192 offset1:224
	v_and_b32_e32 v71, 0xffff, v55
	v_lshrrev_b32_e32 v55, 16, v55
	v_pk_fma_f16 v53, v57, v53, v76
	v_pk_fma_f16 v57, v58, v72, v74
	;; [unrolled: 1-line block ×3, first 2 shown]
	v_mul_u32_u24_e32 v51, 0x10001, v71
	v_mul_u32_u24_e32 v55, 0x10001, v55
	v_pk_fma_f16 v71, v59, v75, v52
	s_wait_dscnt 0x1
	v_and_b32_e32 v52, 0xffff, v66
	v_lshrrev_b32_e32 v66, 16, v66
	v_pk_fma_f16 v60, v58, v51, v60
	v_pk_fma_f16 v56, v58, v55, v56
	;; [unrolled: 1-line block ×3, first 2 shown]
	v_and_b32_e32 v72, 0xffff, v67
	v_lshrrev_b32_e32 v67, 16, v67
	v_pk_fma_f16 v73, v59, v51, v54
	v_mul_u32_u24_e32 v51, 0x10001, v52
	v_mul_u32_u24_e32 v66, 0x10001, v66
	;; [unrolled: 1-line block ×4, first 2 shown]
	v_pk_fma_f16 v59, v59, v55, v53
	s_wait_dscnt 0x0
	v_pk_fma_f16 v74, v47, v51, v57
	v_pk_fma_f16 v75, v48, v51, v58
	ds_load_b128 v[51:54], v39 offset:896
	v_pk_fma_f16 v70, v47, v66, v70
	v_pk_fma_f16 v60, v47, v72, v60
	;; [unrolled: 1-line block ×3, first 2 shown]
	v_and_b32_e32 v55, 0xffff, v68
	v_lshrrev_b32_e32 v56, 16, v68
	v_and_b32_e32 v57, 0xffff, v69
	v_pk_fma_f16 v66, v48, v66, v71
	v_pk_fma_f16 v71, v48, v72, v73
	v_lshrrev_b32_e32 v68, 16, v69
	v_mul_u32_u24_e32 v69, 0x10001, v55
	v_mul_u32_u24_e32 v72, 0x10001, v56
	;; [unrolled: 1-line block ×3, first 2 shown]
	ds_load_2addr_b64 v[55:58], v46 offset1:32
	v_mul_u32_u24_e32 v76, 0x10001, v68
	v_pk_fma_f16 v48, v48, v67, v59
	v_pk_fma_f16 v59, v49, v69, v74
	;; [unrolled: 1-line block ×7, first 2 shown]
	ds_load_b128 v[66:69], v39 offset:912
	s_wait_dscnt 0x2
	v_and_b32_e32 v74, 0xffff, v51
	v_lshrrev_b32_e32 v51, 16, v51
	v_and_b32_e32 v75, 0xffff, v52
	v_lshrrev_b32_e32 v52, 16, v52
	v_pk_fma_f16 v71, v50, v73, v71
	v_mul_u32_u24_e32 v73, 0x10001, v74
	v_mul_u32_u24_e32 v51, 0x10001, v51
	;; [unrolled: 1-line block ×4, first 2 shown]
	v_pk_fma_f16 v75, v50, v76, v48
	s_wait_dscnt 0x1
	v_pk_fma_f16 v59, v55, v73, v59
	v_pk_fma_f16 v70, v55, v51, v70
	v_pk_fma_f16 v60, v55, v74, v60
	v_pk_fma_f16 v55, v55, v52, v47
	v_and_b32_e32 v47, 0xffff, v53
	v_lshrrev_b32_e32 v48, 16, v53
	v_pk_fma_f16 v73, v56, v73, v49
	v_pk_fma_f16 v51, v56, v51, v72
	;; [unrolled: 1-line block ×3, first 2 shown]
	v_mul_u32_u24_e32 v72, 0x10001, v47
	v_mul_u32_u24_e32 v74, 0x10001, v48
	ds_load_2addr_b64 v[47:50], v46 offset0:64 offset1:96
	v_and_b32_e32 v71, 0xffff, v54
	v_lshrrev_b32_e32 v54, 16, v54
	v_pk_fma_f16 v52, v56, v52, v75
	v_pk_fma_f16 v56, v57, v72, v59
	;; [unrolled: 1-line block ×3, first 2 shown]
	v_mul_u32_u24_e32 v71, 0x10001, v71
	v_mul_u32_u24_e32 v54, 0x10001, v54
	v_pk_fma_f16 v70, v58, v74, v51
	s_wait_dscnt 0x1
	v_and_b32_e32 v51, 0xffff, v66
	v_lshrrev_b32_e32 v66, 16, v66
	v_pk_fma_f16 v60, v57, v71, v60
	v_pk_fma_f16 v55, v57, v54, v55
	v_pk_fma_f16 v57, v58, v72, v73
	v_and_b32_e32 v72, 0xffff, v67
	v_lshrrev_b32_e32 v67, 16, v67
	v_mul_u32_u24_e32 v51, 0x10001, v51
	v_pk_fma_f16 v71, v58, v71, v53
	v_mul_u32_u24_e32 v66, 0x10001, v66
	v_mul_u32_u24_e32 v72, 0x10001, v72
	v_mul_u32_u24_e32 v67, 0x10001, v67
	v_pk_fma_f16 v73, v58, v54, v52
	s_wait_dscnt 0x0
	v_pk_fma_f16 v74, v47, v51, v56
	v_pk_fma_f16 v75, v48, v51, v57
	ds_load_b128 v[51:54], v39 offset:928
	v_pk_fma_f16 v59, v47, v66, v59
	v_pk_fma_f16 v60, v47, v72, v60
	;; [unrolled: 1-line block ×3, first 2 shown]
	v_and_b32_e32 v55, 0xffff, v68
	v_lshrrev_b32_e32 v56, 16, v68
	v_and_b32_e32 v57, 0xffff, v69
	v_pk_fma_f16 v66, v48, v66, v70
	v_pk_fma_f16 v70, v48, v72, v71
	v_lshrrev_b32_e32 v68, 16, v69
	v_mul_u32_u24_e32 v69, 0x10001, v55
	v_mul_u32_u24_e32 v71, 0x10001, v56
	;; [unrolled: 1-line block ×3, first 2 shown]
	ds_load_2addr_b64 v[55:58], v46 offset0:128 offset1:160
	v_mul_u32_u24_e32 v76, 0x10001, v68
	v_pk_fma_f16 v48, v48, v67, v73
	v_pk_fma_f16 v73, v49, v69, v74
	;; [unrolled: 1-line block ×7, first 2 shown]
	ds_load_b128 v[66:69], v39 offset:944
	s_wait_dscnt 0x2
	v_and_b32_e32 v74, 0xffff, v51
	v_lshrrev_b32_e32 v51, 16, v51
	v_and_b32_e32 v75, 0xffff, v52
	v_lshrrev_b32_e32 v52, 16, v52
	v_pk_fma_f16 v70, v50, v72, v70
	v_mul_u32_u24_e32 v72, 0x10001, v74
	v_mul_u32_u24_e32 v51, 0x10001, v51
	;; [unrolled: 1-line block ×4, first 2 shown]
	v_pk_fma_f16 v50, v50, v76, v48
	s_wait_dscnt 0x1
	v_pk_fma_f16 v73, v55, v72, v73
	v_pk_fma_f16 v59, v55, v51, v59
	;; [unrolled: 1-line block ×4, first 2 shown]
	v_and_b32_e32 v47, 0xffff, v53
	v_lshrrev_b32_e32 v48, 16, v53
	v_pk_fma_f16 v72, v56, v72, v49
	v_pk_fma_f16 v51, v56, v51, v71
	;; [unrolled: 1-line block ×3, first 2 shown]
	v_and_b32_e32 v70, 0xffff, v54
	v_mul_u32_u24_e32 v71, 0x10001, v47
	v_mul_u32_u24_e32 v74, 0x10001, v48
	ds_load_2addr_b64 v[46:49], v46 offset0:192 offset1:224
	v_lshrrev_b32_e32 v54, 16, v54
	v_mul_u32_u24_e32 v70, 0x10001, v70
	v_pk_fma_f16 v50, v56, v52, v50
	v_pk_fma_f16 v56, v57, v74, v59
	;; [unrolled: 1-line block ×3, first 2 shown]
	v_mul_u32_u24_e32 v54, 0x10001, v54
	v_pk_fma_f16 v59, v57, v70, v60
	v_pk_fma_f16 v60, v58, v74, v51
	s_wait_dscnt 0x1
	v_and_b32_e32 v51, 0xffff, v66
	v_lshrrev_b32_e32 v66, 16, v66
	v_pk_fma_f16 v55, v57, v54, v55
	v_pk_fma_f16 v57, v58, v71, v72
	v_and_b32_e32 v71, 0xffff, v67
	v_lshrrev_b32_e32 v67, 16, v67
	v_mul_u32_u24_e32 v51, 0x10001, v51
	v_pk_fma_f16 v70, v58, v70, v53
	v_mul_u32_u24_e32 v66, 0x10001, v66
	v_mul_u32_u24_e32 v71, 0x10001, v71
	;; [unrolled: 1-line block ×3, first 2 shown]
	v_pk_fma_f16 v58, v58, v54, v50
	s_wait_dscnt 0x0
	v_pk_fma_f16 v72, v46, v51, v52
	v_pk_fma_f16 v74, v47, v51, v57
	ds_load_b128 v[50:53], v39 offset:960
	v_pk_fma_f16 v73, v46, v66, v56
	v_pk_fma_f16 v59, v46, v71, v59
	;; [unrolled: 1-line block ×3, first 2 shown]
	v_and_b32_e32 v54, 0xffff, v68
	v_lshrrev_b32_e32 v55, 16, v68
	v_and_b32_e32 v56, 0xffff, v69
	v_pk_fma_f16 v60, v47, v66, v60
	v_pk_fma_f16 v70, v47, v71, v70
	v_lshrrev_b32_e32 v66, 16, v69
	v_mul_u32_u24_e32 v68, 0x10001, v54
	v_mul_u32_u24_e32 v69, 0x10001, v55
	;; [unrolled: 1-line block ×3, first 2 shown]
	ds_load_2addr_b64 v[54:57], v45 offset1:32
	v_mul_u32_u24_e32 v75, 0x10001, v66
	v_pk_fma_f16 v47, v47, v67, v58
	v_pk_fma_f16 v58, v48, v68, v72
	;; [unrolled: 1-line block ×7, first 2 shown]
	ds_load_b128 v[66:69], v39 offset:976
	s_wait_dscnt 0x2
	v_and_b32_e32 v73, 0xffff, v50
	v_lshrrev_b32_e32 v50, 16, v50
	v_and_b32_e32 v74, 0xffff, v51
	v_lshrrev_b32_e32 v51, 16, v51
	v_pk_fma_f16 v70, v49, v71, v70
	v_mul_u32_u24_e32 v71, 0x10001, v73
	v_mul_u32_u24_e32 v50, 0x10001, v50
	;; [unrolled: 1-line block ×4, first 2 shown]
	v_pk_fma_f16 v74, v49, v75, v47
	s_wait_dscnt 0x1
	v_pk_fma_f16 v58, v54, v71, v58
	v_pk_fma_f16 v72, v54, v50, v72
	;; [unrolled: 1-line block ×4, first 2 shown]
	v_and_b32_e32 v46, 0xffff, v52
	v_lshrrev_b32_e32 v47, 16, v52
	v_pk_fma_f16 v71, v55, v71, v48
	v_pk_fma_f16 v50, v55, v50, v60
	;; [unrolled: 1-line block ×3, first 2 shown]
	v_and_b32_e32 v60, 0xffff, v53
	v_lshrrev_b32_e32 v53, 16, v53
	v_mul_u32_u24_e32 v70, 0x10001, v46
	v_mul_u32_u24_e32 v73, 0x10001, v47
	ds_load_2addr_b64 v[46:49], v45 offset0:64 offset1:96
	v_mul_u32_u24_e32 v60, 0x10001, v60
	v_mul_u32_u24_e32 v53, 0x10001, v53
	v_pk_fma_f16 v51, v55, v51, v74
	v_pk_fma_f16 v55, v56, v70, v58
	;; [unrolled: 1-line block ×7, first 2 shown]
	s_wait_dscnt 0x1
	v_and_b32_e32 v50, 0xffff, v66
	v_lshrrev_b32_e32 v66, 16, v66
	v_and_b32_e32 v71, 0xffff, v67
	v_lshrrev_b32_e32 v67, 16, v67
	v_pk_fma_f16 v60, v57, v60, v52
	v_mul_u32_u24_e32 v50, 0x10001, v50
	v_mul_u32_u24_e32 v66, 0x10001, v66
	;; [unrolled: 1-line block ×4, first 2 shown]
	v_pk_fma_f16 v72, v57, v53, v51
	s_wait_dscnt 0x0
	v_pk_fma_f16 v73, v46, v50, v55
	v_pk_fma_f16 v74, v47, v50, v56
	ds_load_b128 v[50:53], v39 offset:992
	v_pk_fma_f16 v58, v46, v66, v58
	v_pk_fma_f16 v59, v46, v71, v59
	;; [unrolled: 1-line block ×3, first 2 shown]
	v_and_b32_e32 v54, 0xffff, v68
	v_lshrrev_b32_e32 v55, 16, v68
	v_and_b32_e32 v56, 0xffff, v69
	v_pk_fma_f16 v66, v47, v66, v70
	v_pk_fma_f16 v60, v47, v71, v60
	v_lshrrev_b32_e32 v68, 16, v69
	v_mul_u32_u24_e32 v69, 0x10001, v54
	v_mul_u32_u24_e32 v70, 0x10001, v55
	;; [unrolled: 1-line block ×3, first 2 shown]
	ds_load_2addr_b64 v[54:57], v45 offset0:128 offset1:160
	v_mul_u32_u24_e32 v75, 0x10001, v68
	v_pk_fma_f16 v47, v47, v67, v72
	v_pk_fma_f16 v72, v48, v69, v73
	;; [unrolled: 1-line block ×7, first 2 shown]
	ds_load_b128 v[66:69], v39 offset:1008
	s_wait_dscnt 0x2
	v_and_b32_e32 v73, 0xffff, v50
	v_lshrrev_b32_e32 v50, 16, v50
	v_and_b32_e32 v74, 0xffff, v51
	v_lshrrev_b32_e32 v51, 16, v51
	v_pk_fma_f16 v60, v49, v71, v60
	v_mul_u32_u24_e32 v71, 0x10001, v73
	v_mul_u32_u24_e32 v50, 0x10001, v50
	;; [unrolled: 1-line block ×4, first 2 shown]
	v_pk_fma_f16 v47, v49, v75, v47
	s_wait_dscnt 0x1
	v_pk_fma_f16 v49, v54, v71, v72
	v_pk_fma_f16 v58, v54, v50, v58
	;; [unrolled: 1-line block ×5, first 2 shown]
	v_and_b32_e32 v50, 0xffff, v52
	v_lshrrev_b32_e32 v51, 16, v52
	v_pk_fma_f16 v48, v55, v71, v48
	v_pk_fma_f16 v60, v55, v73, v60
	v_and_b32_e32 v70, 0xffff, v53
	v_lshrrev_b32_e32 v71, 16, v53
	v_mul_u32_u24_e32 v72, 0x10001, v50
	v_mul_u32_u24_e32 v73, 0x10001, v51
	ds_load_2addr_b64 v[50:53], v45 offset0:192 offset1:224
	v_mul_u32_u24_e32 v45, 0x10001, v70
	v_mul_u32_u24_e32 v70, 0x10001, v71
	s_wait_loadcnt_dscnt 0x0
	s_barrier_signal -1
	s_barrier_wait -1
	global_inv scope:SCOPE_SE
	s_load_b32 s11, s[24:25], 0x4
	v_pk_fma_f16 v47, v55, v74, v47
	v_pk_fma_f16 v49, v56, v72, v49
	;; [unrolled: 1-line block ×5, first 2 shown]
	v_and_b32_e32 v56, 0xffff, v66
	v_lshrrev_b32_e32 v59, 16, v66
	v_and_b32_e32 v66, 0xffff, v67
	v_lshrrev_b32_e32 v67, 16, v67
	v_pk_fma_f16 v48, v57, v72, v48
	v_pk_fma_f16 v54, v57, v73, v54
	;; [unrolled: 1-line block ×3, first 2 shown]
	v_mul_u32_u24_e32 v56, 0x10001, v56
	v_mul_u32_u24_e32 v59, 0x10001, v59
	;; [unrolled: 1-line block ×4, first 2 shown]
	v_pk_fma_f16 v47, v57, v70, v47
	v_pk_fma_f16 v49, v50, v56, v49
	;; [unrolled: 1-line block ×7, first 2 shown]
	v_and_b32_e32 v54, 0xffff, v68
	v_lshrrev_b32_e32 v56, 16, v68
	v_and_b32_e32 v58, 0xffff, v69
	v_lshrrev_b32_e32 v59, 16, v69
	v_pk_fma_f16 v45, v51, v60, v45
	v_mul_u32_u24_e32 v54, 0x10001, v54
	v_mul_u32_u24_e32 v56, 0x10001, v56
	;; [unrolled: 1-line block ×4, first 2 shown]
	v_pk_fma_f16 v60, v51, v66, v47
	s_wait_kmcnt 0x0
	s_lshl_b32 s11, s11, 7
	v_pk_fma_f16 v51, v52, v54, v49
	v_pk_fma_f16 v49, v52, v56, v55
	v_pk_fma_f16 v47, v52, v58, v57
	v_pk_fma_f16 v46, v52, v59, v46
	v_pk_fma_f16 v52, v53, v54, v48
	v_pk_fma_f16 v50, v53, v56, v50
	v_pk_fma_f16 v48, v53, v58, v45
	v_pk_fma_f16 v45, v53, v59, v60
	s_wait_alu 0xfffe
	s_add_co_i32 s10, s11, s10
	s_wait_alu 0xfffe
	s_cmp_ge_i32 s10, s28
	s_cbranch_scc1 .LBB72_75
; %bb.74:                               ;   in Loop: Header=BB72_9 Depth=1
	v_dual_mov_b32 v60, v0 :: v_dual_mov_b32 v55, v3
	v_dual_mov_b32 v58, v1 :: v_dual_mov_b32 v59, v62
	;; [unrolled: 1-line block ×4, first 2 shown]
	s_branch .LBB72_9
.LBB72_75:
	v_mov_b32_e32 v4, v30
.LBB72_76:
	v_cmp_lt_i32_e32 vcc_lo, v61, v31
	s_cmp_lg_u64 s[12:13], 0
	s_cselect_b32 s3, -1, 0
	s_cmp_eq_u32 s4, 0
	s_wait_alu 0xfffd
	v_cndmask_b32_e32 v5, v4, v61, vcc_lo
	v_cmp_lt_i32_e32 vcc_lo, v27, v31
	s_cselect_b32 s5, -1, 0
	s_wait_alu 0xfffe
	s_and_b32 s3, s5, s3
	v_lshlrev_b32_e32 v5, 2, v5
	ds_bpermute_b32 v8, v5, v65
	s_wait_dscnt 0x0
	v_add_f32_e32 v8, v65, v8
	ds_bpermute_b32 v6, v5, v62
	ds_bpermute_b32 v7, v5, v63
	;; [unrolled: 1-line block ×3, first 2 shown]
	s_wait_dscnt 0x2
	s_wait_alu 0xfffd
	v_dual_add_f32 v6, v62, v6 :: v_dual_cndmask_b32 v9, v4, v27
	s_wait_dscnt 0x0
	v_add_f32_e32 v5, v64, v5
	v_cmp_lt_i32_e32 vcc_lo, v26, v31
	s_delay_alu instid0(VALU_DEP_3)
	v_lshlrev_b32_e32 v9, 2, v9
	s_wait_alu 0xfffd
	v_cndmask_b32_e32 v15, v4, v26, vcc_lo
	v_cmp_lt_i32_e32 vcc_lo, v25, v31
	ds_bpermute_b32 v14, v9, v8
	s_wait_dscnt 0x0
	v_dual_add_f32 v8, v8, v14 :: v_dual_lshlrev_b32 v15, 2, v15
	ds_bpermute_b32 v10, v9, v6
	s_wait_dscnt 0x0
	v_dual_add_f32 v6, v6, v10 :: v_dual_add_f32 v7, v63, v7
	ds_bpermute_b32 v11, v9, v7
	ds_bpermute_b32 v9, v9, v5
	s_wait_dscnt 0x0
	v_add_f32_e32 v5, v5, v9
	ds_bpermute_b32 v9, v15, v6
	s_wait_dscnt 0x0
	v_dual_add_f32 v6, v6, v9 :: v_dual_add_f32 v7, v7, v11
	ds_bpermute_b32 v11, v15, v8
	ds_bpermute_b32 v10, v15, v7
	s_wait_dscnt 0x1
	v_add_f32_e32 v8, v8, v11
	ds_bpermute_b32 v14, v15, v5
	s_wait_alu 0xfffd
	v_cndmask_b32_e32 v15, v4, v25, vcc_lo
	v_cmp_lt_i32_e32 vcc_lo, v24, v31
	s_wait_alu 0xfffd
	s_delay_alu instid0(VALU_DEP_2)
	v_dual_cndmask_b32 v4, v4, v24 :: v_dual_lshlrev_b32 v15, 2, v15
	s_wait_alu 0xfffe
	s_and_b32 vcc_lo, exec_lo, s3
	ds_bpermute_b32 v11, v15, v8
	s_wait_dscnt 0x2
	v_dual_add_f32 v7, v7, v10 :: v_dual_lshlrev_b32 v4, 2, v4
	ds_bpermute_b32 v9, v15, v6
	s_wait_dscnt 0x1
	v_add_f32_e32 v8, v8, v11
	ds_bpermute_b32 v10, v15, v7
	s_wait_dscnt 0x1
	v_add_f32_e32 v6, v6, v9
	ds_bpermute_b32 v11, v4, v8
	v_add_f32_e32 v5, v5, v14
	ds_bpermute_b32 v14, v15, v5
	s_wait_dscnt 0x2
	v_add_f32_e32 v7, v7, v10
	ds_bpermute_b32 v10, v4, v7
	s_wait_dscnt 0x1
	v_add_f32_e32 v9, v5, v14
	ds_bpermute_b32 v5, v4, v6
	ds_bpermute_b32 v14, v4, v9
	s_wait_dscnt 0x1
	v_dual_add_f32 v4, v6, v5 :: v_dual_add_f32 v5, v7, v10
	s_wait_dscnt 0x0
	v_dual_add_f32 v6, v8, v11 :: v_dual_add_f32 v7, v9, v14
	s_wait_alu 0xfffe
	s_cbranch_vccz .LBB72_79
; %bb.77:
	v_add_nc_u32_e32 v8, s33, v29
	v_dual_max_num_f32 v14, v0, v0 :: v_dual_max_num_f32 v15, v1, v1
	s_delay_alu instid0(VALU_DEP_2) | instskip(NEXT) | instid1(VALU_DEP_1)
	v_ashrrev_i32_e32 v9, 31, v8
	v_lshlrev_b64_e32 v[8:9], 2, v[8:9]
	s_delay_alu instid0(VALU_DEP_1) | instskip(SKIP_1) | instid1(VALU_DEP_2)
	v_add_co_u32 v8, vcc_lo, s12, v8
	s_wait_alu 0xfffd
	v_add_co_ci_u32_e64 v9, null, s13, v9, vcc_lo
	global_load_b128 v[8:11], v[8:9], off
	v_max_num_f32_e32 v16, v2, v2
	s_wait_loadcnt 0x0
	v_dual_max_num_f32 v18, v3, v3 :: v_dual_max_num_f32 v19, v9, v9
	v_dual_max_num_f32 v17, v8, v8 :: v_dual_max_num_f32 v20, v10, v10
	v_max_num_f32_e32 v21, v11, v11
	s_delay_alu instid0(VALU_DEP_2) | instskip(NEXT) | instid1(VALU_DEP_2)
	v_dual_max_num_f32 v15, v15, v19 :: v_dual_max_num_f32 v14, v14, v17
	v_dual_max_num_f32 v16, v16, v20 :: v_dual_max_num_f32 v17, v18, v21
	s_delay_alu instid0(VALU_DEP_2) | instskip(SKIP_1) | instid1(VALU_DEP_3)
	v_dual_sub_f32 v19, v1, v15 :: v_dual_sub_f32 v18, v0, v14
	v_dual_sub_f32 v9, v9, v15 :: v_dual_sub_f32 v8, v8, v14
	;; [unrolled: 1-line block ×4, first 2 shown]
	v_dual_mov_b32 v0, v14 :: v_dual_mov_b32 v3, v17
	v_dual_mov_b32 v1, v15 :: v_dual_mov_b32 v2, v16
	v_dual_mul_f32 v15, 0x3fb8aa3b, v8 :: v_dual_mul_f32 v14, 0x3fb8aa3b, v18
	v_dual_mul_f32 v17, 0x3fb8aa3b, v9 :: v_dual_mul_f32 v16, 0x3fb8aa3b, v19
	v_mul_f32_e32 v23, 0x3fb8aa3b, v10
	s_delay_alu instid0(VALU_DEP_3) | instskip(NEXT) | instid1(VALU_DEP_4)
	v_fma_f32 v30, 0x3fb8aa3b, v8, -v15
	v_fma_f32 v26, 0x3fb8aa3b, v18, -v14
	v_rndne_f32_e32 v27, v14
	v_rndne_f32_e32 v31, v15
	;; [unrolled: 1-line block ×3, first 2 shown]
	v_mul_f32_e32 v24, 0x3fb8aa3b, v21
	v_rndne_f32_e32 v35, v17
	v_fma_f32 v38, 0x3fb8aa3b, v10, -v23
	v_fmac_f32_e32 v26, 0x32a5705f, v18
	v_dual_fmac_f32 v30, 0x32a5705f, v8 :: v_dual_sub_f32 v23, v23, v39
	v_sub_f32_e32 v15, v15, v31
	v_sub_f32_e32 v14, v14, v27
	v_fma_f32 v34, 0x3fb8aa3b, v9, -v17
	v_dual_sub_f32 v17, v17, v35 :: v_dual_mul_f32 v22, 0x3fb8aa3b, v20
	v_mul_f32_e32 v25, 0x3fb8aa3b, v11
	v_add_f32_e32 v15, v15, v30
	v_add_f32_e32 v14, v14, v26
	v_fma_f32 v32, 0x3fb8aa3b, v19, -v16
	v_rndne_f32_e32 v33, v16
	v_fmac_f32_e32 v38, 0x32a5705f, v10
	v_rndne_f32_e32 v43, v25
	v_exp_f32_e32 v14, v14
	v_cvt_i32_f32_e32 v27, v27
	v_sub_f32_e32 v16, v16, v33
	v_dual_fmac_f32 v34, 0x32a5705f, v9 :: v_dual_add_f32 v23, v23, v38
	v_fmac_f32_e32 v32, 0x32a5705f, v19
	v_exp_f32_e32 v15, v15
	v_fma_f32 v36, 0x3fb8aa3b, v20, -v22
	v_rndne_f32_e32 v37, v22
	v_fma_f32 v42, 0x3fb8aa3b, v11, -v25
	v_cvt_i32_f32_e32 v31, v31
	v_sub_f32_e32 v25, v25, v43
	v_dual_add_f32 v17, v17, v34 :: v_dual_add_f32 v16, v16, v32
	v_ldexp_f32 v14, v14, v27
	v_cmp_ngt_f32_e32 vcc_lo, 0xc2ce8ed0, v18
	v_fmac_f32_e32 v42, 0x32a5705f, v11
	v_fmac_f32_e32 v36, 0x32a5705f, v20
	v_exp_f32_e32 v16, v16
	v_ldexp_f32 v15, v15, v31
	s_wait_alu 0xfffd
	v_cndmask_b32_e32 v14, 0, v14, vcc_lo
	v_cmp_ngt_f32_e32 vcc_lo, 0xc2ce8ed0, v8
	v_sub_f32_e32 v22, v22, v37
	v_cvt_i32_f32_e32 v33, v33
	v_add_f32_e32 v25, v25, v42
	v_exp_f32_e32 v17, v17
	s_wait_alu 0xfffd
	v_dual_cndmask_b32 v15, 0, v15 :: v_dual_add_f32 v22, v22, v36
	v_cvt_i32_f32_e32 v35, v35
	v_ldexp_f32 v16, v16, v33
	v_cmp_ngt_f32_e32 vcc_lo, 0xc2ce8ed0, v19
	v_cvt_i32_f32_e32 v37, v37
	v_exp_f32_e32 v22, v22
	v_exp_f32_e32 v23, v23
	v_fma_f32 v40, 0x3fb8aa3b, v21, -v24
	v_ldexp_f32 v17, v17, v35
	s_wait_alu 0xfffd
	v_cndmask_b32_e32 v16, 0, v16, vcc_lo
	v_cmp_ngt_f32_e32 vcc_lo, 0xc2ce8ed0, v9
	v_rndne_f32_e32 v41, v24
	v_cvt_i32_f32_e32 v39, v39
	v_exp_f32_e32 v25, v25
	v_cvt_i32_f32_e32 v30, v43
	v_ldexp_f32 v22, v22, v37
	s_wait_alu 0xfffd
	v_cndmask_b32_e32 v17, 0, v17, vcc_lo
	v_cmp_ngt_f32_e32 vcc_lo, 0xc2ce8ed0, v20
	v_sub_f32_e32 v24, v24, v41
	v_ldexp_f32 v23, v23, v39
	v_cvt_i32_f32_e32 v26, v41
	s_wait_alu 0xfffd
	v_cndmask_b32_e32 v22, 0, v22, vcc_lo
	v_cmp_ngt_f32_e32 vcc_lo, 0xc2ce8ed0, v10
	v_fmac_f32_e32 v40, 0x32a5705f, v21
	v_ldexp_f32 v25, v25, v30
	s_wait_alu 0xfffd
	s_delay_alu instid0(VALU_DEP_2) | instskip(SKIP_1) | instid1(VALU_DEP_2)
	v_dual_cndmask_b32 v23, 0, v23 :: v_dual_add_f32 v24, v24, v40
	v_cmp_ngt_f32_e32 vcc_lo, 0xc2ce8ed0, v21
	v_exp_f32_e32 v24, v24
	s_delay_alu instid0(TRANS32_DEP_1) | instskip(SKIP_1) | instid1(VALU_DEP_1)
	v_ldexp_f32 v24, v24, v26
	s_wait_alu 0xfffd
	v_cndmask_b32_e32 v24, 0, v24, vcc_lo
	v_cmp_ngt_f32_e32 vcc_lo, 0xc2ce8ed0, v11
	s_wait_alu 0xfffd
	v_cndmask_b32_e32 v25, 0, v25, vcc_lo
	v_cmp_nlt_f32_e32 vcc_lo, 0x42b17218, v18
	s_wait_alu 0xfffd
	v_cndmask_b32_e32 v14, 0x7f800000, v14, vcc_lo
	v_cmp_nlt_f32_e32 vcc_lo, 0x42b17218, v8
	;; [unrolled: 3-line block ×3, first 2 shown]
	s_wait_alu 0xfffd
	s_delay_alu instid0(VALU_DEP_2)
	v_dual_fmac_f32 v8, v4, v14 :: v_dual_cndmask_b32 v15, 0x7f800000, v16
	v_cmp_nlt_f32_e32 vcc_lo, 0x42b17218, v9
	v_cvt_f16_f32_e32 v4, v14
	s_wait_alu 0xfffd
	v_cndmask_b32_e32 v9, 0x7f800000, v17, vcc_lo
	v_cmp_nlt_f32_e32 vcc_lo, 0x42b17218, v20
	s_delay_alu instid0(VALU_DEP_2) | instskip(SKIP_1) | instid1(VALU_DEP_1)
	v_fmac_f32_e32 v9, v5, v15
	v_cvt_f16_f32_e32 v5, v15
	v_and_b32_e32 v15, 0xffff, v5
	s_wait_alu 0xfffd
	s_delay_alu instid0(VALU_DEP_3) | instskip(SKIP_1) | instid1(VALU_DEP_3)
	v_dual_mov_b32 v5, v9 :: v_dual_cndmask_b32 v16, 0x7f800000, v22
	v_cmp_nlt_f32_e32 vcc_lo, 0x42b17218, v10
	v_mul_u32_u24_e32 v15, 0x10001, v15
	s_wait_alu 0xfffd
	v_cndmask_b32_e32 v10, 0x7f800000, v23, vcc_lo
	v_cmp_nlt_f32_e32 vcc_lo, 0x42b17218, v21
	s_delay_alu instid0(VALU_DEP_3) | instskip(SKIP_1) | instid1(VALU_DEP_4)
	v_pk_mul_f16 v49, v49, v15
	v_pk_mul_f16 v50, v50, v15
	v_fmac_f32_e32 v10, v6, v16
	s_wait_alu 0xfffd
	v_cndmask_b32_e32 v17, 0x7f800000, v24, vcc_lo
	v_cmp_nlt_f32_e32 vcc_lo, 0x42b17218, v11
	v_cvt_f16_f32_e32 v6, v16
	s_delay_alu instid0(VALU_DEP_3) | instskip(SKIP_2) | instid1(VALU_DEP_3)
	v_cvt_f16_f32_e32 v14, v17
	s_wait_alu 0xfffd
	v_cndmask_b32_e32 v11, 0x7f800000, v25, vcc_lo
	v_and_b32_e32 v16, 0xffff, v6
	v_mov_b32_e32 v6, v10
	s_delay_alu instid0(VALU_DEP_3) | instskip(SKIP_1) | instid1(VALU_DEP_4)
	v_dual_fmac_f32 v11, v7, v17 :: v_dual_and_b32 v14, 0xffff, v14
	v_and_b32_e32 v7, 0xffff, v4
	v_mul_u32_u24_e32 v16, 0x10001, v16
	v_mov_b32_e32 v4, v8
	s_delay_alu instid0(VALU_DEP_4) | instskip(NEXT) | instid1(VALU_DEP_4)
	v_mul_u32_u24_e32 v14, 0x10001, v14
	v_mul_u32_u24_e32 v7, 0x10001, v7
	s_delay_alu instid0(VALU_DEP_4) | instskip(SKIP_1) | instid1(VALU_DEP_4)
	v_pk_mul_f16 v47, v47, v16
	v_pk_mul_f16 v48, v48, v16
	;; [unrolled: 1-line block ×6, first 2 shown]
	v_mov_b32_e32 v7, v11
	s_mov_b32 s3, exec_lo
	v_cmpx_gt_i32_e64 s22, v12
	s_cbranch_execnz .LBB72_80
.LBB72_78:
	s_nop 0
	s_sendmsg sendmsg(MSG_DEALLOC_VGPRS)
	s_endpgm
.LBB72_79:
	s_delay_alu instid0(VALU_DEP_1)
	v_dual_mov_b32 v11, v7 :: v_dual_mov_b32 v10, v6
	v_dual_mov_b32 v9, v5 :: v_dual_mov_b32 v8, v4
	s_mov_b32 s3, exec_lo
	v_cmpx_gt_i32_e64 s22, v12
	s_cbranch_execz .LBB72_78
.LBB72_80:
	s_load_b32 s1, s[0:1], 0xd4
	v_mov_b32_e32 v16, 1.0
	s_wait_kmcnt 0x0
	s_cmp_lg_u32 s1, 1
	s_cselect_b32 s5, -1, 0
	s_cmp_eq_u32 s1, 1
	s_cselect_b32 s3, -1, 0
	s_wait_alu 0xfffe
	s_and_b32 vcc_lo, exec_lo, s5
	s_wait_alu 0xfffe
	s_cbranch_vccnz .LBB72_82
; %bb.81:
	v_div_scale_f32 v14, null, v4, v4, 1.0
	s_delay_alu instid0(VALU_DEP_1) | instskip(NEXT) | instid1(TRANS32_DEP_1)
	v_rcp_f32_e32 v15, v14
	v_fma_f32 v16, -v14, v15, 1.0
	s_delay_alu instid0(VALU_DEP_1) | instskip(SKIP_1) | instid1(VALU_DEP_1)
	v_fmac_f32_e32 v15, v16, v15
	v_div_scale_f32 v16, vcc_lo, 1.0, v4, 1.0
	v_mul_f32_e32 v17, v16, v15
	s_delay_alu instid0(VALU_DEP_1) | instskip(NEXT) | instid1(VALU_DEP_1)
	v_fma_f32 v18, -v14, v17, v16
	v_fmac_f32_e32 v17, v18, v15
	s_delay_alu instid0(VALU_DEP_1) | instskip(SKIP_1) | instid1(VALU_DEP_1)
	v_fma_f32 v14, -v14, v17, v16
	s_wait_alu 0xfffd
	v_div_fmas_f32 v14, v14, v15, v17
	s_delay_alu instid0(VALU_DEP_1)
	v_div_fixup_f32 v16, v14, v4, 1.0
.LBB72_82:
	v_mad_co_u64_u32 v[14:15], null, s2, s22, v[12:13]
	v_cmp_eq_u32_e32 vcc_lo, 0, v13
	v_cvt_f32_f16_e32 v18, v52
	v_cvt_f32_f16_e32 v17, v51
	s_delay_alu instid0(VALU_DEP_2) | instskip(SKIP_1) | instid1(VALU_DEP_3)
	v_mul_f32_e32 v19, v16, v18
	v_mul_lo_u32 v4, v14, s23
	v_mul_f32_e32 v17, v16, v17
	s_delay_alu instid0(VALU_DEP_2) | instskip(NEXT) | instid1(VALU_DEP_1)
	v_add3_u32 v4, s33, v29, v4
	v_mad_co_u64_u32 v[14:15], null, s1, v4, s[4:5]
	v_lshrrev_b32_e32 v4, 16, v51
	v_lshrrev_b32_e32 v15, 16, v52
	s_delay_alu instid0(VALU_DEP_2) | instskip(SKIP_2) | instid1(VALU_DEP_4)
	v_cvt_f32_f16_e32 v4, v4
	v_mov_b32_e32 v13, 0
	v_lshl_add_u32 v12, v14, 7, v28
	v_cvt_f32_f16_e32 v15, v15
	s_delay_alu instid0(VALU_DEP_4) | instskip(NEXT) | instid1(VALU_DEP_3)
	v_mul_f32_e32 v18, v16, v4
	v_lshlrev_b64_e32 v[12:13], 2, v[12:13]
	s_delay_alu instid0(VALU_DEP_3) | instskip(NEXT) | instid1(VALU_DEP_2)
	v_mul_f32_e32 v20, v16, v15
	v_add_co_u32 v12, s0, s16, v12
	s_wait_alu 0xf1ff
	s_delay_alu instid0(VALU_DEP_3)
	v_add_co_ci_u32_e64 v13, null, s17, v13, s0
	s_and_b32 s0, vcc_lo, s5
	global_store_b128 v[12:13], v[17:20], off
	s_wait_alu 0xfffe
	s_and_saveexec_b32 s2, s0
	s_cbranch_execz .LBB72_84
; %bb.83:
	v_ashrrev_i32_e32 v15, 31, v14
	v_mov_b32_e32 v16, v8
	s_delay_alu instid0(VALU_DEP_2) | instskip(SKIP_1) | instid1(VALU_DEP_2)
	v_lshlrev_b64_e32 v[12:13], 3, v[14:15]
	v_mov_b32_e32 v15, v0
	v_add_co_u32 v12, vcc_lo, s18, v12
	s_wait_alu 0xfffd
	s_delay_alu instid0(VALU_DEP_3)
	v_add_co_ci_u32_e64 v13, null, s19, v13, vcc_lo
	global_store_b64 v[12:13], v[15:16], off
.LBB72_84:
	s_wait_alu 0xfffe
	s_or_b32 exec_lo, exec_lo, s2
	v_cndmask_b32_e64 v12, 0, 1, s3
	v_mov_b32_e32 v0, 1.0
	s_and_not1_b32 vcc_lo, exec_lo, s3
	s_wait_alu 0xfffe
	s_cbranch_vccnz .LBB72_86
; %bb.85:
	v_div_scale_f32 v0, null, v5, v5, 1.0
	s_delay_alu instid0(VALU_DEP_1) | instskip(NEXT) | instid1(TRANS32_DEP_1)
	v_rcp_f32_e32 v4, v0
	v_fma_f32 v8, -v0, v4, 1.0
	s_delay_alu instid0(VALU_DEP_1) | instskip(SKIP_1) | instid1(VALU_DEP_1)
	v_fmac_f32_e32 v4, v8, v4
	v_div_scale_f32 v8, vcc_lo, 1.0, v5, 1.0
	v_mul_f32_e32 v13, v8, v4
	s_delay_alu instid0(VALU_DEP_1) | instskip(NEXT) | instid1(VALU_DEP_1)
	v_fma_f32 v15, -v0, v13, v8
	v_fmac_f32_e32 v13, v15, v4
	s_delay_alu instid0(VALU_DEP_1) | instskip(SKIP_1) | instid1(VALU_DEP_1)
	v_fma_f32 v0, -v0, v13, v8
	s_wait_alu 0xfffd
	v_div_fmas_f32 v0, v0, v4, v13
	s_delay_alu instid0(VALU_DEP_1)
	v_div_fixup_f32 v0, v0, v5, 1.0
.LBB72_86:
	v_cvt_f32_f16_e32 v15, v49
	v_add_nc_u32_e32 v4, s1, v14
	v_cvt_f32_f16_e32 v16, v50
	v_mov_b32_e32 v14, 0
	v_lshrrev_b32_e32 v5, 16, v49
	v_lshrrev_b32_e32 v8, 16, v50
	v_lshl_add_u32 v13, v4, 7, v28
	s_delay_alu instid0(VALU_DEP_3) | instskip(NEXT) | instid1(VALU_DEP_3)
	v_cvt_f32_f16_e32 v5, v5
	v_cvt_f32_f16_e32 v8, v8
	s_delay_alu instid0(VALU_DEP_3)
	v_lshlrev_b64_e32 v[17:18], 2, v[13:14]
	v_mul_f32_e32 v13, v0, v15
	v_mul_f32_e32 v15, v0, v16
	;; [unrolled: 1-line block ×4, first 2 shown]
	v_add_co_u32 v17, vcc_lo, s16, v17
	s_wait_alu 0xfffd
	v_add_co_ci_u32_e64 v18, null, s17, v18, vcc_lo
	global_store_b128 v[17:18], v[13:16], off
	s_and_saveexec_b32 s2, s0
	s_cbranch_execz .LBB72_88
; %bb.87:
	v_ashrrev_i32_e32 v5, 31, v4
	v_mov_b32_e32 v8, v1
	s_delay_alu instid0(VALU_DEP_2) | instskip(NEXT) | instid1(VALU_DEP_1)
	v_lshlrev_b64_e32 v[13:14], 3, v[4:5]
	v_add_co_u32 v13, vcc_lo, s18, v13
	s_wait_alu 0xfffd
	s_delay_alu instid0(VALU_DEP_2)
	v_add_co_ci_u32_e64 v14, null, s19, v14, vcc_lo
	global_store_b64 v[13:14], v[8:9], off
.LBB72_88:
	s_wait_alu 0xfffe
	s_or_b32 exec_lo, exec_lo, s2
	v_cmp_ne_u32_e32 vcc_lo, 1, v12
	v_mov_b32_e32 v1, 1.0
	s_cbranch_vccnz .LBB72_90
; %bb.89:
	v_div_scale_f32 v0, null, v6, v6, 1.0
	s_delay_alu instid0(VALU_DEP_1) | instskip(NEXT) | instid1(TRANS32_DEP_1)
	v_rcp_f32_e32 v1, v0
	v_fma_f32 v5, -v0, v1, 1.0
	s_delay_alu instid0(VALU_DEP_1) | instskip(SKIP_1) | instid1(VALU_DEP_1)
	v_fmac_f32_e32 v1, v5, v1
	v_div_scale_f32 v5, vcc_lo, 1.0, v6, 1.0
	v_mul_f32_e32 v8, v5, v1
	s_delay_alu instid0(VALU_DEP_1) | instskip(NEXT) | instid1(VALU_DEP_1)
	v_fma_f32 v9, -v0, v8, v5
	v_fmac_f32_e32 v8, v9, v1
	s_delay_alu instid0(VALU_DEP_1) | instskip(SKIP_1) | instid1(VALU_DEP_1)
	v_fma_f32 v0, -v0, v8, v5
	s_wait_alu 0xfffd
	v_div_fmas_f32 v0, v0, v1, v8
	s_delay_alu instid0(VALU_DEP_1)
	v_div_fixup_f32 v1, v0, v6, 1.0
.LBB72_90:
	v_dual_mov_b32 v5, 0 :: v_dual_add_nc_u32 v0, s1, v4
	v_lshrrev_b32_e32 v6, 16, v47
	v_lshrrev_b32_e32 v8, 16, v48
	v_cvt_f32_f16_e32 v9, v47
	s_delay_alu instid0(VALU_DEP_4)
	v_lshl_add_u32 v4, v0, 7, v28
	v_cvt_f32_f16_e32 v14, v48
	v_cvt_f32_f16_e32 v6, v6
	;; [unrolled: 1-line block ×3, first 2 shown]
	v_mul_f32_e32 v13, v1, v9
	v_lshlrev_b64_e32 v[4:5], 2, v[4:5]
	v_mul_f32_e32 v15, v1, v14
	v_mul_f32_e32 v14, v1, v6
	;; [unrolled: 1-line block ×3, first 2 shown]
	s_delay_alu instid0(VALU_DEP_4)
	v_add_co_u32 v4, vcc_lo, s16, v4
	s_wait_alu 0xfffd
	v_add_co_ci_u32_e64 v5, null, s17, v5, vcc_lo
	global_store_b128 v[4:5], v[13:16], off
	s_and_saveexec_b32 s2, s0
	s_cbranch_execz .LBB72_92
; %bb.91:
	v_ashrrev_i32_e32 v1, 31, v0
	v_mov_b32_e32 v9, v2
	s_delay_alu instid0(VALU_DEP_2) | instskip(NEXT) | instid1(VALU_DEP_1)
	v_lshlrev_b64_e32 v[4:5], 3, v[0:1]
	v_add_co_u32 v4, vcc_lo, s18, v4
	s_wait_alu 0xfffd
	s_delay_alu instid0(VALU_DEP_2)
	v_add_co_ci_u32_e64 v5, null, s19, v5, vcc_lo
	global_store_b64 v[4:5], v[9:10], off
.LBB72_92:
	s_wait_alu 0xfffe
	s_or_b32 exec_lo, exec_lo, s2
	v_cmp_ne_u32_e32 vcc_lo, 1, v12
	v_mov_b32_e32 v1, 1.0
	s_cbranch_vccnz .LBB72_94
; %bb.93:
	v_div_scale_f32 v1, null, v7, v7, 1.0
	s_delay_alu instid0(VALU_DEP_1) | instskip(NEXT) | instid1(TRANS32_DEP_1)
	v_rcp_f32_e32 v2, v1
	v_fma_f32 v4, -v1, v2, 1.0
	s_delay_alu instid0(VALU_DEP_1) | instskip(SKIP_1) | instid1(VALU_DEP_1)
	v_fmac_f32_e32 v2, v4, v2
	v_div_scale_f32 v4, vcc_lo, 1.0, v7, 1.0
	v_mul_f32_e32 v5, v4, v2
	s_delay_alu instid0(VALU_DEP_1) | instskip(NEXT) | instid1(VALU_DEP_1)
	v_fma_f32 v6, -v1, v5, v4
	v_fmac_f32_e32 v5, v6, v2
	s_delay_alu instid0(VALU_DEP_1) | instskip(SKIP_1) | instid1(VALU_DEP_1)
	v_fma_f32 v1, -v1, v5, v4
	s_wait_alu 0xfffd
	v_div_fmas_f32 v1, v1, v2, v5
	s_delay_alu instid0(VALU_DEP_1)
	v_div_fixup_f32 v1, v1, v7, 1.0
.LBB72_94:
	v_dual_mov_b32 v5, 0 :: v_dual_add_nc_u32 v0, s1, v0
	v_lshrrev_b32_e32 v2, 16, v46
	v_lshrrev_b32_e32 v6, 16, v45
	v_cvt_f32_f16_e32 v7, v46
	s_delay_alu instid0(VALU_DEP_4) | instskip(SKIP_3) | instid1(VALU_DEP_4)
	v_lshl_add_u32 v4, v0, 7, v28
	v_cvt_f32_f16_e32 v10, v45
	v_cvt_f32_f16_e32 v2, v2
	;; [unrolled: 1-line block ×3, first 2 shown]
	v_lshlrev_b64_e32 v[8:9], 2, v[4:5]
	v_mul_f32_e32 v4, v1, v7
	v_mul_f32_e32 v6, v1, v10
	;; [unrolled: 1-line block ×4, first 2 shown]
	v_add_co_u32 v1, vcc_lo, s16, v8
	s_wait_alu 0xfffd
	v_add_co_ci_u32_e64 v2, null, s17, v9, vcc_lo
	global_store_b128 v[1:2], v[4:7], off
	s_and_b32 exec_lo, exec_lo, s0
	s_cbranch_execz .LBB72_78
; %bb.95:
	v_ashrrev_i32_e32 v1, 31, v0
	v_mov_b32_e32 v10, v3
	s_delay_alu instid0(VALU_DEP_2) | instskip(NEXT) | instid1(VALU_DEP_1)
	v_lshlrev_b64_e32 v[0:1], 3, v[0:1]
	v_add_co_u32 v0, vcc_lo, s18, v0
	s_wait_alu 0xfffd
	s_delay_alu instid0(VALU_DEP_2)
	v_add_co_ci_u32_e64 v1, null, s19, v1, vcc_lo
	global_store_b64 v[0:1], v[10:11], off
	s_nop 0
	s_sendmsg sendmsg(MSG_DEALLOC_VGPRS)
	s_endpgm
	.section	.rodata,"a",@progbits
	.p2align	6, 0x0
	.amdhsa_kernel _ZL15flash_attn_tileILi128ELi128ELi4ELi8ELb1EEvPKcS1_S1_S1_S1_PKiPfP15HIP_vector_typeIfLj2EEffffjfiS5_IjLj3EEiiiiiiiiiiiliiliiiiil
		.amdhsa_group_segment_fixed_size 34816
		.amdhsa_private_segment_fixed_size 0
		.amdhsa_kernarg_size 464
		.amdhsa_user_sgpr_count 2
		.amdhsa_user_sgpr_dispatch_ptr 0
		.amdhsa_user_sgpr_queue_ptr 0
		.amdhsa_user_sgpr_kernarg_segment_ptr 1
		.amdhsa_user_sgpr_dispatch_id 0
		.amdhsa_user_sgpr_private_segment_size 0
		.amdhsa_wavefront_size32 1
		.amdhsa_uses_dynamic_stack 0
		.amdhsa_enable_private_segment 0
		.amdhsa_system_sgpr_workgroup_id_x 1
		.amdhsa_system_sgpr_workgroup_id_y 1
		.amdhsa_system_sgpr_workgroup_id_z 1
		.amdhsa_system_sgpr_workgroup_info 0
		.amdhsa_system_vgpr_workitem_id 1
		.amdhsa_next_free_vgpr 217
		.amdhsa_next_free_sgpr 46
		.amdhsa_reserve_vcc 1
		.amdhsa_float_round_mode_32 0
		.amdhsa_float_round_mode_16_64 0
		.amdhsa_float_denorm_mode_32 3
		.amdhsa_float_denorm_mode_16_64 3
		.amdhsa_fp16_overflow 0
		.amdhsa_workgroup_processor_mode 1
		.amdhsa_memory_ordered 1
		.amdhsa_forward_progress 1
		.amdhsa_inst_pref_size 254
		.amdhsa_round_robin_scheduling 0
		.amdhsa_exception_fp_ieee_invalid_op 0
		.amdhsa_exception_fp_denorm_src 0
		.amdhsa_exception_fp_ieee_div_zero 0
		.amdhsa_exception_fp_ieee_overflow 0
		.amdhsa_exception_fp_ieee_underflow 0
		.amdhsa_exception_fp_ieee_inexact 0
		.amdhsa_exception_int_div_zero 0
	.end_amdhsa_kernel
	.section	.text._ZL15flash_attn_tileILi128ELi128ELi4ELi8ELb1EEvPKcS1_S1_S1_S1_PKiPfP15HIP_vector_typeIfLj2EEffffjfiS5_IjLj3EEiiiiiiiiiiiliiliiiiil,"axG",@progbits,_ZL15flash_attn_tileILi128ELi128ELi4ELi8ELb1EEvPKcS1_S1_S1_S1_PKiPfP15HIP_vector_typeIfLj2EEffffjfiS5_IjLj3EEiiiiiiiiiiiliiliiiiil,comdat
.Lfunc_end72:
	.size	_ZL15flash_attn_tileILi128ELi128ELi4ELi8ELb1EEvPKcS1_S1_S1_S1_PKiPfP15HIP_vector_typeIfLj2EEffffjfiS5_IjLj3EEiiiiiiiiiiiliiliiiiil, .Lfunc_end72-_ZL15flash_attn_tileILi128ELi128ELi4ELi8ELb1EEvPKcS1_S1_S1_S1_PKiPfP15HIP_vector_typeIfLj2EEffffjfiS5_IjLj3EEiiiiiiiiiiiliiliiiiil
                                        ; -- End function
	.set _ZL15flash_attn_tileILi128ELi128ELi4ELi8ELb1EEvPKcS1_S1_S1_S1_PKiPfP15HIP_vector_typeIfLj2EEffffjfiS5_IjLj3EEiiiiiiiiiiiliiliiiiil.num_vgpr, 170
	.set _ZL15flash_attn_tileILi128ELi128ELi4ELi8ELb1EEvPKcS1_S1_S1_S1_PKiPfP15HIP_vector_typeIfLj2EEffffjfiS5_IjLj3EEiiiiiiiiiiiliiliiiiil.num_agpr, 0
	.set _ZL15flash_attn_tileILi128ELi128ELi4ELi8ELb1EEvPKcS1_S1_S1_S1_PKiPfP15HIP_vector_typeIfLj2EEffffjfiS5_IjLj3EEiiiiiiiiiiiliiliiiiil.numbered_sgpr, 46
	.set _ZL15flash_attn_tileILi128ELi128ELi4ELi8ELb1EEvPKcS1_S1_S1_S1_PKiPfP15HIP_vector_typeIfLj2EEffffjfiS5_IjLj3EEiiiiiiiiiiiliiliiiiil.num_named_barrier, 0
	.set _ZL15flash_attn_tileILi128ELi128ELi4ELi8ELb1EEvPKcS1_S1_S1_S1_PKiPfP15HIP_vector_typeIfLj2EEffffjfiS5_IjLj3EEiiiiiiiiiiiliiliiiiil.private_seg_size, 0
	.set _ZL15flash_attn_tileILi128ELi128ELi4ELi8ELb1EEvPKcS1_S1_S1_S1_PKiPfP15HIP_vector_typeIfLj2EEffffjfiS5_IjLj3EEiiiiiiiiiiiliiliiiiil.uses_vcc, 1
	.set _ZL15flash_attn_tileILi128ELi128ELi4ELi8ELb1EEvPKcS1_S1_S1_S1_PKiPfP15HIP_vector_typeIfLj2EEffffjfiS5_IjLj3EEiiiiiiiiiiiliiliiiiil.uses_flat_scratch, 0
	.set _ZL15flash_attn_tileILi128ELi128ELi4ELi8ELb1EEvPKcS1_S1_S1_S1_PKiPfP15HIP_vector_typeIfLj2EEffffjfiS5_IjLj3EEiiiiiiiiiiiliiliiiiil.has_dyn_sized_stack, 0
	.set _ZL15flash_attn_tileILi128ELi128ELi4ELi8ELb1EEvPKcS1_S1_S1_S1_PKiPfP15HIP_vector_typeIfLj2EEffffjfiS5_IjLj3EEiiiiiiiiiiiliiliiiiil.has_recursion, 0
	.set _ZL15flash_attn_tileILi128ELi128ELi4ELi8ELb1EEvPKcS1_S1_S1_S1_PKiPfP15HIP_vector_typeIfLj2EEffffjfiS5_IjLj3EEiiiiiiiiiiiliiliiiiil.has_indirect_call, 0
	.section	.AMDGPU.csdata,"",@progbits
; Kernel info:
; codeLenInByte = 32392
; TotalNumSgprs: 48
; NumVgprs: 170
; ScratchSize: 0
; MemoryBound: 0
; FloatMode: 240
; IeeeMode: 1
; LDSByteSize: 34816 bytes/workgroup (compile time only)
; SGPRBlocks: 0
; VGPRBlocks: 27
; NumSGPRsForWavesPerEU: 48
; NumVGPRsForWavesPerEU: 217
; Occupancy: 6
; WaveLimiterHint : 1
; COMPUTE_PGM_RSRC2:SCRATCH_EN: 0
; COMPUTE_PGM_RSRC2:USER_SGPR: 2
; COMPUTE_PGM_RSRC2:TRAP_HANDLER: 0
; COMPUTE_PGM_RSRC2:TGID_X_EN: 1
; COMPUTE_PGM_RSRC2:TGID_Y_EN: 1
; COMPUTE_PGM_RSRC2:TGID_Z_EN: 1
; COMPUTE_PGM_RSRC2:TIDIG_COMP_CNT: 1
	.section	.text._ZL15flash_attn_tileILi128ELi128ELi2ELi8ELb1EEvPKcS1_S1_S1_S1_PKiPfP15HIP_vector_typeIfLj2EEffffjfiS5_IjLj3EEiiiiiiiiiiiliiliiiiil,"axG",@progbits,_ZL15flash_attn_tileILi128ELi128ELi2ELi8ELb1EEvPKcS1_S1_S1_S1_PKiPfP15HIP_vector_typeIfLj2EEffffjfiS5_IjLj3EEiiiiiiiiiiiliiliiiiil,comdat
	.globl	_ZL15flash_attn_tileILi128ELi128ELi2ELi8ELb1EEvPKcS1_S1_S1_S1_PKiPfP15HIP_vector_typeIfLj2EEffffjfiS5_IjLj3EEiiiiiiiiiiiliiliiiiil ; -- Begin function _ZL15flash_attn_tileILi128ELi128ELi2ELi8ELb1EEvPKcS1_S1_S1_S1_PKiPfP15HIP_vector_typeIfLj2EEffffjfiS5_IjLj3EEiiiiiiiiiiiliiliiiiil
	.p2align	8
	.type	_ZL15flash_attn_tileILi128ELi128ELi2ELi8ELb1EEvPKcS1_S1_S1_S1_PKiPfP15HIP_vector_typeIfLj2EEffffjfiS5_IjLj3EEiiiiiiiiiiiliiliiiiil,@function
_ZL15flash_attn_tileILi128ELi128ELi2ELi8ELb1EEvPKcS1_S1_S1_S1_PKiPfP15HIP_vector_typeIfLj2EEffffjfiS5_IjLj3EEiiiiiiiiiiiliiliiiiil: ; @_ZL15flash_attn_tileILi128ELi128ELi2ELi8ELb1EEvPKcS1_S1_S1_S1_PKiPfP15HIP_vector_typeIfLj2EEffffjfiS5_IjLj3EEiiiiiiiiiiiliiliiiiil
; %bb.0:
	s_clause 0x1
	s_load_b128 s[20:23], s[0:1], 0x5c
	s_load_b64 s[28:29], s[0:1], 0x80
	s_lshr_b32 s5, ttmp7, 16
	s_load_b64 s[36:37], s[0:1], 0xb8
	s_mov_b32 s35, 0
	s_mov_b64 s[30:31], 0
	s_wait_kmcnt 0x0
	s_ashr_i32 s2, s23, 31
	s_delay_alu instid0(SALU_CYCLE_1) | instskip(NEXT) | instid1(SALU_CYCLE_1)
	s_lshr_b32 s2, s2, 29
	s_add_co_i32 s2, s23, s2
	s_delay_alu instid0(SALU_CYCLE_1) | instskip(NEXT) | instid1(SALU_CYCLE_1)
	s_ashr_i32 s2, s2, 3
	s_cvt_f32_u32 s3, s2
	s_sub_co_i32 s4, 0, s2
	s_delay_alu instid0(SALU_CYCLE_2) | instskip(NEXT) | instid1(TRANS32_DEP_1)
	v_rcp_iflag_f32_e32 v1, s3
	v_readfirstlane_b32 s3, v1
	s_mul_f32 s3, s3, 0x4f7ffffe
	s_wait_alu 0xfffe
	s_delay_alu instid0(SALU_CYCLE_2) | instskip(SKIP_1) | instid1(SALU_CYCLE_2)
	s_cvt_u32_f32 s3, s3
	s_wait_alu 0xfffe
	s_mul_i32 s4, s4, s3
	s_delay_alu instid0(SALU_CYCLE_1) | instskip(NEXT) | instid1(SALU_CYCLE_1)
	s_mul_hi_u32 s4, s3, s4
	s_add_co_i32 s3, s3, s4
	s_wait_alu 0xfffe
	s_mul_hi_u32 s3, s5, s3
	s_wait_alu 0xfffe
	s_mul_i32 s4, s3, s2
	s_add_co_i32 s6, s3, 1
	s_sub_co_i32 s4, s5, s4
	s_delay_alu instid0(SALU_CYCLE_1)
	s_sub_co_i32 s7, s4, s2
	s_cmp_ge_u32 s4, s2
	s_cselect_b32 s3, s6, s3
	s_cselect_b32 s4, s7, s4
	s_wait_alu 0xfffe
	s_add_co_i32 s6, s3, 1
	s_cmp_ge_u32 s4, s2
	s_cselect_b32 s2, s6, s3
	s_abs_i32 s3, s29
	s_abs_i32 s8, s23
	s_wait_alu 0xfffe
	s_cvt_f32_u32 s4, s3
	s_sub_co_i32 s6, 0, s3
	s_lshl_b32 s5, s5, 3
	s_mul_i32 s7, s2, s23
	v_rcp_iflag_f32_e32 v1, s4
	s_sub_co_i32 s33, s5, s7
	s_xor_b32 s5, s23, s29
	s_wait_alu 0xfffe
	s_ashr_i32 s24, s5, 31
	s_delay_alu instid0(TRANS32_DEP_1) | instskip(SKIP_2) | instid1(SALU_CYCLE_2)
	v_readfirstlane_b32 s4, v1
	s_mul_f32 s4, s4, 0x4f7ffffe
	s_wait_alu 0xfffe
	s_cvt_u32_f32 s4, s4
	s_wait_alu 0xfffe
	s_delay_alu instid0(SALU_CYCLE_2) | instskip(NEXT) | instid1(SALU_CYCLE_1)
	s_mul_i32 s6, s6, s4
	s_mul_hi_u32 s6, s4, s6
	s_delay_alu instid0(SALU_CYCLE_1) | instskip(SKIP_4) | instid1(SALU_CYCLE_1)
	s_add_co_i32 s4, s4, s6
	s_wait_alu 0xfffe
	s_mul_hi_u32 s4, s8, s4
	s_wait_alu 0xfffe
	s_mul_i32 s6, s4, s3
	s_sub_co_i32 s5, s8, s6
	s_add_co_i32 s6, s4, 1
	s_wait_alu 0xfffe
	s_sub_co_i32 s7, s5, s3
	s_cmp_ge_u32 s5, s3
	s_cselect_b32 s4, s6, s4
	s_cselect_b32 s5, s7, s5
	s_wait_alu 0xfffe
	s_add_co_i32 s6, s4, 1
	s_cmp_ge_u32 s5, s3
	s_cselect_b32 s3, s6, s4
	s_load_b512 s[4:19], s[0:1], 0x0
	s_xor_b32 s3, s3, s24
	s_wait_alu 0xfffe
	s_sub_co_i32 s38, s3, s24
	s_delay_alu instid0(SALU_CYCLE_1) | instskip(NEXT) | instid1(SALU_CYCLE_1)
	s_abs_i32 s29, s38
	s_cvt_f32_u32 s3, s29
	s_wait_alu 0xfffe
	s_delay_alu instid0(SALU_CYCLE_2) | instskip(SKIP_2) | instid1(TRANS32_DEP_1)
	v_rcp_iflag_f32_e32 v1, s3
	s_wait_kmcnt 0x0
	s_cmp_eq_u64 s[10:11], 0
	v_readfirstlane_b32 s27, v1
	s_cbranch_scc1 .LBB73_2
; %bb.1:
	s_abs_i32 s3, s36
	s_wait_alu 0xfffe
	s_cvt_f32_u32 s24, s3
	s_delay_alu instid0(SALU_CYCLE_3) | instskip(NEXT) | instid1(TRANS32_DEP_1)
	v_rcp_iflag_f32_e32 v1, s24
	v_readfirstlane_b32 s24, v1
	s_mul_f32 s24, s24, 0x4f7ffffe
	s_wait_alu 0xfffe
	s_delay_alu instid0(SALU_CYCLE_2) | instskip(SKIP_2) | instid1(SALU_CYCLE_1)
	s_cvt_u32_f32 s26, s24
	s_sub_co_i32 s24, 0, s3
	s_wait_alu 0xfffe
	s_mul_i32 s24, s24, s26
	s_wait_alu 0xfffe
	s_mul_hi_u32 s30, s26, s24
	s_load_b64 s[24:25], s[0:1], 0xc8
	s_add_co_i32 s26, s26, s30
	s_delay_alu instid0(SALU_CYCLE_1) | instskip(NEXT) | instid1(SALU_CYCLE_1)
	s_mul_hi_u32 s26, s2, s26
	s_mul_i32 s26, s26, s3
	s_delay_alu instid0(SALU_CYCLE_1) | instskip(NEXT) | instid1(SALU_CYCLE_1)
	s_sub_co_i32 s26, s2, s26
	s_sub_co_i32 s30, s26, s3
	s_cmp_ge_u32 s26, s3
	s_cselect_b32 s26, s30, s26
	s_delay_alu instid0(SALU_CYCLE_1) | instskip(SKIP_2) | instid1(SALU_CYCLE_1)
	s_sub_co_i32 s30, s26, s3
	s_cmp_ge_u32 s26, s3
	s_cselect_b32 s30, s30, s26
	s_ashr_i32 s31, s30, 31
	s_wait_kmcnt 0x0
	s_mul_u64 s[24:25], s[24:25], s[30:31]
	s_wait_alu 0xfffe
	s_add_nc_u64 s[30:31], s[10:11], s[24:25]
.LBB73_2:
	v_lshrrev_b32_e32 v1, 10, v0
	s_load_b96 s[24:26], s[0:1], 0x70
	v_bfe_u32 v13, v0, 10, 10
	s_delay_alu instid0(VALU_DEP_2) | instskip(NEXT) | instid1(VALU_DEP_2)
	v_bfe_u32 v1, v1, 2, 8
	v_lshlrev_b32_e32 v3, 1, v13
	s_delay_alu instid0(VALU_DEP_2) | instskip(NEXT) | instid1(VALU_DEP_2)
	v_lshl_add_u32 v1, ttmp9, 1, v1
	v_and_b32_e32 v37, 6, v3
	v_or_b32_e32 v14, 1, v3
	s_delay_alu instid0(VALU_DEP_3) | instskip(NEXT) | instid1(VALU_DEP_2)
	v_mul_hi_u32 v2, s20, v1
	v_and_b32_e32 v15, 7, v14
	s_wait_kmcnt 0x0
	s_mul_i32 s10, s33, s25
	s_mov_b32 s20, s25
	s_delay_alu instid0(VALU_DEP_2) | instskip(SKIP_1) | instid1(VALU_DEP_1)
	v_add_nc_u32_e32 v2, v1, v2
	s_ashr_i32 s11, s10, 31
	v_lshrrev_b32_e32 v2, s21, v2
	s_ashr_i32 s21, s25, 31
	s_ashr_i32 s25, s24, 31
	s_wait_alu 0xfffe
	s_lshr_b64 s[40:41], s[24:25], 2
	v_mul_lo_u32 v2, v2, s22
	s_lshr_b32 s3, s25, 2
	s_delay_alu instid0(VALU_DEP_1) | instskip(NEXT) | instid1(VALU_DEP_1)
	v_sub_nc_u32_e32 v2, v1, v2
	v_mad_co_u64_u32 v[4:5], null, s40, v2, 0
	s_lshr_b64 s[40:41], s[20:21], 2
	s_mul_i32 s20, s2, s26
	s_wait_alu 0xfffe
	v_mad_co_u64_u32 v[6:7], null, s40, v37, 0
	v_mad_co_u64_u32 v[8:9], null, s40, v15, 0
	v_and_b32_e32 v0, 0x3ff, v0
	s_delay_alu instid0(VALU_DEP_3) | instskip(NEXT) | instid1(VALU_DEP_4)
	v_mad_co_u64_u32 v[10:11], null, s3, v2, v[5:6]
	v_mov_b32_e32 v5, v7
	s_lshr_b32 s3, s21, 2
	s_delay_alu instid0(VALU_DEP_4)
	v_mov_b32_e32 v7, v9
	s_ashr_i32 s21, s20, 31
	v_lshlrev_b32_e32 v39, 3, v0
	s_wait_alu 0xfffe
	v_mad_co_u64_u32 v[11:12], null, s3, v37, v[5:6]
	v_mov_b32_e32 v5, v10
	v_mad_co_u64_u32 v[9:10], null, s3, v15, v[7:8]
	v_lshlrev_b32_e32 v10, 4, v0
	s_add_nc_u64 s[4:5], s[4:5], s[20:21]
	s_delay_alu instid0(VALU_DEP_3)
	v_lshlrev_b64_e32 v[4:5], 2, v[4:5]
	s_wait_alu 0xfffe
	s_add_nc_u64 s[4:5], s[4:5], s[10:11]
	v_mov_b32_e32 v7, v11
	s_load_b32 s3, s[0:1], 0x40
	s_cmp_eq_u64 s[14:15], 0
	v_add_co_u32 v11, vcc_lo, s4, v4
	s_delay_alu instid0(VALU_DEP_1) | instskip(SKIP_1) | instid1(VALU_DEP_3)
	v_add_co_ci_u32_e64 v12, null, s5, v5, vcc_lo
	v_lshlrev_b64_e32 v[4:5], 2, v[6:7]
	v_add_co_u32 v10, vcc_lo, v11, v10
	v_lshlrev_b64_e32 v[6:7], 2, v[8:9]
	s_wait_alu 0xfffd
	v_add_co_ci_u32_e64 v11, null, 0, v12, vcc_lo
	s_delay_alu instid0(VALU_DEP_3) | instskip(SKIP_1) | instid1(VALU_DEP_2)
	v_add_co_u32 v4, vcc_lo, v10, v4
	s_wait_alu 0xfffd
	v_add_co_ci_u32_e64 v5, null, v11, v5, vcc_lo
	v_add_co_u32 v9, vcc_lo, v10, v6
	s_wait_alu 0xfffd
	v_add_co_ci_u32_e64 v10, null, v11, v7, vcc_lo
	s_clause 0x1
	global_load_b128 v[5:8], v[4:5], off
	global_load_b128 v[9:12], v[9:10], off
	v_lshlrev_b32_e32 v4, 9, v13
	v_add_nc_u32_e32 v13, 0x9800, v39
	s_delay_alu instid0(VALU_DEP_1)
	v_add_nc_u32_e32 v15, v13, v4
	s_wait_loadcnt 0x1
	s_wait_kmcnt 0x0
	v_fma_mixlo_f16 v5, s3, v5, 0
	v_fma_mixlo_f16 v6, s3, v6, 0
	s_wait_loadcnt 0x0
	v_fma_mixlo_f16 v9, s3, v9, 0
	v_fma_mixlo_f16 v10, s3, v10, 0
	;; [unrolled: 1-line block ×4, first 2 shown]
	v_lshlrev_b32_e32 v6, 16, v6
	v_and_b32_e32 v5, 0xffff, v5
	v_fma_mixlo_f16 v11, s3, v11, 0
	v_fma_mixlo_f16 v12, s3, v12, 0
	v_lshlrev_b32_e32 v10, 16, v10
	v_and_b32_e32 v9, 0xffff, v9
	v_lshlrev_b32_e32 v8, 16, v8
	v_and_b32_e32 v7, 0xffff, v7
	v_or_b32_e32 v5, v6, v5
	v_lshlrev_b32_e32 v12, 16, v12
	v_and_b32_e32 v11, 0xffff, v11
	v_or_b32_e32 v9, v10, v9
	v_or3_b32 v6, v8, v7, 0
	v_or3_b32 v5, 0, 0, v5
	v_lshl_add_u32 v10, v14, 8, v13
	v_or3_b32 v8, v12, v11, 0
	v_or3_b32 v7, 0, 0, v9
	ds_store_b64 v15, v[5:6]
	ds_store_b64 v10, v[7:8]
	s_wait_dscnt 0x0
	s_barrier_signal -1
	s_barrier_wait -1
	global_inv scope:SCOPE_SE
	s_cbranch_scc1 .LBB73_4
; %bb.3:
	s_load_b32 s3, s[0:1], 0xd0
	s_mov_b32 s5, 0
	s_wait_kmcnt 0x0
	s_mul_i32 s3, s3, s2
	s_wait_alu 0xfffe
	s_add_co_i32 s4, s3, ttmp9
	s_wait_alu 0xfffe
	s_lshl_b64 s[4:5], s[4:5], 2
	s_wait_alu 0xfffe
	s_add_nc_u64 s[4:5], s[14:15], s[4:5]
	s_load_b32 s28, s[4:5], 0x0
.LBB73_4:
	s_and_b32 s4, ttmp7, 0xffff
	v_mbcnt_lo_u32_b32 v40, -1, 0
	s_wait_alu 0xfffe
	s_lshl_b32 s10, s4, 7
	s_wait_kmcnt 0x0
	s_cmp_lt_i32 s10, s28
	s_cbranch_scc1 .LBB73_7
; %bb.5:
	v_mbcnt_lo_u32_b32 v5, -1, 0
	v_mov_b32_e32 v41, 32
	s_delay_alu instid0(VALU_DEP_2)
	v_xor_b32_e32 v74, 16, v5
	v_xor_b32_e32 v70, 8, v5
	;; [unrolled: 1-line block ×5, first 2 shown]
	v_lshlrev_b32_e32 v38, 2, v0
	s_mov_b32 s3, 0
	s_cbranch_execz .LBB73_8
; %bb.6:
	v_dual_mov_b32 v65, 0 :: v_dual_mov_b32 v76, 0
	v_dual_mov_b32 v36, 0xfeffffff :: v_dual_mov_b32 v35, 0xfeffffff
	;; [unrolled: 1-line block ×4, first 2 shown]
	s_branch .LBB73_44
.LBB73_7:
                                        ; implicit-def: $vgpr5
                                        ; implicit-def: $vgpr41
                                        ; implicit-def: $vgpr74
                                        ; implicit-def: $vgpr70
                                        ; implicit-def: $vgpr71
                                        ; implicit-def: $vgpr72
                                        ; implicit-def: $vgpr73
	v_lshlrev_b32_e32 v38, 2, v0
	s_mov_b32 s3, 0
.LBB73_8:
	s_mul_f32 s5, s27, 0x4f7ffffe
	s_clause 0x1
	s_load_b128 s[24:27], s[0:1], 0x98
	s_load_b64 s[20:21], s[0:1], 0x8c
	s_sub_co_i32 s14, 0, s29
	s_abs_i32 s34, s33
	s_cvt_u32_f32 s11, s5
	s_load_b32 s5, s[0:1], 0x54
	s_mov_b32 s15, s35
	v_lshrrev_b32_e32 v5, 4, v0
	s_mul_i32 s14, s14, s11
	s_ashr_i32 s39, s33, 31
	s_mul_hi_u32 s14, s11, s14
	s_delay_alu instid0(VALU_DEP_1)
	v_dual_mov_b32 v64, 0 :: v_dual_add_nc_u32 v3, v5, v3
	s_add_co_i32 s14, s11, s14
	s_ashr_i32 s11, s38, 31
	s_ashr_i32 s38, s37, 1
	s_load_b64 s[36:37], s[0:1], 0xa8
	s_mul_u64 s[14:15], s[34:35], s[14:15]
	s_xor_b32 s11, s39, s11
	s_mul_i32 s35, s15, s29
	s_wait_kmcnt 0x0
	s_ashr_i32 s14, s26, 2
	s_sub_co_i32 s26, s34, s35
	s_add_co_i32 s39, s15, 1
	s_ashr_i32 s20, s20, 2
	s_sub_co_i32 s34, s26, s29
	s_cmp_ge_u32 s26, s29
	s_wait_alu 0xfffe
	v_mul_lo_u32 v5, s20, v3
	s_cselect_b32 s15, s39, s15
	s_cselect_b32 s26, s34, s26
	s_add_co_i32 s34, s15, 1
	s_cmp_ge_u32 s26, s29
	v_mul_lo_u32 v19, s14, v3
	s_cselect_b32 s15, s34, s15
	s_mul_u64 s[24:25], s[24:25], s[2:3]
	s_wait_alu 0xfffe
	s_xor_b32 s15, s15, s11
	v_mov_b32_e32 v68, 0xfeffffff
	s_wait_alu 0xfffe
	s_sub_co_i32 s11, s15, s11
	s_lshl_b32 s15, s20, 4
	s_mul_u64 s[34:35], s[36:37], s[2:3]
	s_lshl_b32 s3, s14, 4
	s_wait_alu 0xfffe
	v_add_nc_u32_e32 v7, s15, v5
	v_dual_mov_b32 v62, 0 :: v_dual_add_nc_u32 v21, s3, v19
	v_dual_mov_b32 v66, 0 :: v_dual_and_b32 v41, 60, v38
	s_delay_alu instid0(VALU_DEP_3) | instskip(NEXT) | instid1(VALU_DEP_3)
	v_add_nc_u32_e32 v9, s15, v7
	v_add_nc_u32_e32 v23, s3, v21
	s_delay_alu instid0(VALU_DEP_3) | instskip(SKIP_1) | instid1(VALU_DEP_4)
	v_dual_mov_b32 v63, 0 :: v_dual_lshlrev_b32 v20, 2, v41
	v_ashrrev_i32_e32 v6, 31, v5
	v_add_nc_u32_e32 v11, s15, v9
	s_delay_alu instid0(VALU_DEP_4)
	v_add_nc_u32_e32 v27, s3, v23
	v_ashrrev_i32_e32 v8, 31, v7
	v_mad_u32_u24 v42, 0x110, v3, v20
	v_ashrrev_i32_e32 v10, 31, v9
	v_add_nc_u32_e32 v13, s15, v11
	v_add_nc_u32_e32 v29, s3, v27
	v_ashrrev_i32_e32 v12, 31, v11
	v_lshl_or_b32 v52, v3, 8, v20
	v_ashrrev_i32_e32 v20, 31, v19
	v_add_nc_u32_e32 v15, s15, v13
	v_add_nc_u32_e32 v31, s3, v29
	v_ashrrev_i32_e32 v14, 31, v13
	v_ashrrev_i32_e32 v22, 31, v21
	v_ashrrev_i32_e32 v24, 31, v23
	v_add_nc_u32_e32 v17, s15, v15
	v_add_nc_u32_e32 v33, s3, v31
	v_ashrrev_i32_e32 v16, 31, v15
	v_ashrrev_i32_e32 v28, 31, v27
	;; [unrolled: 5-line block ×3, first 2 shown]
	v_ashrrev_i32_e32 v34, 31, v33
	v_ashrrev_i32_e32 v26, 31, v25
	;; [unrolled: 1-line block ×3, first 2 shown]
	v_mad_co_u64_u32 v[2:3], null, v2, s38, v[0:1]
	s_add_nc_u64 s[6:7], s[6:7], s[24:25]
	s_mul_i32 s24, s11, s21
	s_mul_i32 s26, s11, s27
	v_add_nc_u32_e32 v50, 0x9800, v4
	v_add_nc_u32_e32 v53, 0x8800, v4
	v_lshlrev_b64_e32 v[3:4], 2, v[5:6]
	v_lshlrev_b64_e32 v[5:6], 2, v[7:8]
	;; [unrolled: 1-line block ×16, first 2 shown]
	v_add_nc_u32_e32 v43, 0x1100, v42
	v_add_nc_u32_e32 v44, 0x2200, v42
	;; [unrolled: 1-line block ×3, first 2 shown]
	v_dual_mov_b32 v65, 0 :: v_dual_add_nc_u32 v46, 0x4400, v42
	v_add_nc_u32_e32 v47, 0x5500, v42
	v_dual_mov_b32 v67, 0 :: v_dual_add_nc_u32 v48, 0x6600, v42
	v_add_nc_u32_e32 v49, 0x7700, v42
	v_mul_u32_u24_e32 v51, 0x110, v0
	v_add_nc_u32_e32 v54, 0x1000, v52
	v_add_nc_u32_e32 v55, 0x2000, v52
	;; [unrolled: 1-line block ×7, first 2 shown]
	v_mov_b32_e32 v69, 0xfeffffff
	v_lshlrev_b32_e32 v61, 2, v41
	v_mov_b32_e32 v41, 32
	s_wait_alu 0xfffe
	s_ashr_i32 s25, s24, 31
	s_add_nc_u64 s[8:9], s[8:9], s[34:35]
	s_ashr_i32 s27, s26, 31
	s_wait_alu 0xfffe
	s_add_nc_u64 s[6:7], s[6:7], s[24:25]
	s_add_nc_u64 s[8:9], s[8:9], s[26:27]
	s_ashr_i32 s21, s20, 31
	s_ashr_i32 s15, s14, 31
	s_add_nc_u64 s[24:25], s[0:1], 0xd0
	s_mov_b32 s3, 0xbbbac73d
.LBB73_9:                               ; =>This Inner Loop Header: Depth=1
	s_ashr_i32 s11, s10, 31
	s_wait_alu 0xfffe
	s_mul_u64 s[26:27], s[10:11], s[20:21]
	s_wait_alu 0xfffe
	s_lshl_b64 s[26:27], s[26:27], 2
	s_wait_alu 0xfffe
	s_add_nc_u64 s[26:27], s[6:7], s[26:27]
	s_wait_alu 0xfffe
	v_add_co_u32 v35, vcc_lo, s26, v3
	s_wait_alu 0xfffd
	v_add_co_ci_u32_e64 v36, null, s27, v4, vcc_lo
	v_add_co_u32 v70, vcc_lo, s26, v5
	s_wait_alu 0xfffd
	v_add_co_ci_u32_e64 v71, null, s27, v6, vcc_lo
	;; [unrolled: 3-line block ×4, first 2 shown]
	s_clause 0x1
	global_load_b128 v[70:73], v[35:36], off
	global_load_b128 v[74:77], v[74:75], off
	v_add_co_u32 v35, vcc_lo, s26, v7
	s_wait_alu 0xfffd
	v_add_co_ci_u32_e64 v36, null, s27, v8, vcc_lo
	v_add_co_u32 v78, vcc_lo, s26, v9
	s_wait_alu 0xfffd
	v_add_co_ci_u32_e64 v79, null, s27, v10, vcc_lo
	;; [unrolled: 3-line block ×12, first 2 shown]
	s_clause 0x5
	global_load_b128 v[78:81], v[35:36], off
	global_load_b128 v[82:85], v[82:83], off
	;; [unrolled: 1-line block ×6, first 2 shown]
	s_wait_loadcnt 0x7
	ds_store_b128 v42, v[70:73]
	s_wait_loadcnt 0x6
	ds_store_b128 v43, v[74:77]
	;; [unrolled: 2-line block ×8, first 2 shown]
	s_wait_dscnt 0x0
	s_barrier_signal -1
	s_barrier_wait -1
	global_inv scope:SCOPE_SE
	ds_load_b128 v[79:82], v51
	ds_load_b128 v[83:86], v50
	ds_load_b128 v[87:90], v50 offset:256
	ds_load_b128 v[91:94], v51 offset:8704
	v_dual_mov_b32 v70, 0 :: v_dual_mov_b32 v75, 0
	ds_load_b128 v[95:98], v51 offset:17408
	ds_load_b128 v[99:102], v51 offset:26112
	s_wait_dscnt 0x4
	;;#ASMSTART
	v_dot2_f32_f16 v70, v79, v83, v70
	;;#ASMEND
	;;#ASMSTART
	v_dot2_f32_f16 v70, v80, v84, v70
	;;#ASMEND
	;; [unrolled: 3-line block ×4, first 2 shown]
	s_wait_dscnt 0x3
	;;#ASMSTART
	v_dot2_f32_f16 v75, v79, v87, v75
	;;#ASMEND
	;;#ASMSTART
	v_dot2_f32_f16 v75, v80, v88, v75
	;;#ASMEND
	v_dual_mov_b32 v71, 0 :: v_dual_mov_b32 v76, 0
	;;#ASMSTART
	v_dot2_f32_f16 v75, v81, v89, v75
	;;#ASMEND
	;;#ASMSTART
	v_dot2_f32_f16 v75, v82, v90, v75
	;;#ASMEND
	s_wait_dscnt 0x2
	;;#ASMSTART
	v_dot2_f32_f16 v71, v91, v83, v71
	;;#ASMEND
	;;#ASMSTART
	v_dot2_f32_f16 v71, v92, v84, v71
	;;#ASMEND
	;;#ASMSTART
	v_dot2_f32_f16 v71, v93, v85, v71
	;;#ASMEND
	;;#ASMSTART
	v_dot2_f32_f16 v71, v94, v86, v71
	;;#ASMEND
	;;#ASMSTART
	v_dot2_f32_f16 v76, v91, v87, v76
	;;#ASMEND
	;;#ASMSTART
	v_dot2_f32_f16 v76, v92, v88, v76
	;;#ASMEND
	v_dual_mov_b32 v72, 0 :: v_dual_mov_b32 v77, 0
	;;#ASMSTART
	v_dot2_f32_f16 v76, v93, v89, v76
	;;#ASMEND
	;;#ASMSTART
	v_dot2_f32_f16 v76, v94, v90, v76
	;;#ASMEND
	s_wait_dscnt 0x1
	;;#ASMSTART
	v_dot2_f32_f16 v72, v95, v83, v72
	;;#ASMEND
	;;#ASMSTART
	v_dot2_f32_f16 v72, v96, v84, v72
	;;#ASMEND
	;;#ASMSTART
	v_dot2_f32_f16 v72, v97, v85, v72
	;;#ASMEND
	;;#ASMSTART
	v_dot2_f32_f16 v72, v98, v86, v72
	;;#ASMEND
	;; [unrolled: 26-line block ×3, first 2 shown]
	;;#ASMSTART
	v_dot2_f32_f16 v78, v99, v87, v78
	;;#ASMEND
	;;#ASMSTART
	v_dot2_f32_f16 v78, v100, v88, v78
	;;#ASMEND
	;; [unrolled: 3-line block ×4, first 2 shown]
	ds_load_b128 v[79:82], v51 offset:16
	ds_load_b128 v[83:86], v50 offset:16
	;; [unrolled: 1-line block ×6, first 2 shown]
	s_wait_dscnt 0x4
	;;#ASMSTART
	v_dot2_f32_f16 v70, v79, v83, v70
	;;#ASMEND
	;;#ASMSTART
	v_dot2_f32_f16 v70, v80, v84, v70
	;;#ASMEND
	;;#ASMSTART
	v_dot2_f32_f16 v70, v81, v85, v70
	;;#ASMEND
	;;#ASMSTART
	v_dot2_f32_f16 v70, v82, v86, v70
	;;#ASMEND
	s_wait_dscnt 0x3
	;;#ASMSTART
	v_dot2_f32_f16 v75, v79, v87, v75
	;;#ASMEND
	;;#ASMSTART
	v_dot2_f32_f16 v75, v80, v88, v75
	;;#ASMEND
	;;#ASMSTART
	v_dot2_f32_f16 v75, v81, v89, v75
	;;#ASMEND
	;;#ASMSTART
	v_dot2_f32_f16 v75, v82, v90, v75
	;;#ASMEND
	;; [unrolled: 13-line block ×3, first 2 shown]
	;;#ASMSTART
	v_dot2_f32_f16 v76, v91, v87, v76
	;;#ASMEND
	;;#ASMSTART
	v_dot2_f32_f16 v76, v92, v88, v76
	;;#ASMEND
	;; [unrolled: 3-line block ×4, first 2 shown]
	s_wait_dscnt 0x1
	;;#ASMSTART
	v_dot2_f32_f16 v72, v95, v83, v72
	;;#ASMEND
	;;#ASMSTART
	v_dot2_f32_f16 v72, v96, v84, v72
	;;#ASMEND
	;; [unrolled: 3-line block ×8, first 2 shown]
	s_wait_dscnt 0x0
	;;#ASMSTART
	v_dot2_f32_f16 v73, v99, v83, v73
	;;#ASMEND
	;;#ASMSTART
	v_dot2_f32_f16 v73, v100, v84, v73
	;;#ASMEND
	;; [unrolled: 3-line block ×8, first 2 shown]
	ds_load_b128 v[79:82], v51 offset:32
	ds_load_b128 v[83:86], v50 offset:32
	;; [unrolled: 1-line block ×6, first 2 shown]
	s_wait_dscnt 0x4
	;;#ASMSTART
	v_dot2_f32_f16 v70, v79, v83, v70
	;;#ASMEND
	;;#ASMSTART
	v_dot2_f32_f16 v70, v80, v84, v70
	;;#ASMEND
	;;#ASMSTART
	v_dot2_f32_f16 v70, v81, v85, v70
	;;#ASMEND
	;;#ASMSTART
	v_dot2_f32_f16 v70, v82, v86, v70
	;;#ASMEND
	s_wait_dscnt 0x3
	;;#ASMSTART
	v_dot2_f32_f16 v75, v79, v87, v75
	;;#ASMEND
	;;#ASMSTART
	v_dot2_f32_f16 v75, v80, v88, v75
	;;#ASMEND
	;;#ASMSTART
	v_dot2_f32_f16 v75, v81, v89, v75
	;;#ASMEND
	;;#ASMSTART
	v_dot2_f32_f16 v75, v82, v90, v75
	;;#ASMEND
	;; [unrolled: 13-line block ×3, first 2 shown]
	;;#ASMSTART
	v_dot2_f32_f16 v76, v91, v87, v76
	;;#ASMEND
	;;#ASMSTART
	v_dot2_f32_f16 v76, v92, v88, v76
	;;#ASMEND
	;; [unrolled: 3-line block ×4, first 2 shown]
	s_wait_dscnt 0x1
	;;#ASMSTART
	v_dot2_f32_f16 v72, v95, v83, v72
	;;#ASMEND
	;;#ASMSTART
	v_dot2_f32_f16 v72, v96, v84, v72
	;;#ASMEND
	;; [unrolled: 3-line block ×8, first 2 shown]
	s_wait_dscnt 0x0
	;;#ASMSTART
	v_dot2_f32_f16 v73, v99, v83, v73
	;;#ASMEND
	;;#ASMSTART
	v_dot2_f32_f16 v73, v100, v84, v73
	;;#ASMEND
	;; [unrolled: 3-line block ×8, first 2 shown]
	ds_load_b128 v[79:82], v51 offset:48
	ds_load_b128 v[83:86], v50 offset:48
	;; [unrolled: 1-line block ×6, first 2 shown]
	s_wait_dscnt 0x4
	;;#ASMSTART
	v_dot2_f32_f16 v70, v79, v83, v70
	;;#ASMEND
	;;#ASMSTART
	v_dot2_f32_f16 v70, v80, v84, v70
	;;#ASMEND
	;;#ASMSTART
	v_dot2_f32_f16 v70, v81, v85, v70
	;;#ASMEND
	;;#ASMSTART
	v_dot2_f32_f16 v70, v82, v86, v70
	;;#ASMEND
	s_wait_dscnt 0x3
	;;#ASMSTART
	v_dot2_f32_f16 v75, v79, v87, v75
	;;#ASMEND
	;;#ASMSTART
	v_dot2_f32_f16 v75, v80, v88, v75
	;;#ASMEND
	;;#ASMSTART
	v_dot2_f32_f16 v75, v81, v89, v75
	;;#ASMEND
	;;#ASMSTART
	v_dot2_f32_f16 v75, v82, v90, v75
	;;#ASMEND
	;; [unrolled: 13-line block ×3, first 2 shown]
	;;#ASMSTART
	v_dot2_f32_f16 v76, v91, v87, v76
	;;#ASMEND
	;;#ASMSTART
	v_dot2_f32_f16 v76, v92, v88, v76
	;;#ASMEND
	;; [unrolled: 3-line block ×4, first 2 shown]
	s_wait_dscnt 0x1
	;;#ASMSTART
	v_dot2_f32_f16 v72, v95, v83, v72
	;;#ASMEND
	;;#ASMSTART
	v_dot2_f32_f16 v72, v96, v84, v72
	;;#ASMEND
	;; [unrolled: 3-line block ×8, first 2 shown]
	s_wait_dscnt 0x0
	;;#ASMSTART
	v_dot2_f32_f16 v73, v99, v83, v73
	;;#ASMEND
	;;#ASMSTART
	v_dot2_f32_f16 v73, v100, v84, v73
	;;#ASMEND
	;; [unrolled: 3-line block ×8, first 2 shown]
	ds_load_b128 v[79:82], v51 offset:64
	ds_load_b128 v[83:86], v50 offset:64
	;; [unrolled: 1-line block ×6, first 2 shown]
	s_wait_dscnt 0x4
	;;#ASMSTART
	v_dot2_f32_f16 v70, v79, v83, v70
	;;#ASMEND
	;;#ASMSTART
	v_dot2_f32_f16 v70, v80, v84, v70
	;;#ASMEND
	;;#ASMSTART
	v_dot2_f32_f16 v70, v81, v85, v70
	;;#ASMEND
	;;#ASMSTART
	v_dot2_f32_f16 v70, v82, v86, v70
	;;#ASMEND
	s_wait_dscnt 0x3
	;;#ASMSTART
	v_dot2_f32_f16 v75, v79, v87, v75
	;;#ASMEND
	;;#ASMSTART
	v_dot2_f32_f16 v75, v80, v88, v75
	;;#ASMEND
	;;#ASMSTART
	v_dot2_f32_f16 v75, v81, v89, v75
	;;#ASMEND
	;;#ASMSTART
	v_dot2_f32_f16 v75, v82, v90, v75
	;;#ASMEND
	;; [unrolled: 13-line block ×3, first 2 shown]
	;;#ASMSTART
	v_dot2_f32_f16 v76, v91, v87, v76
	;;#ASMEND
	;;#ASMSTART
	v_dot2_f32_f16 v76, v92, v88, v76
	;;#ASMEND
	;; [unrolled: 3-line block ×4, first 2 shown]
	s_wait_dscnt 0x1
	;;#ASMSTART
	v_dot2_f32_f16 v72, v95, v83, v72
	;;#ASMEND
	;;#ASMSTART
	v_dot2_f32_f16 v72, v96, v84, v72
	;;#ASMEND
	;;#ASMSTART
	v_dot2_f32_f16 v72, v97, v85, v72
	;;#ASMEND
	;;#ASMSTART
	v_dot2_f32_f16 v72, v98, v86, v72
	;;#ASMEND
	;;#ASMSTART
	v_dot2_f32_f16 v77, v95, v87, v77
	;;#ASMEND
	;;#ASMSTART
	v_dot2_f32_f16 v77, v96, v88, v77
	;;#ASMEND
	;;#ASMSTART
	v_dot2_f32_f16 v77, v97, v89, v77
	;;#ASMEND
	;;#ASMSTART
	v_dot2_f32_f16 v77, v98, v90, v77
	;;#ASMEND
	s_wait_dscnt 0x0
	;;#ASMSTART
	v_dot2_f32_f16 v73, v99, v83, v73
	;;#ASMEND
	;;#ASMSTART
	v_dot2_f32_f16 v73, v100, v84, v73
	;;#ASMEND
	;; [unrolled: 3-line block ×8, first 2 shown]
	ds_load_b128 v[79:82], v51 offset:80
	ds_load_b128 v[83:86], v50 offset:80
	;; [unrolled: 1-line block ×6, first 2 shown]
	s_wait_dscnt 0x4
	;;#ASMSTART
	v_dot2_f32_f16 v70, v79, v83, v70
	;;#ASMEND
	;;#ASMSTART
	v_dot2_f32_f16 v70, v80, v84, v70
	;;#ASMEND
	;;#ASMSTART
	v_dot2_f32_f16 v70, v81, v85, v70
	;;#ASMEND
	;;#ASMSTART
	v_dot2_f32_f16 v70, v82, v86, v70
	;;#ASMEND
	s_wait_dscnt 0x3
	;;#ASMSTART
	v_dot2_f32_f16 v75, v79, v87, v75
	;;#ASMEND
	;;#ASMSTART
	v_dot2_f32_f16 v75, v80, v88, v75
	;;#ASMEND
	;;#ASMSTART
	v_dot2_f32_f16 v75, v81, v89, v75
	;;#ASMEND
	;;#ASMSTART
	v_dot2_f32_f16 v75, v82, v90, v75
	;;#ASMEND
	;; [unrolled: 13-line block ×3, first 2 shown]
	;;#ASMSTART
	v_dot2_f32_f16 v76, v91, v87, v76
	;;#ASMEND
	;;#ASMSTART
	v_dot2_f32_f16 v76, v92, v88, v76
	;;#ASMEND
	;; [unrolled: 3-line block ×4, first 2 shown]
	s_wait_dscnt 0x1
	;;#ASMSTART
	v_dot2_f32_f16 v72, v95, v83, v72
	;;#ASMEND
	;;#ASMSTART
	v_dot2_f32_f16 v72, v96, v84, v72
	;;#ASMEND
	;; [unrolled: 3-line block ×8, first 2 shown]
	s_wait_dscnt 0x0
	;;#ASMSTART
	v_dot2_f32_f16 v73, v99, v83, v73
	;;#ASMEND
	;;#ASMSTART
	v_dot2_f32_f16 v73, v100, v84, v73
	;;#ASMEND
	;; [unrolled: 3-line block ×8, first 2 shown]
	ds_load_b128 v[79:82], v51 offset:96
	ds_load_b128 v[83:86], v50 offset:96
	;; [unrolled: 1-line block ×6, first 2 shown]
	s_wait_dscnt 0x4
	;;#ASMSTART
	v_dot2_f32_f16 v70, v79, v83, v70
	;;#ASMEND
	;;#ASMSTART
	v_dot2_f32_f16 v70, v80, v84, v70
	;;#ASMEND
	;;#ASMSTART
	v_dot2_f32_f16 v70, v81, v85, v70
	;;#ASMEND
	;;#ASMSTART
	v_dot2_f32_f16 v70, v82, v86, v70
	;;#ASMEND
	s_wait_dscnt 0x3
	;;#ASMSTART
	v_dot2_f32_f16 v75, v79, v87, v75
	;;#ASMEND
	;;#ASMSTART
	v_dot2_f32_f16 v75, v80, v88, v75
	;;#ASMEND
	;;#ASMSTART
	v_dot2_f32_f16 v75, v81, v89, v75
	;;#ASMEND
	;;#ASMSTART
	v_dot2_f32_f16 v75, v82, v90, v75
	;;#ASMEND
	;; [unrolled: 13-line block ×3, first 2 shown]
	;;#ASMSTART
	v_dot2_f32_f16 v76, v91, v87, v76
	;;#ASMEND
	;;#ASMSTART
	v_dot2_f32_f16 v76, v92, v88, v76
	;;#ASMEND
	;; [unrolled: 3-line block ×4, first 2 shown]
	s_wait_dscnt 0x1
	;;#ASMSTART
	v_dot2_f32_f16 v72, v95, v83, v72
	;;#ASMEND
	;;#ASMSTART
	v_dot2_f32_f16 v72, v96, v84, v72
	;;#ASMEND
	;; [unrolled: 3-line block ×8, first 2 shown]
	s_wait_dscnt 0x0
	;;#ASMSTART
	v_dot2_f32_f16 v73, v99, v83, v73
	;;#ASMEND
	;;#ASMSTART
	v_dot2_f32_f16 v73, v100, v84, v73
	;;#ASMEND
	;; [unrolled: 3-line block ×8, first 2 shown]
	ds_load_b128 v[79:82], v51 offset:112
	ds_load_b128 v[83:86], v50 offset:112
	;; [unrolled: 1-line block ×6, first 2 shown]
	s_wait_dscnt 0x4
	;;#ASMSTART
	v_dot2_f32_f16 v70, v79, v83, v70
	;;#ASMEND
	;;#ASMSTART
	v_dot2_f32_f16 v70, v80, v84, v70
	;;#ASMEND
	;;#ASMSTART
	v_dot2_f32_f16 v70, v81, v85, v70
	;;#ASMEND
	;;#ASMSTART
	v_dot2_f32_f16 v70, v82, v86, v70
	;;#ASMEND
	s_wait_dscnt 0x3
	;;#ASMSTART
	v_dot2_f32_f16 v75, v79, v87, v75
	;;#ASMEND
	;;#ASMSTART
	v_dot2_f32_f16 v75, v80, v88, v75
	;;#ASMEND
	;;#ASMSTART
	v_dot2_f32_f16 v75, v81, v89, v75
	;;#ASMEND
	;;#ASMSTART
	v_dot2_f32_f16 v75, v82, v90, v75
	;;#ASMEND
	;; [unrolled: 13-line block ×3, first 2 shown]
	;;#ASMSTART
	v_dot2_f32_f16 v76, v91, v87, v76
	;;#ASMEND
	;;#ASMSTART
	v_dot2_f32_f16 v76, v92, v88, v76
	;;#ASMEND
	;; [unrolled: 3-line block ×4, first 2 shown]
	s_wait_dscnt 0x1
	;;#ASMSTART
	v_dot2_f32_f16 v72, v95, v83, v72
	;;#ASMEND
	;;#ASMSTART
	v_dot2_f32_f16 v72, v96, v84, v72
	;;#ASMEND
	;; [unrolled: 3-line block ×8, first 2 shown]
	s_wait_dscnt 0x0
	;;#ASMSTART
	v_dot2_f32_f16 v73, v99, v83, v73
	;;#ASMEND
	;;#ASMSTART
	v_dot2_f32_f16 v73, v100, v84, v73
	;;#ASMEND
	;; [unrolled: 3-line block ×8, first 2 shown]
	ds_load_b128 v[79:82], v51 offset:128
	ds_load_b128 v[83:86], v50 offset:128
	;; [unrolled: 1-line block ×6, first 2 shown]
	s_wait_dscnt 0x4
	;;#ASMSTART
	v_dot2_f32_f16 v70, v79, v83, v70
	;;#ASMEND
	;;#ASMSTART
	v_dot2_f32_f16 v70, v80, v84, v70
	;;#ASMEND
	;;#ASMSTART
	v_dot2_f32_f16 v70, v81, v85, v70
	;;#ASMEND
	;;#ASMSTART
	v_dot2_f32_f16 v70, v82, v86, v70
	;;#ASMEND
	s_wait_dscnt 0x3
	;;#ASMSTART
	v_dot2_f32_f16 v75, v79, v87, v75
	;;#ASMEND
	;;#ASMSTART
	v_dot2_f32_f16 v75, v80, v88, v75
	;;#ASMEND
	;;#ASMSTART
	v_dot2_f32_f16 v75, v81, v89, v75
	;;#ASMEND
	;;#ASMSTART
	v_dot2_f32_f16 v75, v82, v90, v75
	;;#ASMEND
	;; [unrolled: 13-line block ×3, first 2 shown]
	;;#ASMSTART
	v_dot2_f32_f16 v76, v91, v87, v76
	;;#ASMEND
	;;#ASMSTART
	v_dot2_f32_f16 v76, v92, v88, v76
	;;#ASMEND
	;; [unrolled: 3-line block ×4, first 2 shown]
	s_wait_dscnt 0x1
	;;#ASMSTART
	v_dot2_f32_f16 v72, v95, v83, v72
	;;#ASMEND
	;;#ASMSTART
	v_dot2_f32_f16 v72, v96, v84, v72
	;;#ASMEND
	;; [unrolled: 3-line block ×8, first 2 shown]
	s_wait_dscnt 0x0
	;;#ASMSTART
	v_dot2_f32_f16 v73, v99, v83, v73
	;;#ASMEND
	;;#ASMSTART
	v_dot2_f32_f16 v73, v100, v84, v73
	;;#ASMEND
	;; [unrolled: 3-line block ×8, first 2 shown]
	ds_load_b128 v[79:82], v51 offset:144
	ds_load_b128 v[83:86], v50 offset:144
	;; [unrolled: 1-line block ×6, first 2 shown]
	s_wait_dscnt 0x4
	;;#ASMSTART
	v_dot2_f32_f16 v70, v79, v83, v70
	;;#ASMEND
	;;#ASMSTART
	v_dot2_f32_f16 v70, v80, v84, v70
	;;#ASMEND
	;;#ASMSTART
	v_dot2_f32_f16 v70, v81, v85, v70
	;;#ASMEND
	;;#ASMSTART
	v_dot2_f32_f16 v70, v82, v86, v70
	;;#ASMEND
	s_wait_dscnt 0x3
	;;#ASMSTART
	v_dot2_f32_f16 v75, v79, v87, v75
	;;#ASMEND
	;;#ASMSTART
	v_dot2_f32_f16 v75, v80, v88, v75
	;;#ASMEND
	;;#ASMSTART
	v_dot2_f32_f16 v75, v81, v89, v75
	;;#ASMEND
	;;#ASMSTART
	v_dot2_f32_f16 v75, v82, v90, v75
	;;#ASMEND
	;; [unrolled: 13-line block ×3, first 2 shown]
	;;#ASMSTART
	v_dot2_f32_f16 v76, v91, v87, v76
	;;#ASMEND
	;;#ASMSTART
	v_dot2_f32_f16 v76, v92, v88, v76
	;;#ASMEND
	;;#ASMSTART
	v_dot2_f32_f16 v76, v93, v89, v76
	;;#ASMEND
	;;#ASMSTART
	v_dot2_f32_f16 v76, v94, v90, v76
	;;#ASMEND
	s_wait_dscnt 0x1
	;;#ASMSTART
	v_dot2_f32_f16 v72, v95, v83, v72
	;;#ASMEND
	;;#ASMSTART
	v_dot2_f32_f16 v72, v96, v84, v72
	;;#ASMEND
	;; [unrolled: 3-line block ×8, first 2 shown]
	s_wait_dscnt 0x0
	;;#ASMSTART
	v_dot2_f32_f16 v73, v99, v83, v73
	;;#ASMEND
	;;#ASMSTART
	v_dot2_f32_f16 v73, v100, v84, v73
	;;#ASMEND
	;; [unrolled: 3-line block ×8, first 2 shown]
	ds_load_b128 v[79:82], v51 offset:160
	ds_load_b128 v[83:86], v50 offset:160
	;; [unrolled: 1-line block ×6, first 2 shown]
	s_wait_dscnt 0x4
	;;#ASMSTART
	v_dot2_f32_f16 v70, v79, v83, v70
	;;#ASMEND
	;;#ASMSTART
	v_dot2_f32_f16 v70, v80, v84, v70
	;;#ASMEND
	;;#ASMSTART
	v_dot2_f32_f16 v70, v81, v85, v70
	;;#ASMEND
	;;#ASMSTART
	v_dot2_f32_f16 v70, v82, v86, v70
	;;#ASMEND
	s_wait_dscnt 0x3
	;;#ASMSTART
	v_dot2_f32_f16 v75, v79, v87, v75
	;;#ASMEND
	;;#ASMSTART
	v_dot2_f32_f16 v75, v80, v88, v75
	;;#ASMEND
	;;#ASMSTART
	v_dot2_f32_f16 v75, v81, v89, v75
	;;#ASMEND
	;;#ASMSTART
	v_dot2_f32_f16 v75, v82, v90, v75
	;;#ASMEND
	s_wait_dscnt 0x2
	;;#ASMSTART
	v_dot2_f32_f16 v71, v91, v83, v71
	;;#ASMEND
	;;#ASMSTART
	v_dot2_f32_f16 v71, v92, v84, v71
	;;#ASMEND
	;;#ASMSTART
	v_dot2_f32_f16 v71, v93, v85, v71
	;;#ASMEND
	;;#ASMSTART
	v_dot2_f32_f16 v71, v94, v86, v71
	;;#ASMEND
	;;#ASMSTART
	v_dot2_f32_f16 v76, v91, v87, v76
	;;#ASMEND
	;;#ASMSTART
	v_dot2_f32_f16 v76, v92, v88, v76
	;;#ASMEND
	;; [unrolled: 3-line block ×4, first 2 shown]
	s_wait_dscnt 0x1
	;;#ASMSTART
	v_dot2_f32_f16 v72, v95, v83, v72
	;;#ASMEND
	;;#ASMSTART
	v_dot2_f32_f16 v72, v96, v84, v72
	;;#ASMEND
	;; [unrolled: 3-line block ×8, first 2 shown]
	s_wait_dscnt 0x0
	;;#ASMSTART
	v_dot2_f32_f16 v73, v99, v83, v73
	;;#ASMEND
	;;#ASMSTART
	v_dot2_f32_f16 v73, v100, v84, v73
	;;#ASMEND
	;; [unrolled: 3-line block ×8, first 2 shown]
	ds_load_b128 v[79:82], v51 offset:176
	ds_load_b128 v[83:86], v50 offset:176
	;; [unrolled: 1-line block ×6, first 2 shown]
	s_wait_dscnt 0x4
	;;#ASMSTART
	v_dot2_f32_f16 v70, v79, v83, v70
	;;#ASMEND
	;;#ASMSTART
	v_dot2_f32_f16 v70, v80, v84, v70
	;;#ASMEND
	;;#ASMSTART
	v_dot2_f32_f16 v70, v81, v85, v70
	;;#ASMEND
	;;#ASMSTART
	v_dot2_f32_f16 v70, v82, v86, v70
	;;#ASMEND
	s_wait_dscnt 0x3
	;;#ASMSTART
	v_dot2_f32_f16 v75, v79, v87, v75
	;;#ASMEND
	;;#ASMSTART
	v_dot2_f32_f16 v75, v80, v88, v75
	;;#ASMEND
	;;#ASMSTART
	v_dot2_f32_f16 v75, v81, v89, v75
	;;#ASMEND
	;;#ASMSTART
	v_dot2_f32_f16 v75, v82, v90, v75
	;;#ASMEND
	;; [unrolled: 13-line block ×3, first 2 shown]
	;;#ASMSTART
	v_dot2_f32_f16 v76, v91, v87, v76
	;;#ASMEND
	;;#ASMSTART
	v_dot2_f32_f16 v76, v92, v88, v76
	;;#ASMEND
	;; [unrolled: 3-line block ×4, first 2 shown]
	s_wait_dscnt 0x1
	;;#ASMSTART
	v_dot2_f32_f16 v72, v95, v83, v72
	;;#ASMEND
	;;#ASMSTART
	v_dot2_f32_f16 v72, v96, v84, v72
	;;#ASMEND
	;; [unrolled: 3-line block ×8, first 2 shown]
	s_wait_dscnt 0x0
	;;#ASMSTART
	v_dot2_f32_f16 v73, v99, v83, v73
	;;#ASMEND
	;;#ASMSTART
	v_dot2_f32_f16 v73, v100, v84, v73
	;;#ASMEND
	;; [unrolled: 3-line block ×8, first 2 shown]
	ds_load_b128 v[79:82], v51 offset:192
	ds_load_b128 v[83:86], v50 offset:192
	;; [unrolled: 1-line block ×6, first 2 shown]
	s_wait_dscnt 0x4
	;;#ASMSTART
	v_dot2_f32_f16 v70, v79, v83, v70
	;;#ASMEND
	;;#ASMSTART
	v_dot2_f32_f16 v70, v80, v84, v70
	;;#ASMEND
	;;#ASMSTART
	v_dot2_f32_f16 v70, v81, v85, v70
	;;#ASMEND
	;;#ASMSTART
	v_dot2_f32_f16 v70, v82, v86, v70
	;;#ASMEND
	s_wait_dscnt 0x3
	;;#ASMSTART
	v_dot2_f32_f16 v75, v79, v87, v75
	;;#ASMEND
	;;#ASMSTART
	v_dot2_f32_f16 v75, v80, v88, v75
	;;#ASMEND
	;;#ASMSTART
	v_dot2_f32_f16 v75, v81, v89, v75
	;;#ASMEND
	;;#ASMSTART
	v_dot2_f32_f16 v75, v82, v90, v75
	;;#ASMEND
	;; [unrolled: 13-line block ×3, first 2 shown]
	;;#ASMSTART
	v_dot2_f32_f16 v76, v91, v87, v76
	;;#ASMEND
	;;#ASMSTART
	v_dot2_f32_f16 v76, v92, v88, v76
	;;#ASMEND
	;; [unrolled: 3-line block ×4, first 2 shown]
	s_wait_dscnt 0x1
	;;#ASMSTART
	v_dot2_f32_f16 v72, v95, v83, v72
	;;#ASMEND
	;;#ASMSTART
	v_dot2_f32_f16 v72, v96, v84, v72
	;;#ASMEND
	;; [unrolled: 3-line block ×8, first 2 shown]
	s_wait_dscnt 0x0
	;;#ASMSTART
	v_dot2_f32_f16 v73, v99, v83, v73
	;;#ASMEND
	;;#ASMSTART
	v_dot2_f32_f16 v73, v100, v84, v73
	;;#ASMEND
	;; [unrolled: 3-line block ×8, first 2 shown]
	ds_load_b128 v[79:82], v51 offset:208
	ds_load_b128 v[83:86], v50 offset:208
	;; [unrolled: 1-line block ×6, first 2 shown]
	s_wait_dscnt 0x4
	;;#ASMSTART
	v_dot2_f32_f16 v70, v79, v83, v70
	;;#ASMEND
	;;#ASMSTART
	v_dot2_f32_f16 v70, v80, v84, v70
	;;#ASMEND
	;;#ASMSTART
	v_dot2_f32_f16 v70, v81, v85, v70
	;;#ASMEND
	;;#ASMSTART
	v_dot2_f32_f16 v70, v82, v86, v70
	;;#ASMEND
	s_wait_dscnt 0x3
	;;#ASMSTART
	v_dot2_f32_f16 v75, v79, v87, v75
	;;#ASMEND
	;;#ASMSTART
	v_dot2_f32_f16 v75, v80, v88, v75
	;;#ASMEND
	;;#ASMSTART
	v_dot2_f32_f16 v75, v81, v89, v75
	;;#ASMEND
	;;#ASMSTART
	v_dot2_f32_f16 v75, v82, v90, v75
	;;#ASMEND
	;; [unrolled: 13-line block ×3, first 2 shown]
	;;#ASMSTART
	v_dot2_f32_f16 v76, v91, v87, v76
	;;#ASMEND
	;;#ASMSTART
	v_dot2_f32_f16 v76, v92, v88, v76
	;;#ASMEND
	;; [unrolled: 3-line block ×4, first 2 shown]
	s_wait_dscnt 0x1
	;;#ASMSTART
	v_dot2_f32_f16 v72, v95, v83, v72
	;;#ASMEND
	;;#ASMSTART
	v_dot2_f32_f16 v72, v96, v84, v72
	;;#ASMEND
	;; [unrolled: 3-line block ×8, first 2 shown]
	s_wait_dscnt 0x0
	;;#ASMSTART
	v_dot2_f32_f16 v73, v99, v83, v73
	;;#ASMEND
	;;#ASMSTART
	v_dot2_f32_f16 v73, v100, v84, v73
	;;#ASMEND
	;; [unrolled: 3-line block ×8, first 2 shown]
	ds_load_b128 v[79:82], v51 offset:224
	ds_load_b128 v[83:86], v50 offset:224
	;; [unrolled: 1-line block ×6, first 2 shown]
	s_wait_dscnt 0x4
	;;#ASMSTART
	v_dot2_f32_f16 v70, v79, v83, v70
	;;#ASMEND
	;;#ASMSTART
	v_dot2_f32_f16 v70, v80, v84, v70
	;;#ASMEND
	;;#ASMSTART
	v_dot2_f32_f16 v70, v81, v85, v70
	;;#ASMEND
	;;#ASMSTART
	v_dot2_f32_f16 v70, v82, v86, v70
	;;#ASMEND
	s_wait_dscnt 0x3
	;;#ASMSTART
	v_dot2_f32_f16 v75, v79, v87, v75
	;;#ASMEND
	;;#ASMSTART
	v_dot2_f32_f16 v75, v80, v88, v75
	;;#ASMEND
	;;#ASMSTART
	v_dot2_f32_f16 v75, v81, v89, v75
	;;#ASMEND
	;;#ASMSTART
	v_dot2_f32_f16 v75, v82, v90, v75
	;;#ASMEND
	;; [unrolled: 13-line block ×3, first 2 shown]
	;;#ASMSTART
	v_dot2_f32_f16 v76, v91, v87, v76
	;;#ASMEND
	;;#ASMSTART
	v_dot2_f32_f16 v76, v92, v88, v76
	;;#ASMEND
	;; [unrolled: 3-line block ×4, first 2 shown]
	s_wait_dscnt 0x1
	;;#ASMSTART
	v_dot2_f32_f16 v72, v95, v83, v72
	;;#ASMEND
	;;#ASMSTART
	v_dot2_f32_f16 v72, v96, v84, v72
	;;#ASMEND
	;; [unrolled: 3-line block ×8, first 2 shown]
	s_wait_dscnt 0x0
	;;#ASMSTART
	v_dot2_f32_f16 v73, v99, v83, v73
	;;#ASMEND
	;;#ASMSTART
	v_dot2_f32_f16 v73, v100, v84, v73
	;;#ASMEND
	;; [unrolled: 3-line block ×8, first 2 shown]
	ds_load_b128 v[79:82], v51 offset:240
	ds_load_b128 v[83:86], v50 offset:240
	;; [unrolled: 1-line block ×6, first 2 shown]
	s_wait_dscnt 0x4
	;;#ASMSTART
	v_dot2_f32_f16 v70, v79, v83, v70
	;;#ASMEND
	;;#ASMSTART
	v_dot2_f32_f16 v70, v80, v84, v70
	;;#ASMEND
	;;#ASMSTART
	v_dot2_f32_f16 v70, v81, v85, v70
	;;#ASMEND
	;;#ASMSTART
	v_dot2_f32_f16 v70, v82, v86, v70
	;;#ASMEND
	s_wait_dscnt 0x3
	;;#ASMSTART
	v_dot2_f32_f16 v75, v79, v87, v75
	;;#ASMEND
	;;#ASMSTART
	v_dot2_f32_f16 v75, v80, v88, v75
	;;#ASMEND
	;;#ASMSTART
	v_dot2_f32_f16 v75, v81, v89, v75
	;;#ASMEND
	;;#ASMSTART
	v_dot2_f32_f16 v75, v82, v90, v75
	;;#ASMEND
	;; [unrolled: 13-line block ×3, first 2 shown]
	;;#ASMSTART
	v_dot2_f32_f16 v76, v91, v87, v76
	;;#ASMEND
	;;#ASMSTART
	v_dot2_f32_f16 v76, v92, v88, v76
	;;#ASMEND
	;; [unrolled: 3-line block ×4, first 2 shown]
	s_wait_dscnt 0x1
	;;#ASMSTART
	v_dot2_f32_f16 v72, v95, v83, v72
	;;#ASMEND
	;;#ASMSTART
	v_dot2_f32_f16 v72, v96, v84, v72
	;;#ASMEND
	;; [unrolled: 3-line block ×8, first 2 shown]
	s_wait_dscnt 0x0
	;;#ASMSTART
	v_dot2_f32_f16 v73, v99, v83, v73
	;;#ASMEND
	v_cmp_ngt_f32_e64 s26, 0x3f200000, |v70|
	;;#ASMSTART
	v_dot2_f32_f16 v73, v100, v84, v73
	;;#ASMEND
	;;#ASMSTART
	v_dot2_f32_f16 v73, v101, v85, v73
	;;#ASMEND
	;; [unrolled: 3-line block ×7, first 2 shown]
                                        ; implicit-def: $vgpr74
	s_and_saveexec_b32 s27, s26
	s_wait_alu 0xfffe
	s_xor_b32 s26, exec_lo, s27
	s_cbranch_execz .LBB73_11
; %bb.10:                               ;   in Loop: Header=BB73_9 Depth=1
	v_add_f32_e64 v35, |v70|, |v70|
	s_delay_alu instid0(VALU_DEP_1) | instskip(SKIP_1) | instid1(VALU_DEP_2)
	v_mul_f32_e32 v36, 0x3fb8aa3b, v35
	v_cmp_ngt_f32_e32 vcc_lo, 0xc2ce8ed0, v35
	v_rndne_f32_e32 v74, v36
	v_fma_f32 v79, 0x3fb8aa3b, v35, -v36
	s_delay_alu instid0(VALU_DEP_1) | instskip(SKIP_1) | instid1(VALU_DEP_2)
	v_dual_sub_f32 v36, v36, v74 :: v_dual_fmac_f32 v79, 0x32a5705f, v35
	v_cvt_i32_f32_e32 v74, v74
	v_add_f32_e32 v36, v36, v79
	s_delay_alu instid0(VALU_DEP_1) | instskip(NEXT) | instid1(TRANS32_DEP_1)
	v_exp_f32_e32 v36, v36
	v_ldexp_f32 v36, v36, v74
	s_wait_alu 0xfffd
	s_delay_alu instid0(VALU_DEP_1) | instskip(SKIP_2) | instid1(VALU_DEP_2)
	v_cndmask_b32_e32 v36, 0, v36, vcc_lo
	v_cmp_nlt_f32_e32 vcc_lo, 0x42b17218, v35
	s_wait_alu 0xfffd
	v_cndmask_b32_e32 v35, 0x7f800000, v36, vcc_lo
	s_delay_alu instid0(VALU_DEP_1) | instskip(NEXT) | instid1(VALU_DEP_1)
	v_add_f32_e32 v35, 1.0, v35
	v_rcp_f32_e32 v35, v35
	s_delay_alu instid0(TRANS32_DEP_1)
	v_fma_f32 v74, v35, -2.0, 1.0
.LBB73_11:                              ;   in Loop: Header=BB73_9 Depth=1
	s_wait_alu 0xfffe
	s_and_not1_saveexec_b32 s26, s26
	s_cbranch_execz .LBB73_13
; %bb.12:                               ;   in Loop: Header=BB73_9 Depth=1
	v_mul_f32_e32 v35, v70, v70
	s_delay_alu instid0(VALU_DEP_1) | instskip(NEXT) | instid1(VALU_DEP_1)
	v_fmaak_f32 v36, s3, v35, 0x3ca908c9
	v_fmaak_f32 v36, v35, v36, 0xbd5c1c4e
	s_delay_alu instid0(VALU_DEP_1) | instskip(NEXT) | instid1(VALU_DEP_1)
	v_fmaak_f32 v36, v35, v36, 0x3e088382
	v_fmaak_f32 v36, v35, v36, 0xbeaaaa99
	s_delay_alu instid0(VALU_DEP_1) | instskip(NEXT) | instid1(VALU_DEP_1)
	v_mul_f32_e64 v36, |v70|, v36
	v_fma_f32 v74, v35, v36, |v70|
.LBB73_13:                              ;   in Loop: Header=BB73_9 Depth=1
	s_wait_alu 0xfffe
	s_or_b32 exec_lo, exec_lo, s26
	v_add_nc_u32_e32 v35, s10, v2
	v_cmp_ngt_f32_e64 s26, 0x3f200000, |v71|
                                        ; implicit-def: $vgpr79
	s_delay_alu instid0(VALU_DEP_2) | instskip(NEXT) | instid1(VALU_DEP_1)
	v_ashrrev_i32_e32 v36, 31, v35
	v_lshlrev_b64_e32 v[35:36], 1, v[35:36]
	s_delay_alu instid0(VALU_DEP_1) | instskip(SKIP_1) | instid1(VALU_DEP_2)
	v_add_co_u32 v35, vcc_lo, s30, v35
	s_wait_alu 0xfffd
	v_add_co_ci_u32_e64 v36, null, s31, v36, vcc_lo
	global_load_u16 v84, v[35:36], off
	s_and_saveexec_b32 s27, s26
	s_wait_alu 0xfffe
	s_xor_b32 s26, exec_lo, s27
	s_cbranch_execz .LBB73_15
; %bb.14:                               ;   in Loop: Header=BB73_9 Depth=1
	v_add_f32_e64 v79, |v71|, |v71|
	s_delay_alu instid0(VALU_DEP_1) | instskip(SKIP_1) | instid1(VALU_DEP_2)
	v_mul_f32_e32 v80, 0x3fb8aa3b, v79
	v_cmp_ngt_f32_e32 vcc_lo, 0xc2ce8ed0, v79
	v_rndne_f32_e32 v81, v80
	v_fma_f32 v82, 0x3fb8aa3b, v79, -v80
	s_delay_alu instid0(VALU_DEP_2) | instskip(NEXT) | instid1(VALU_DEP_2)
	v_sub_f32_e32 v80, v80, v81
	v_fmac_f32_e32 v82, 0x32a5705f, v79
	v_cvt_i32_f32_e32 v81, v81
	s_delay_alu instid0(VALU_DEP_2) | instskip(NEXT) | instid1(VALU_DEP_1)
	v_add_f32_e32 v80, v80, v82
	v_exp_f32_e32 v80, v80
	s_delay_alu instid0(TRANS32_DEP_1) | instskip(SKIP_1) | instid1(VALU_DEP_1)
	v_ldexp_f32 v80, v80, v81
	s_wait_alu 0xfffd
	v_cndmask_b32_e32 v80, 0, v80, vcc_lo
	v_cmp_nlt_f32_e32 vcc_lo, 0x42b17218, v79
	s_wait_alu 0xfffd
	s_delay_alu instid0(VALU_DEP_2) | instskip(NEXT) | instid1(VALU_DEP_1)
	v_cndmask_b32_e32 v79, 0x7f800000, v80, vcc_lo
	v_add_f32_e32 v79, 1.0, v79
	s_delay_alu instid0(VALU_DEP_1) | instskip(NEXT) | instid1(TRANS32_DEP_1)
	v_rcp_f32_e32 v79, v79
	v_fma_f32 v79, v79, -2.0, 1.0
.LBB73_15:                              ;   in Loop: Header=BB73_9 Depth=1
	s_wait_alu 0xfffe
	s_and_not1_saveexec_b32 s26, s26
	s_cbranch_execz .LBB73_17
; %bb.16:                               ;   in Loop: Header=BB73_9 Depth=1
	v_mul_f32_e32 v79, v71, v71
	s_delay_alu instid0(VALU_DEP_1) | instskip(NEXT) | instid1(VALU_DEP_1)
	v_fmaak_f32 v80, s3, v79, 0x3ca908c9
	v_fmaak_f32 v80, v79, v80, 0xbd5c1c4e
	s_delay_alu instid0(VALU_DEP_1) | instskip(NEXT) | instid1(VALU_DEP_1)
	v_fmaak_f32 v80, v79, v80, 0x3e088382
	v_fmaak_f32 v80, v79, v80, 0xbeaaaa99
	s_delay_alu instid0(VALU_DEP_1) | instskip(NEXT) | instid1(VALU_DEP_1)
	v_mul_f32_e64 v80, |v71|, v80
	v_fma_f32 v79, v79, v80, |v71|
.LBB73_17:                              ;   in Loop: Header=BB73_9 Depth=1
	s_wait_alu 0xfffe
	s_or_b32 exec_lo, exec_lo, s26
	global_load_u16 v85, v[35:36], off offset:64
	v_cmp_ngt_f32_e64 s26, 0x3f200000, |v72|
                                        ; implicit-def: $vgpr81
	s_and_saveexec_b32 s27, s26
	s_wait_alu 0xfffe
	s_xor_b32 s26, exec_lo, s27
	s_cbranch_execz .LBB73_19
; %bb.18:                               ;   in Loop: Header=BB73_9 Depth=1
	v_add_f32_e64 v80, |v72|, |v72|
	s_delay_alu instid0(VALU_DEP_1) | instskip(SKIP_1) | instid1(VALU_DEP_2)
	v_mul_f32_e32 v81, 0x3fb8aa3b, v80
	v_cmp_ngt_f32_e32 vcc_lo, 0xc2ce8ed0, v80
	v_rndne_f32_e32 v82, v81
	v_fma_f32 v83, 0x3fb8aa3b, v80, -v81
	s_delay_alu instid0(VALU_DEP_2) | instskip(NEXT) | instid1(VALU_DEP_2)
	v_sub_f32_e32 v81, v81, v82
	v_fmac_f32_e32 v83, 0x32a5705f, v80
	v_cvt_i32_f32_e32 v82, v82
	s_delay_alu instid0(VALU_DEP_2) | instskip(NEXT) | instid1(VALU_DEP_1)
	v_add_f32_e32 v81, v81, v83
	v_exp_f32_e32 v81, v81
	s_delay_alu instid0(TRANS32_DEP_1) | instskip(SKIP_1) | instid1(VALU_DEP_1)
	v_ldexp_f32 v81, v81, v82
	s_wait_alu 0xfffd
	v_cndmask_b32_e32 v81, 0, v81, vcc_lo
	v_cmp_nlt_f32_e32 vcc_lo, 0x42b17218, v80
	s_wait_alu 0xfffd
	s_delay_alu instid0(VALU_DEP_2) | instskip(NEXT) | instid1(VALU_DEP_1)
	v_cndmask_b32_e32 v80, 0x7f800000, v81, vcc_lo
	v_add_f32_e32 v80, 1.0, v80
	s_delay_alu instid0(VALU_DEP_1) | instskip(NEXT) | instid1(TRANS32_DEP_1)
	v_rcp_f32_e32 v80, v80
	v_fma_f32 v81, v80, -2.0, 1.0
.LBB73_19:                              ;   in Loop: Header=BB73_9 Depth=1
	s_wait_alu 0xfffe
	s_and_not1_saveexec_b32 s26, s26
	s_cbranch_execz .LBB73_21
; %bb.20:                               ;   in Loop: Header=BB73_9 Depth=1
	v_mul_f32_e32 v80, v72, v72
	s_delay_alu instid0(VALU_DEP_1) | instskip(NEXT) | instid1(VALU_DEP_1)
	v_fmaak_f32 v81, s3, v80, 0x3ca908c9
	v_fmaak_f32 v81, v80, v81, 0xbd5c1c4e
	s_delay_alu instid0(VALU_DEP_1) | instskip(NEXT) | instid1(VALU_DEP_1)
	v_fmaak_f32 v81, v80, v81, 0x3e088382
	v_fmaak_f32 v81, v80, v81, 0xbeaaaa99
	s_delay_alu instid0(VALU_DEP_1) | instskip(NEXT) | instid1(VALU_DEP_1)
	v_mul_f32_e64 v81, |v72|, v81
	v_fma_f32 v81, v80, v81, |v72|
.LBB73_21:                              ;   in Loop: Header=BB73_9 Depth=1
	s_wait_alu 0xfffe
	s_or_b32 exec_lo, exec_lo, s26
	global_load_u16 v86, v[35:36], off offset:128
	v_cmp_ngt_f32_e64 s26, 0x3f200000, |v73|
                                        ; implicit-def: $vgpr82
	s_and_saveexec_b32 s27, s26
	s_wait_alu 0xfffe
	s_xor_b32 s26, exec_lo, s27
	s_cbranch_execz .LBB73_23
; %bb.22:                               ;   in Loop: Header=BB73_9 Depth=1
	v_add_f32_e64 v80, |v73|, |v73|
	s_delay_alu instid0(VALU_DEP_1) | instskip(SKIP_1) | instid1(VALU_DEP_2)
	v_mul_f32_e32 v82, 0x3fb8aa3b, v80
	v_cmp_ngt_f32_e32 vcc_lo, 0xc2ce8ed0, v80
	v_rndne_f32_e32 v83, v82
	v_fma_f32 v87, 0x3fb8aa3b, v80, -v82
	s_delay_alu instid0(VALU_DEP_1) | instskip(SKIP_1) | instid1(VALU_DEP_2)
	v_dual_sub_f32 v82, v82, v83 :: v_dual_fmac_f32 v87, 0x32a5705f, v80
	v_cvt_i32_f32_e32 v83, v83
	v_add_f32_e32 v82, v82, v87
	s_delay_alu instid0(VALU_DEP_1) | instskip(NEXT) | instid1(TRANS32_DEP_1)
	v_exp_f32_e32 v82, v82
	v_ldexp_f32 v82, v82, v83
	s_wait_alu 0xfffd
	s_delay_alu instid0(VALU_DEP_1) | instskip(SKIP_2) | instid1(VALU_DEP_2)
	v_cndmask_b32_e32 v82, 0, v82, vcc_lo
	v_cmp_nlt_f32_e32 vcc_lo, 0x42b17218, v80
	s_wait_alu 0xfffd
	v_cndmask_b32_e32 v80, 0x7f800000, v82, vcc_lo
	s_delay_alu instid0(VALU_DEP_1) | instskip(NEXT) | instid1(VALU_DEP_1)
	v_add_f32_e32 v80, 1.0, v80
	v_rcp_f32_e32 v80, v80
	s_delay_alu instid0(TRANS32_DEP_1)
	v_fma_f32 v82, v80, -2.0, 1.0
.LBB73_23:                              ;   in Loop: Header=BB73_9 Depth=1
	s_wait_alu 0xfffe
	s_and_not1_saveexec_b32 s26, s26
	s_cbranch_execz .LBB73_25
; %bb.24:                               ;   in Loop: Header=BB73_9 Depth=1
	v_mul_f32_e32 v80, v73, v73
	s_delay_alu instid0(VALU_DEP_1) | instskip(NEXT) | instid1(VALU_DEP_1)
	v_fmaak_f32 v82, s3, v80, 0x3ca908c9
	v_fmaak_f32 v82, v80, v82, 0xbd5c1c4e
	s_delay_alu instid0(VALU_DEP_1) | instskip(NEXT) | instid1(VALU_DEP_1)
	v_fmaak_f32 v82, v80, v82, 0x3e088382
	v_fmaak_f32 v82, v80, v82, 0xbeaaaa99
	s_delay_alu instid0(VALU_DEP_1) | instskip(NEXT) | instid1(VALU_DEP_1)
	v_mul_f32_e64 v82, |v73|, v82
	v_fma_f32 v82, v80, v82, |v73|
.LBB73_25:                              ;   in Loop: Header=BB73_9 Depth=1
	s_wait_alu 0xfffe
	s_or_b32 exec_lo, exec_lo, s26
	global_load_u16 v35, v[35:36], off offset:192
	v_bfi_b32 v36, 0x7fffffff, v74, v70
	v_bfi_b32 v70, 0x7fffffff, v79, v71
	v_xor_b32_e32 v74, 16, v40
	v_bfi_b32 v71, 0x7fffffff, v82, v73
	v_cmp_ngt_f32_e64 s26, 0x3f200000, |v75|
	s_wait_loadcnt 0x3
	v_fma_mix_f32 v79, s5, v36, v84 op_sel_hi:[0,0,1]
	s_wait_loadcnt 0x2
	v_fma_mix_f32 v80, s5, v70, v85 op_sel_hi:[0,0,1]
	v_bfi_b32 v36, 0x7fffffff, v81, v72
	v_cmp_gt_i32_e32 vcc_lo, 32, v74
	v_add_f32_e32 v70, 0x40051340, v79
	s_wait_loadcnt 0x1
	s_delay_alu instid0(VALU_DEP_3) | instskip(SKIP_4) | instid1(VALU_DEP_1)
	v_fma_mix_f32 v81, s5, v36, v86 op_sel_hi:[0,0,1]
	s_wait_loadcnt 0x0
	v_fma_mix_f32 v82, s5, v71, v35 op_sel_hi:[0,0,1]
	s_wait_alu 0xfffd
	v_dual_cndmask_b32 v71, v40, v74 :: v_dual_add_f32 v72, 0x40051340, v80
	v_lshlrev_b32_e32 v87, 2, v71
	s_delay_alu instid0(VALU_DEP_2) | instskip(SKIP_2) | instid1(VALU_DEP_1)
	v_max3_num_f32 v36, v69, v70, v72
	v_add_f32_e32 v70, 0x40051340, v81
	v_add_f32_e32 v72, 0x40051340, v82
	v_max3_num_f32 v36, v36, v70, v72
	v_xor_b32_e32 v70, 8, v40
	ds_bpermute_b32 v71, v87, v36
	v_cmp_gt_i32_e32 vcc_lo, 32, v70
	s_wait_dscnt 0x0
	s_wait_alu 0xfffd
	v_dual_cndmask_b32 v72, v40, v70 :: v_dual_max_num_f32 v71, v71, v71
	s_delay_alu instid0(VALU_DEP_1) | instskip(SKIP_1) | instid1(VALU_DEP_1)
	v_max_num_f32_e32 v36, v36, v71
	v_xor_b32_e32 v71, 4, v40
	v_cmp_gt_i32_e32 vcc_lo, 32, v71
	s_wait_alu 0xfffd
	v_cndmask_b32_e32 v73, v40, v71, vcc_lo
	s_delay_alu instid0(VALU_DEP_1) | instskip(SKIP_4) | instid1(VALU_DEP_1)
	v_lshlrev_b32_e32 v89, 2, v73
	v_lshlrev_b32_e32 v88, 2, v72
	ds_bpermute_b32 v72, v88, v36
	s_wait_dscnt 0x0
	v_max_num_f32_e32 v72, v72, v72
	v_max_num_f32_e32 v36, v36, v72
	v_xor_b32_e32 v72, 2, v40
	ds_bpermute_b32 v73, v89, v36
	v_cmp_gt_i32_e32 vcc_lo, 32, v72
	s_wait_alu 0xfffd
	v_cndmask_b32_e32 v83, v40, v72, vcc_lo
	s_delay_alu instid0(VALU_DEP_1) | instskip(SKIP_2) | instid1(VALU_DEP_1)
	v_lshlrev_b32_e32 v83, 2, v83
	s_wait_dscnt 0x0
	v_max_num_f32_e32 v73, v73, v73
	v_max_num_f32_e32 v90, v36, v73
	v_xor_b32_e32 v73, 1, v40
	ds_bpermute_b32 v36, v83, v90
	v_cmp_gt_i32_e32 vcc_lo, 32, v73
	s_wait_dscnt 0x0
	v_max_num_f32_e32 v92, v36, v36
	s_wait_alu 0xfffd
	s_delay_alu instid0(VALU_DEP_1) | instskip(NEXT) | instid1(VALU_DEP_1)
	v_dual_cndmask_b32 v91, v40, v73 :: v_dual_max_num_f32 v90, v90, v92
	v_lshlrev_b32_e32 v36, 2, v91
                                        ; implicit-def: $vgpr92
	ds_bpermute_b32 v91, v36, v90
	s_and_saveexec_b32 s27, s26
	s_wait_alu 0xfffe
	s_xor_b32 s26, exec_lo, s27
	s_cbranch_execz .LBB73_27
; %bb.26:                               ;   in Loop: Header=BB73_9 Depth=1
	v_add_f32_e64 v92, |v75|, |v75|
	s_delay_alu instid0(VALU_DEP_1) | instskip(SKIP_1) | instid1(VALU_DEP_2)
	v_mul_f32_e32 v93, 0x3fb8aa3b, v92
	v_cmp_ngt_f32_e32 vcc_lo, 0xc2ce8ed0, v92
	v_rndne_f32_e32 v94, v93
	v_fma_f32 v95, 0x3fb8aa3b, v92, -v93
	s_delay_alu instid0(VALU_DEP_2) | instskip(NEXT) | instid1(VALU_DEP_2)
	v_sub_f32_e32 v93, v93, v94
	v_fmac_f32_e32 v95, 0x32a5705f, v92
	v_cvt_i32_f32_e32 v94, v94
	s_delay_alu instid0(VALU_DEP_2) | instskip(NEXT) | instid1(VALU_DEP_1)
	v_add_f32_e32 v93, v93, v95
	v_exp_f32_e32 v93, v93
	s_delay_alu instid0(TRANS32_DEP_1) | instskip(SKIP_1) | instid1(VALU_DEP_1)
	v_ldexp_f32 v93, v93, v94
	s_wait_alu 0xfffd
	v_cndmask_b32_e32 v93, 0, v93, vcc_lo
	v_cmp_nlt_f32_e32 vcc_lo, 0x42b17218, v92
	s_wait_alu 0xfffd
	s_delay_alu instid0(VALU_DEP_2) | instskip(NEXT) | instid1(VALU_DEP_1)
	v_cndmask_b32_e32 v92, 0x7f800000, v93, vcc_lo
	v_add_f32_e32 v92, 1.0, v92
	s_delay_alu instid0(VALU_DEP_1) | instskip(NEXT) | instid1(TRANS32_DEP_1)
	v_rcp_f32_e32 v92, v92
	v_fma_f32 v92, v92, -2.0, 1.0
.LBB73_27:                              ;   in Loop: Header=BB73_9 Depth=1
	s_wait_alu 0xfffe
	s_and_not1_saveexec_b32 s26, s26
	s_cbranch_execz .LBB73_29
; %bb.28:                               ;   in Loop: Header=BB73_9 Depth=1
	v_mul_f32_e32 v92, v75, v75
	s_delay_alu instid0(VALU_DEP_1) | instskip(NEXT) | instid1(VALU_DEP_1)
	v_fmaak_f32 v93, s3, v92, 0x3ca908c9
	v_fmaak_f32 v93, v92, v93, 0xbd5c1c4e
	s_delay_alu instid0(VALU_DEP_1) | instskip(NEXT) | instid1(VALU_DEP_1)
	v_fmaak_f32 v93, v92, v93, 0x3e088382
	v_fmaak_f32 v93, v92, v93, 0xbeaaaa99
	s_delay_alu instid0(VALU_DEP_1) | instskip(NEXT) | instid1(VALU_DEP_1)
	v_mul_f32_e64 v93, |v75|, v93
	v_fma_f32 v92, v92, v93, |v75|
.LBB73_29:                              ;   in Loop: Header=BB73_9 Depth=1
	s_wait_alu 0xfffe
	s_or_b32 exec_lo, exec_lo, s26
	v_cmp_ngt_f32_e64 s26, 0x3f200000, |v76|
                                        ; implicit-def: $vgpr93
	s_and_saveexec_b32 s27, s26
	s_wait_alu 0xfffe
	s_xor_b32 s26, exec_lo, s27
	s_cbranch_execz .LBB73_31
; %bb.30:                               ;   in Loop: Header=BB73_9 Depth=1
	v_add_f32_e64 v93, |v76|, |v76|
	s_delay_alu instid0(VALU_DEP_1) | instskip(SKIP_1) | instid1(VALU_DEP_2)
	v_mul_f32_e32 v94, 0x3fb8aa3b, v93
	v_cmp_ngt_f32_e32 vcc_lo, 0xc2ce8ed0, v93
	v_rndne_f32_e32 v95, v94
	v_fma_f32 v96, 0x3fb8aa3b, v93, -v94
	s_delay_alu instid0(VALU_DEP_2) | instskip(NEXT) | instid1(VALU_DEP_2)
	v_sub_f32_e32 v94, v94, v95
	v_fmac_f32_e32 v96, 0x32a5705f, v93
	v_cvt_i32_f32_e32 v95, v95
	s_delay_alu instid0(VALU_DEP_2) | instskip(NEXT) | instid1(VALU_DEP_1)
	v_add_f32_e32 v94, v94, v96
	v_exp_f32_e32 v94, v94
	s_delay_alu instid0(TRANS32_DEP_1) | instskip(SKIP_1) | instid1(VALU_DEP_1)
	v_ldexp_f32 v94, v94, v95
	s_wait_alu 0xfffd
	v_cndmask_b32_e32 v94, 0, v94, vcc_lo
	v_cmp_nlt_f32_e32 vcc_lo, 0x42b17218, v93
	s_wait_alu 0xfffd
	s_delay_alu instid0(VALU_DEP_2) | instskip(NEXT) | instid1(VALU_DEP_1)
	v_cndmask_b32_e32 v93, 0x7f800000, v94, vcc_lo
	v_add_f32_e32 v93, 1.0, v93
	s_delay_alu instid0(VALU_DEP_1) | instskip(NEXT) | instid1(TRANS32_DEP_1)
	v_rcp_f32_e32 v93, v93
	v_fma_f32 v93, v93, -2.0, 1.0
.LBB73_31:                              ;   in Loop: Header=BB73_9 Depth=1
	s_wait_alu 0xfffe
	s_and_not1_saveexec_b32 s26, s26
	s_cbranch_execz .LBB73_33
; %bb.32:                               ;   in Loop: Header=BB73_9 Depth=1
	v_mul_f32_e32 v93, v76, v76
	s_delay_alu instid0(VALU_DEP_1) | instskip(NEXT) | instid1(VALU_DEP_1)
	v_fmaak_f32 v94, s3, v93, 0x3ca908c9
	v_fmaak_f32 v94, v93, v94, 0xbd5c1c4e
	s_delay_alu instid0(VALU_DEP_1) | instskip(NEXT) | instid1(VALU_DEP_1)
	v_fmaak_f32 v94, v93, v94, 0x3e088382
	v_fmaak_f32 v94, v93, v94, 0xbeaaaa99
	s_delay_alu instid0(VALU_DEP_1) | instskip(NEXT) | instid1(VALU_DEP_1)
	v_mul_f32_e64 v94, |v76|, v94
	v_fma_f32 v93, v93, v94, |v76|
.LBB73_33:                              ;   in Loop: Header=BB73_9 Depth=1
	s_wait_alu 0xfffe
	s_or_b32 exec_lo, exec_lo, s26
	v_cmp_ngt_f32_e64 s26, 0x3f200000, |v77|
                                        ; implicit-def: $vgpr94
	s_and_saveexec_b32 s27, s26
	s_wait_alu 0xfffe
	s_xor_b32 s26, exec_lo, s27
	s_cbranch_execz .LBB73_35
; %bb.34:                               ;   in Loop: Header=BB73_9 Depth=1
	v_add_f32_e64 v94, |v77|, |v77|
	s_delay_alu instid0(VALU_DEP_1) | instskip(SKIP_1) | instid1(VALU_DEP_2)
	v_mul_f32_e32 v95, 0x3fb8aa3b, v94
	v_cmp_ngt_f32_e32 vcc_lo, 0xc2ce8ed0, v94
	v_rndne_f32_e32 v96, v95
	v_fma_f32 v97, 0x3fb8aa3b, v94, -v95
	s_delay_alu instid0(VALU_DEP_2) | instskip(NEXT) | instid1(VALU_DEP_2)
	v_sub_f32_e32 v95, v95, v96
	v_fmac_f32_e32 v97, 0x32a5705f, v94
	v_cvt_i32_f32_e32 v96, v96
	s_delay_alu instid0(VALU_DEP_2) | instskip(NEXT) | instid1(VALU_DEP_1)
	v_add_f32_e32 v95, v95, v97
	v_exp_f32_e32 v95, v95
	s_delay_alu instid0(TRANS32_DEP_1) | instskip(SKIP_1) | instid1(VALU_DEP_1)
	v_ldexp_f32 v95, v95, v96
	s_wait_alu 0xfffd
	v_cndmask_b32_e32 v95, 0, v95, vcc_lo
	v_cmp_nlt_f32_e32 vcc_lo, 0x42b17218, v94
	s_wait_alu 0xfffd
	s_delay_alu instid0(VALU_DEP_2) | instskip(NEXT) | instid1(VALU_DEP_1)
	v_cndmask_b32_e32 v94, 0x7f800000, v95, vcc_lo
	v_add_f32_e32 v94, 1.0, v94
	s_delay_alu instid0(VALU_DEP_1) | instskip(NEXT) | instid1(TRANS32_DEP_1)
	v_rcp_f32_e32 v94, v94
	v_fma_f32 v94, v94, -2.0, 1.0
.LBB73_35:                              ;   in Loop: Header=BB73_9 Depth=1
	s_wait_alu 0xfffe
	s_and_not1_saveexec_b32 s26, s26
	s_cbranch_execz .LBB73_37
; %bb.36:                               ;   in Loop: Header=BB73_9 Depth=1
	v_mul_f32_e32 v94, v77, v77
	s_delay_alu instid0(VALU_DEP_1) | instskip(NEXT) | instid1(VALU_DEP_1)
	v_fmaak_f32 v95, s3, v94, 0x3ca908c9
	v_fmaak_f32 v95, v94, v95, 0xbd5c1c4e
	s_delay_alu instid0(VALU_DEP_1) | instskip(NEXT) | instid1(VALU_DEP_1)
	v_fmaak_f32 v95, v94, v95, 0x3e088382
	v_fmaak_f32 v95, v94, v95, 0xbeaaaa99
	s_delay_alu instid0(VALU_DEP_1) | instskip(NEXT) | instid1(VALU_DEP_1)
	v_mul_f32_e64 v95, |v77|, v95
	v_fma_f32 v94, v94, v95, |v77|
.LBB73_37:                              ;   in Loop: Header=BB73_9 Depth=1
	s_wait_alu 0xfffe
	s_or_b32 exec_lo, exec_lo, s26
	v_cmp_ngt_f32_e64 s26, 0x3f200000, |v78|
                                        ; implicit-def: $vgpr95
	s_and_saveexec_b32 s27, s26
	s_wait_alu 0xfffe
	s_xor_b32 s26, exec_lo, s27
	s_cbranch_execz .LBB73_39
; %bb.38:                               ;   in Loop: Header=BB73_9 Depth=1
	v_add_f32_e64 v95, |v78|, |v78|
	s_delay_alu instid0(VALU_DEP_1) | instskip(SKIP_1) | instid1(VALU_DEP_2)
	v_mul_f32_e32 v96, 0x3fb8aa3b, v95
	v_cmp_ngt_f32_e32 vcc_lo, 0xc2ce8ed0, v95
	v_rndne_f32_e32 v97, v96
	v_fma_f32 v98, 0x3fb8aa3b, v95, -v96
	s_delay_alu instid0(VALU_DEP_2) | instskip(NEXT) | instid1(VALU_DEP_2)
	v_sub_f32_e32 v96, v96, v97
	v_fmac_f32_e32 v98, 0x32a5705f, v95
	v_cvt_i32_f32_e32 v97, v97
	s_delay_alu instid0(VALU_DEP_2) | instskip(NEXT) | instid1(VALU_DEP_1)
	v_add_f32_e32 v96, v96, v98
	v_exp_f32_e32 v96, v96
	s_delay_alu instid0(TRANS32_DEP_1) | instskip(SKIP_1) | instid1(VALU_DEP_1)
	v_ldexp_f32 v96, v96, v97
	s_wait_alu 0xfffd
	v_cndmask_b32_e32 v96, 0, v96, vcc_lo
	v_cmp_nlt_f32_e32 vcc_lo, 0x42b17218, v95
	s_wait_alu 0xfffd
	s_delay_alu instid0(VALU_DEP_2) | instskip(NEXT) | instid1(VALU_DEP_1)
	v_cndmask_b32_e32 v95, 0x7f800000, v96, vcc_lo
	v_add_f32_e32 v95, 1.0, v95
	s_delay_alu instid0(VALU_DEP_1) | instskip(NEXT) | instid1(TRANS32_DEP_1)
	v_rcp_f32_e32 v95, v95
	v_fma_f32 v95, v95, -2.0, 1.0
.LBB73_39:                              ;   in Loop: Header=BB73_9 Depth=1
	s_wait_alu 0xfffe
	s_and_not1_saveexec_b32 s26, s26
	s_cbranch_execz .LBB73_41
; %bb.40:                               ;   in Loop: Header=BB73_9 Depth=1
	v_mul_f32_e32 v95, v78, v78
	s_delay_alu instid0(VALU_DEP_1) | instskip(NEXT) | instid1(VALU_DEP_1)
	v_fmaak_f32 v96, s3, v95, 0x3ca908c9
	v_fmaak_f32 v96, v95, v96, 0xbd5c1c4e
	s_delay_alu instid0(VALU_DEP_1) | instskip(NEXT) | instid1(VALU_DEP_1)
	v_fmaak_f32 v96, v95, v96, 0x3e088382
	v_fmaak_f32 v96, v95, v96, 0xbeaaaa99
	s_delay_alu instid0(VALU_DEP_1) | instskip(NEXT) | instid1(VALU_DEP_1)
	v_mul_f32_e64 v96, |v78|, v96
	v_fma_f32 v95, v95, v96, |v78|
.LBB73_41:                              ;   in Loop: Header=BB73_9 Depth=1
	s_wait_alu 0xfffe
	s_or_b32 exec_lo, exec_lo, s26
	v_cvt_f32_f16_e32 v84, v84
	v_bfi_b32 v75, 0x7fffffff, v92, v75
	v_cvt_f32_f16_e32 v85, v85
	v_bfi_b32 v76, 0x7fffffff, v93, v76
	v_cvt_f32_f16_e32 v86, v86
	v_cvt_f32_f16_e32 v92, v35
	v_fmac_f32_e32 v84, s5, v75
	v_bfi_b32 v35, 0x7fffffff, v94, v77
	v_bfi_b32 v75, 0x7fffffff, v95, v78
	v_fmac_f32_e32 v85, s5, v76
	s_mul_u64 s[26:27], s[10:11], s[14:15]
	v_add_f32_e32 v76, 0x40051340, v84
	s_wait_alu 0xfffe
	s_lshl_b64 s[26:27], s[26:27], 2
	v_fmac_f32_e32 v92, s5, v75
	v_dual_fmac_f32 v86, s5, v35 :: v_dual_add_f32 v35, 0x40051340, v85
	s_wait_alu 0xfffe
	s_add_nc_u64 s[26:27], s[8:9], s[26:27]
	s_wait_dscnt 0x0
	v_add_f32_e32 v77, 0x40051340, v92
	v_add_f32_e32 v75, 0x40051340, v86
	v_max3_num_f32 v35, v68, v76, v35
	s_wait_alu 0xfffe
	v_add_co_u32 v96, vcc_lo, s26, v19
	s_wait_alu 0xfffd
	v_add_co_ci_u32_e64 v97, null, s27, v20, vcc_lo
	v_max3_num_f32 v35, v35, v75, v77
	v_add_co_u32 v98, vcc_lo, s26, v21
	s_wait_alu 0xfffd
	v_add_co_ci_u32_e64 v99, null, s27, v22, vcc_lo
	ds_bpermute_b32 v75, v87, v35
	v_add_co_u32 v96, vcc_lo, v96, v61
	s_wait_alu 0xfffd
	v_add_co_ci_u32_e64 v97, null, 0, v97, vcc_lo
	v_add_co_u32 v100, vcc_lo, v98, v61
	s_wait_alu 0xfffd
	v_add_co_ci_u32_e64 v101, null, 0, v99, vcc_lo
	;; [unrolled: 3-line block ×5, first 2 shown]
	s_wait_dscnt 0x0
	v_max_num_f32_e32 v75, v75, v75
	v_add_co_u32 v108, vcc_lo, v102, v61
	s_wait_alu 0xfffd
	v_add_co_ci_u32_e64 v109, null, 0, v103, vcc_lo
	v_add_co_u32 v98, vcc_lo, s26, v27
	v_max_num_f32_e32 v35, v35, v75
	s_wait_alu 0xfffd
	v_add_co_ci_u32_e64 v99, null, s27, v28, vcc_lo
	v_add_co_u32 v102, vcc_lo, s26, v29
	s_wait_alu 0xfffd
	v_add_co_ci_u32_e64 v103, null, s27, v30, vcc_lo
	v_add_co_u32 v112, vcc_lo, v98, v61
	ds_bpermute_b32 v75, v88, v35
	s_wait_alu 0xfffd
	v_add_co_ci_u32_e64 v113, null, 0, v99, vcc_lo
	v_add_co_u32 v116, vcc_lo, v102, v61
	s_wait_alu 0xfffd
	v_add_co_ci_u32_e64 v117, null, 0, v103, vcc_lo
	v_add_co_u32 v98, vcc_lo, s26, v31
	;; [unrolled: 3-line block ×5, first 2 shown]
	s_wait_alu 0xfffd
	v_add_co_ci_u32_e64 v125, null, 0, v103, vcc_lo
	s_barrier_signal -1
	s_barrier_wait -1
	s_wait_dscnt 0x0
	global_inv scope:SCOPE_SE
	s_clause 0x7
	global_load_b128 v[96:99], v[96:97], off
	global_load_b128 v[100:103], v[100:101], off
	;; [unrolled: 1-line block ×8, first 2 shown]
	v_max_num_f32_e32 v75, v75, v75
	v_dual_max_num_f32 v76, v91, v91 :: v_dual_max_num_f32 v77, v90, v90
	v_add_nc_u32_e32 v128, 0x800, v39
	s_delay_alu instid0(VALU_DEP_3) | instskip(NEXT) | instid1(VALU_DEP_3)
	v_max_num_f32_e32 v75, v35, v75
	v_max_num_f32_e32 v35, v77, v76
	v_add_nc_u32_e32 v76, v53, v38
	s_delay_alu instid0(VALU_DEP_2) | instskip(SKIP_1) | instid1(VALU_DEP_2)
	v_sub_f32_e32 v69, v69, v35
	v_sub_f32_e32 v78, v79, v35
	v_mul_f32_e32 v90, 0x3fb8aa3b, v69
	ds_bpermute_b32 v77, v89, v75
	v_add_nc_u32_e32 v140, 0x1000, v39
	v_rndne_f32_e32 v134, v90
	v_sub_f32_e32 v79, v80, v35
	v_sub_f32_e32 v80, v81, v35
	;; [unrolled: 1-line block ×3, first 2 shown]
	s_delay_alu instid0(VALU_DEP_1) | instskip(SKIP_1) | instid1(VALU_DEP_2)
	v_dual_mul_f32 v89, 0x3fb8aa3b, v81 :: v_dual_mul_f32 v82, 0x3fb8aa3b, v78
	v_cmp_ngt_f32_e32 vcc_lo, 0xc2ce8ed0, v78
	v_rndne_f32_e32 v132, v89
	s_delay_alu instid0(VALU_DEP_3) | instskip(SKIP_3) | instid1(VALU_DEP_3)
	v_fma_f32 v91, 0x3fb8aa3b, v78, -v82
	v_rndne_f32_e32 v93, v82
	s_wait_dscnt 0x0
	v_max_num_f32_e32 v77, v77, v77
	v_fmac_f32_e32 v91, 0x32a5705f, v78
	v_mul_f32_e32 v88, 0x3fb8aa3b, v80
	s_delay_alu instid0(VALU_DEP_1) | instskip(SKIP_1) | instid1(VALU_DEP_1)
	v_fma_f32 v129, 0x3fb8aa3b, v80, -v88
	v_rndne_f32_e32 v130, v88
	v_dual_fmac_f32 v129, 0x32a5705f, v80 :: v_dual_sub_f32 v88, v88, v130
	v_fma_f32 v131, 0x3fb8aa3b, v81, -v89
	s_delay_alu instid0(VALU_DEP_2) | instskip(SKIP_2) | instid1(VALU_DEP_3)
	v_add_f32_e32 v88, v88, v129
	v_fma_f32 v133, 0x3fb8aa3b, v69, -v90
	v_sub_f32_e32 v90, v90, v134
	v_exp_f32_e32 v88, v88
	s_delay_alu instid0(VALU_DEP_2) | instskip(NEXT) | instid1(VALU_DEP_1)
	v_fmac_f32_e32 v133, 0x32a5705f, v69
	v_dual_mul_f32 v87, 0x3fb8aa3b, v79 :: v_dual_add_f32 v90, v90, v133
	s_delay_alu instid0(VALU_DEP_1)
	v_fma_f32 v94, 0x3fb8aa3b, v79, -v87
	v_max_num_f32_e32 v75, v75, v77
	v_rndne_f32_e32 v95, v87
	v_sub_f32_e32 v77, v82, v93
	v_cvt_i32_f32_e32 v82, v93
	v_fmac_f32_e32 v94, 0x32a5705f, v79
	ds_bpermute_b32 v83, v83, v75
	v_sub_f32_e32 v87, v87, v95
	v_add_f32_e32 v77, v77, v91
	v_cvt_i32_f32_e32 v91, v95
	v_cvt_i32_f32_e32 v93, v130
	v_exp_f32_e32 v90, v90
	v_add_f32_e32 v87, v87, v94
	v_exp_f32_e32 v77, v77
	v_cvt_i32_f32_e32 v94, v132
	v_cvt_i32_f32_e32 v95, v134
	s_delay_alu instid0(VALU_DEP_3) | instskip(NEXT) | instid1(TRANS32_DEP_2)
	v_exp_f32_e32 v87, v87
	v_ldexp_f32 v77, v77, v82
	s_wait_dscnt 0x0
	v_max_num_f32_e32 v83, v83, v83
	s_delay_alu instid0(TRANS32_DEP_1)
	v_ldexp_f32 v82, v87, v91
	s_wait_alu 0xfffd
	v_cndmask_b32_e32 v77, 0, v77, vcc_lo
	v_cmp_ngt_f32_e32 vcc_lo, 0xc2ce8ed0, v79
	v_ldexp_f32 v87, v88, v93
	v_max_num_f32_e32 v75, v75, v83
	v_ldexp_f32 v88, v90, v95
	s_wait_alu 0xfffd
	v_dual_cndmask_b32 v82, 0, v82 :: v_dual_sub_f32 v89, v89, v132
	ds_bpermute_b32 v36, v36, v75
	v_fmac_f32_e32 v131, 0x32a5705f, v81
	v_cmp_ngt_f32_e32 vcc_lo, 0xc2ce8ed0, v80
	s_wait_alu 0xfffd
	v_cndmask_b32_e32 v87, 0, v87, vcc_lo
	v_cmp_ngt_f32_e32 vcc_lo, 0xc2ce8ed0, v81
	s_wait_dscnt 0x0
	v_max_num_f32_e32 v36, v36, v36
	s_delay_alu instid0(VALU_DEP_1) | instskip(NEXT) | instid1(VALU_DEP_1)
	v_dual_max_num_f32 v36, v75, v36 :: v_dual_add_f32 v89, v89, v131
	v_sub_f32_e32 v68, v68, v36
	s_delay_alu instid0(VALU_DEP_2) | instskip(NEXT) | instid1(VALU_DEP_1)
	v_exp_f32_e32 v89, v89
	v_mul_f32_e32 v90, 0x3fb8aa3b, v68
	s_delay_alu instid0(VALU_DEP_1) | instskip(NEXT) | instid1(TRANS32_DEP_1)
	v_fma_f32 v132, 0x3fb8aa3b, v68, -v90
	v_ldexp_f32 v83, v89, v94
	v_rndne_f32_e32 v133, v90
	s_wait_alu 0xfffd
	s_delay_alu instid0(VALU_DEP_2) | instskip(SKIP_1) | instid1(VALU_DEP_3)
	v_dual_fmac_f32 v132, 0x32a5705f, v68 :: v_dual_cndmask_b32 v83, 0, v83
	v_cmp_ngt_f32_e32 vcc_lo, 0xc2ce8ed0, v69
	v_sub_f32_e32 v90, v90, v133
	s_wait_alu 0xfffd
	v_cndmask_b32_e32 v88, 0, v88, vcc_lo
	v_cmp_nlt_f32_e32 vcc_lo, 0x42b17218, v78
	s_wait_alu 0xfffd
	v_dual_add_f32 v90, v90, v132 :: v_dual_cndmask_b32 v77, 0x7f800000, v77
	v_cmp_nlt_f32_e32 vcc_lo, 0x42b17218, v79
	s_delay_alu instid0(VALU_DEP_2)
	v_exp_f32_e32 v90, v90
	s_wait_alu 0xfffd
	v_cndmask_b32_e32 v78, 0x7f800000, v82, vcc_lo
	v_cmp_nlt_f32_e32 vcc_lo, 0x42b17218, v80
	s_wait_alu 0xfffd
	v_cndmask_b32_e32 v79, 0x7f800000, v87, vcc_lo
	v_cmp_nlt_f32_e32 vcc_lo, 0x42b17218, v81
	;; [unrolled: 3-line block ×3, first 2 shown]
	v_add_f32_e32 v69, v77, v78
	v_cvt_f16_f32_e32 v78, v78
	s_delay_alu instid0(VALU_DEP_4) | instskip(SKIP_3) | instid1(VALU_DEP_2)
	v_cvt_f16_f32_e32 v83, v80
	s_wait_alu 0xfffd
	v_cndmask_b32_e32 v81, 0x7f800000, v88, vcc_lo
	v_add_f32_e32 v69, v79, v69
	v_cvt_f16_f32_e32 v82, v81
	s_delay_alu instid0(VALU_DEP_2) | instskip(SKIP_4) | instid1(VALU_DEP_4)
	v_add_f32_e32 v75, v80, v69
	v_sub_f32_e32 v69, v84, v36
	v_sub_f32_e32 v84, v86, v36
	;; [unrolled: 1-line block ×3, first 2 shown]
	v_and_b32_e32 v82, 0xffff, v82
	v_mul_f32_e32 v86, 0x3fb8aa3b, v69
	s_delay_alu instid0(VALU_DEP_4) | instskip(SKIP_1) | instid1(VALU_DEP_4)
	v_mul_f32_e32 v88, 0x3fb8aa3b, v84
	v_cmp_ngt_f32_e32 vcc_lo, 0xc2ce8ed0, v69
	v_mul_u32_u24_e32 v141, 0x10001, v82
	s_delay_alu instid0(VALU_DEP_4) | instskip(NEXT) | instid1(VALU_DEP_4)
	v_fma_f32 v91, 0x3fb8aa3b, v69, -v86
	v_fma_f32 v95, 0x3fb8aa3b, v84, -v88
	v_rndne_f32_e32 v129, v88
	s_delay_alu instid0(VALU_DEP_3) | instskip(NEXT) | instid1(VALU_DEP_2)
	v_fmac_f32_e32 v91, 0x32a5705f, v69
	v_dual_fmac_f32 v95, 0x32a5705f, v84 :: v_dual_sub_f32 v88, v88, v129
	v_mul_f32_e32 v87, 0x3fb8aa3b, v80
	v_cvt_f16_f32_e32 v79, v79
	s_delay_alu instid0(VALU_DEP_3) | instskip(SKIP_1) | instid1(VALU_DEP_4)
	v_add_f32_e32 v88, v88, v95
	v_cvt_i32_f32_e32 v95, v133
	v_fma_f32 v93, 0x3fb8aa3b, v80, -v87
	v_rndne_f32_e32 v94, v87
	s_delay_alu instid0(VALU_DEP_4) | instskip(NEXT) | instid1(VALU_DEP_3)
	v_exp_f32_e32 v88, v88
	v_ldexp_f32 v90, v90, v95
	v_sub_f32_e32 v85, v92, v36
	v_rndne_f32_e32 v92, v86
	v_fmac_f32_e32 v93, 0x32a5705f, v80
	s_delay_alu instid0(VALU_DEP_2) | instskip(SKIP_1) | instid1(VALU_DEP_2)
	v_dual_sub_f32 v87, v87, v94 :: v_dual_sub_f32 v86, v86, v92
	v_cvt_f16_f32_e32 v77, v77
	v_add_f32_e32 v87, v87, v93
	v_cvt_i32_f32_e32 v93, v129
	s_delay_alu instid0(VALU_DEP_4) | instskip(SKIP_1) | instid1(VALU_DEP_4)
	v_add_f32_e32 v86, v86, v91
	v_cvt_i32_f32_e32 v91, v92
	v_exp_f32_e32 v87, v87
	v_cvt_i32_f32_e32 v92, v94
	v_ldexp_f32 v88, v88, v93
	v_exp_f32_e32 v86, v86
	s_delay_alu instid0(TRANS32_DEP_2) | instid1(VALU_DEP_2)
	v_ldexp_f32 v87, v87, v92
	s_delay_alu instid0(TRANS32_DEP_1) | instskip(SKIP_1) | instid1(VALU_DEP_1)
	v_ldexp_f32 v86, v86, v91
	s_wait_alu 0xfffd
	v_cndmask_b32_e32 v86, 0, v86, vcc_lo
	v_cmp_ngt_f32_e32 vcc_lo, 0xc2ce8ed0, v80
	s_wait_alu 0xfffd
	v_cndmask_b32_e32 v87, 0, v87, vcc_lo
	v_cmp_ngt_f32_e32 vcc_lo, 0xc2ce8ed0, v84
	s_wait_alu 0xfffd
	v_dual_mul_f32 v89, 0x3fb8aa3b, v85 :: v_dual_cndmask_b32 v88, 0, v88
	s_delay_alu instid0(VALU_DEP_1) | instskip(SKIP_2) | instid1(VALU_DEP_2)
	v_fma_f32 v130, 0x3fb8aa3b, v85, -v89
	v_rndne_f32_e32 v131, v89
	v_cmp_ngt_f32_e32 vcc_lo, 0xc2ce8ed0, v85
	v_dual_fmac_f32 v130, 0x32a5705f, v85 :: v_dual_sub_f32 v89, v89, v131
	v_cvt_i32_f32_e32 v94, v131
	s_delay_alu instid0(VALU_DEP_2) | instskip(NEXT) | instid1(VALU_DEP_1)
	v_add_f32_e32 v89, v89, v130
	v_exp_f32_e32 v89, v89
	s_delay_alu instid0(TRANS32_DEP_1) | instskip(SKIP_1) | instid1(VALU_DEP_1)
	v_ldexp_f32 v89, v89, v94
	s_wait_alu 0xfffd
	v_cndmask_b32_e32 v89, 0, v89, vcc_lo
	v_cmp_ngt_f32_e32 vcc_lo, 0xc2ce8ed0, v68
	s_wait_alu 0xfffd
	v_cndmask_b32_e32 v90, 0, v90, vcc_lo
	v_cmp_nlt_f32_e32 vcc_lo, 0x42b17218, v69
	s_wait_alu 0xfffd
	v_cndmask_b32_e32 v86, 0x7f800000, v86, vcc_lo
	v_cmp_nlt_f32_e32 vcc_lo, 0x42b17218, v80
	;; [unrolled: 3-line block ×3, first 2 shown]
	v_cvt_f16_f32_e32 v87, v86
	s_wait_alu 0xfffd
	v_cndmask_b32_e32 v68, 0x7f800000, v90, vcc_lo
	v_cmp_nlt_f32_e32 vcc_lo, 0x42b17218, v84
	s_delay_alu instid0(VALU_DEP_3)
	v_pack_b32_f16 v77, v77, v87
	s_wait_alu 0xfffd
	v_cndmask_b32_e32 v84, 0x7f800000, v88, vcc_lo
	v_cmp_nlt_f32_e32 vcc_lo, 0x42b17218, v85
	v_cvt_f16_f32_e32 v88, v80
	v_cvt_f16_f32_e32 v85, v68
	s_wait_alu 0xfffd
	v_dual_add_f32 v80, v86, v80 :: v_dual_cndmask_b32 v69, 0x7f800000, v89
	v_cvt_f16_f32_e32 v89, v84
	v_pack_b32_f16 v78, v78, v88
	v_and_b32_e32 v85, 0xffff, v85
	s_delay_alu instid0(VALU_DEP_4) | instskip(NEXT) | instid1(VALU_DEP_4)
	v_cvt_f16_f32_e32 v90, v69
	v_pack_b32_f16 v79, v79, v89
	s_delay_alu instid0(VALU_DEP_3) | instskip(NEXT) | instid1(VALU_DEP_3)
	v_mul_u32_u24_e32 v142, 0x10001, v85
	v_pack_b32_f16 v83, v83, v90
	ds_store_2addr_b32 v76, v77, v78 offset1:32
	ds_store_2addr_b32 v76, v79, v83 offset0:64 offset1:96
	s_wait_loadcnt 0x7
	ds_store_b128 v52, v[96:99]
	s_wait_loadcnt 0x6
	ds_store_b128 v54, v[100:103]
	;; [unrolled: 2-line block ×8, first 2 shown]
	s_wait_dscnt 0x0
	s_barrier_signal -1
	s_barrier_wait -1
	global_inv scope:SCOPE_SE
	ds_load_b128 v[76:79], v53
	v_fmac_f32_e32 v75, v67, v81
	v_pk_mul_f16 v67, v66, v141
	v_add_f32_e32 v66, v84, v80
	ds_load_2addr_b64 v[80:83], v39 offset1:32
	ds_load_2addr_b64 v[84:87], v39 offset0:64 offset1:96
	ds_load_2addr_b64 v[88:91], v39 offset0:128 offset1:160
	ds_load_b128 v[92:95], v53 offset:16
	ds_load_2addr_b64 v[96:99], v39 offset0:192 offset1:224
	ds_load_2addr_b64 v[100:103], v128 offset1:32
	ds_load_2addr_b64 v[104:107], v128 offset0:64 offset1:96
	ds_load_2addr_b64 v[108:111], v128 offset0:128 offset1:160
	ds_load_b128 v[112:115], v53 offset:32
	ds_load_b128 v[116:119], v53 offset:48
	ds_load_2addr_b64 v[120:123], v128 offset0:192 offset1:224
	ds_load_2addr_b64 v[124:127], v140 offset1:32
	ds_load_2addr_b64 v[128:131], v140 offset0:64 offset1:96
	ds_load_b128 v[132:135], v53 offset:64
	ds_load_b128 v[136:139], v53 offset:80
	v_pk_mul_f16 v63, v63, v142
	s_wait_dscnt 0xb
	v_lshrrev_b32_e32 v147, 16, v92
	v_and_b32_e32 v92, 0xffff, v92
	v_lshrrev_b32_e32 v148, 16, v93
	v_and_b32_e32 v93, 0xffff, v93
	v_lshrrev_b32_e32 v149, 16, v94
	v_mul_u32_u24_e32 v147, 0x10001, v147
	v_mul_u32_u24_e32 v92, 0x10001, v92
	v_lshrrev_b32_e32 v143, 16, v76
	v_and_b32_e32 v76, 0xffff, v76
	v_lshrrev_b32_e32 v144, 16, v77
	v_and_b32_e32 v77, 0xffff, v77
	v_lshrrev_b32_e32 v145, 16, v78
	v_mul_u32_u24_e32 v143, 0x10001, v143
	v_mul_u32_u24_e32 v76, 0x10001, v76
	v_and_b32_e32 v78, 0xffff, v78
	v_mul_u32_u24_e32 v77, 0x10001, v77
	v_mul_u32_u24_e32 v144, 0x10001, v144
	v_pk_fma_f16 v63, v81, v143, v63
	v_pk_mul_f16 v162, v80, v76
	v_pk_mul_f16 v80, v80, v143
	v_pk_fma_f16 v67, v81, v76, v67
	v_lshrrev_b32_e32 v146, 16, v79
	v_and_b32_e32 v79, 0xffff, v79
	v_pk_fma_f16 v65, v65, v141, v162
	v_pk_fma_f16 v64, v64, v142, v80
	v_mul_u32_u24_e32 v78, 0x10001, v78
	v_mul_u32_u24_e32 v145, 0x10001, v145
	v_pk_fma_f16 v67, v83, v77, v67
	v_pk_fma_f16 v65, v82, v77, v65
	;; [unrolled: 1-line block ×4, first 2 shown]
	v_mul_u32_u24_e32 v79, 0x10001, v79
	v_mul_u32_u24_e32 v146, 0x10001, v146
	v_pk_fma_f16 v65, v84, v78, v65
	v_pk_fma_f16 v64, v84, v145, v64
	;; [unrolled: 1-line block ×4, first 2 shown]
	v_and_b32_e32 v94, 0xffff, v94
	v_pk_fma_f16 v65, v86, v79, v65
	v_pk_fma_f16 v64, v86, v146, v64
	;; [unrolled: 1-line block ×4, first 2 shown]
	v_mul_u32_u24_e32 v93, 0x10001, v93
	v_mul_u32_u24_e32 v148, 0x10001, v148
	v_pk_fma_f16 v65, v88, v92, v65
	v_pk_fma_f16 v64, v88, v147, v64
	;; [unrolled: 1-line block ×4, first 2 shown]
	v_lshrrev_b32_e32 v150, 16, v95
	v_and_b32_e32 v95, 0xffff, v95
	v_mul_u32_u24_e32 v94, 0x10001, v94
	v_mul_u32_u24_e32 v149, 0x10001, v149
	v_pk_fma_f16 v65, v90, v93, v65
	v_pk_fma_f16 v64, v90, v148, v64
	;; [unrolled: 1-line block ×4, first 2 shown]
	s_wait_dscnt 0x6
	v_lshrrev_b32_e32 v151, 16, v112
	v_and_b32_e32 v112, 0xffff, v112
	v_mul_u32_u24_e32 v95, 0x10001, v95
	v_mul_u32_u24_e32 v150, 0x10001, v150
	v_pk_fma_f16 v65, v96, v94, v65
	v_pk_fma_f16 v64, v96, v149, v64
	v_pk_fma_f16 v67, v97, v94, v67
	v_pk_fma_f16 v63, v97, v149, v63
	v_lshrrev_b32_e32 v152, 16, v113
	v_and_b32_e32 v113, 0xffff, v113
	v_mul_u32_u24_e32 v112, 0x10001, v112
	v_mul_u32_u24_e32 v151, 0x10001, v151
	v_pk_fma_f16 v65, v98, v95, v65
	v_pk_fma_f16 v64, v98, v150, v64
	v_pk_fma_f16 v67, v99, v95, v67
	v_pk_fma_f16 v63, v99, v150, v63
	;; [unrolled: 8-line block ×4, first 2 shown]
	s_wait_dscnt 0x5
	v_lshrrev_b32_e32 v155, 16, v116
	v_and_b32_e32 v116, 0xffff, v116
	v_mul_u32_u24_e32 v78, 0x10001, v115
	v_mul_u32_u24_e32 v79, 0x10001, v154
	v_pk_fma_f16 v65, v104, v76, v65
	v_pk_fma_f16 v64, v104, v77, v64
	v_pk_fma_f16 v67, v105, v76, v67
	v_pk_fma_f16 v63, v105, v77, v63
	v_lshrrev_b32_e32 v156, 16, v117
	v_and_b32_e32 v117, 0xffff, v117
	v_mul_u32_u24_e32 v80, 0x10001, v116
	v_mul_u32_u24_e32 v81, 0x10001, v155
	v_pk_fma_f16 v65, v106, v78, v65
	v_pk_fma_f16 v64, v106, v79, v64
	v_pk_fma_f16 v67, v107, v78, v67
	v_pk_fma_f16 v63, v107, v79, v63
	;; [unrolled: 8-line block ×4, first 2 shown]
	s_wait_dscnt 0x1
	v_lshrrev_b32_e32 v159, 16, v132
	v_and_b32_e32 v132, 0xffff, v132
	v_mul_u32_u24_e32 v76, 0x10001, v119
	v_mul_u32_u24_e32 v77, 0x10001, v158
	v_pk_fma_f16 v65, v120, v84, v65
	v_pk_fma_f16 v64, v120, v85, v64
	;; [unrolled: 1-line block ×4, first 2 shown]
	v_lshrrev_b32_e32 v160, 16, v133
	v_and_b32_e32 v133, 0xffff, v133
	v_mul_u32_u24_e32 v78, 0x10001, v132
	v_mul_u32_u24_e32 v79, 0x10001, v159
	v_pk_fma_f16 v65, v122, v76, v65
	v_pk_fma_f16 v64, v122, v77, v64
	v_pk_fma_f16 v67, v123, v76, v67
	v_pk_fma_f16 v63, v123, v77, v63
	v_mul_u32_u24_e32 v80, 0x10001, v133
	v_mul_u32_u24_e32 v76, 0x10001, v160
	v_pk_fma_f16 v65, v124, v78, v65
	v_pk_fma_f16 v64, v124, v79, v64
	;; [unrolled: 1-line block ×4, first 2 shown]
	v_and_b32_e32 v77, 0xffff, v134
	v_lshrrev_b32_e32 v161, 16, v134
	v_pk_fma_f16 v65, v126, v80, v65
	v_pk_fma_f16 v64, v126, v76, v64
	v_pk_fma_f16 v67, v127, v80, v67
	v_pk_fma_f16 v63, v127, v76, v63
	v_mul_u32_u24_e32 v80, 0x10001, v77
	ds_load_2addr_b64 v[76:79], v140 offset0:128 offset1:160
	v_mul_u32_u24_e32 v81, 0x10001, v161
	v_and_b32_e32 v82, 0xffff, v135
	v_lshrrev_b32_e32 v83, 16, v135
	v_pk_fma_f16 v65, v128, v80, v65
	v_pk_fma_f16 v67, v129, v80, v67
	;; [unrolled: 1-line block ×3, first 2 shown]
	v_mul_u32_u24_e32 v80, 0x10001, v82
	v_mul_u32_u24_e32 v84, 0x10001, v83
	v_pk_fma_f16 v63, v129, v81, v63
	s_wait_dscnt 0x1
	v_and_b32_e32 v81, 0xffff, v136
	v_lshrrev_b32_e32 v82, 16, v136
	v_pk_fma_f16 v65, v130, v80, v65
	v_pk_fma_f16 v64, v130, v84, v64
	;; [unrolled: 1-line block ×3, first 2 shown]
	v_mul_u32_u24_e32 v85, 0x10001, v81
	v_mul_u32_u24_e32 v88, 0x10001, v82
	v_pk_fma_f16 v63, v131, v84, v63
	v_and_b32_e32 v84, 0xffff, v137
	v_lshrrev_b32_e32 v86, 16, v137
	ds_load_2addr_b64 v[80:83], v140 offset0:192 offset1:224
	s_wait_dscnt 0x1
	v_pk_fma_f16 v65, v76, v85, v65
	v_pk_fma_f16 v64, v76, v88, v64
	;; [unrolled: 1-line block ×3, first 2 shown]
	v_mul_u32_u24_e32 v76, 0x10001, v84
	v_mul_u32_u24_e32 v89, 0x10001, v86
	ds_load_b128 v[84:87], v53 offset:96
	v_pk_fma_f16 v63, v77, v88, v63
	v_lshrrev_b32_e32 v77, 16, v138
	v_add_nc_u32_e32 v96, 0x1800, v39
	v_and_b32_e32 v90, 0xffff, v138
	v_pk_fma_f16 v65, v78, v76, v65
	v_pk_fma_f16 v64, v78, v89, v64
	;; [unrolled: 1-line block ×4, first 2 shown]
	v_mul_u32_u24_e32 v89, 0x10001, v77
	ds_load_2addr_b64 v[76:79], v96 offset1:32
	v_mul_u32_u24_e32 v88, 0x10001, v90
	v_and_b32_e32 v90, 0xffff, v139
	v_lshrrev_b32_e32 v91, 16, v139
	s_wait_dscnt 0x2
	v_pk_fma_f16 v64, v80, v89, v64
	v_pk_fma_f16 v63, v81, v89, v63
	;; [unrolled: 1-line block ×4, first 2 shown]
	v_mul_u32_u24_e32 v80, 0x10001, v90
	v_mul_u32_u24_e32 v81, 0x10001, v91
	ds_load_b128 v[88:91], v53 offset:112
	s_wait_dscnt 0x2
	v_and_b32_e32 v92, 0xffff, v84
	v_lshrrev_b32_e32 v84, 16, v84
	v_pk_fma_f16 v65, v82, v80, v65
	v_pk_fma_f16 v64, v82, v81, v64
	;; [unrolled: 1-line block ×3, first 2 shown]
	v_mul_u32_u24_e32 v80, 0x10001, v92
	v_mul_u32_u24_e32 v82, 0x10001, v84
	v_and_b32_e32 v84, 0xffff, v85
	ds_load_2addr_b64 v[92:95], v96 offset0:64 offset1:96
	v_pk_fma_f16 v63, v83, v81, v63
	v_lshrrev_b32_e32 v81, 16, v85
	s_wait_dscnt 0x2
	v_pk_fma_f16 v65, v76, v80, v65
	v_mul_u32_u24_e32 v83, 0x10001, v84
	v_pk_fma_f16 v64, v76, v82, v64
	v_pk_fma_f16 v67, v77, v80, v67
	v_mul_u32_u24_e32 v76, 0x10001, v81
	v_pk_fma_f16 v63, v77, v82, v63
	v_and_b32_e32 v77, 0xffff, v86
	v_pk_fma_f16 v65, v78, v83, v65
	v_lshrrev_b32_e32 v80, 16, v86
	v_pk_fma_f16 v64, v78, v76, v64
	v_pk_fma_f16 v67, v79, v83, v67
	;; [unrolled: 1-line block ×3, first 2 shown]
	v_mul_u32_u24_e32 v81, 0x10001, v77
	ds_load_2addr_b64 v[76:79], v96 offset0:128 offset1:160
	v_mul_u32_u24_e32 v80, 0x10001, v80
	v_and_b32_e32 v82, 0xffff, v87
	v_lshrrev_b32_e32 v83, 16, v87
	s_wait_dscnt 0x1
	v_pk_fma_f16 v65, v92, v81, v65
	v_pk_fma_f16 v67, v93, v81, v67
	;; [unrolled: 1-line block ×3, first 2 shown]
	v_mul_u32_u24_e32 v81, 0x10001, v82
	v_mul_u32_u24_e32 v84, 0x10001, v83
	v_pk_fma_f16 v63, v93, v80, v63
	v_and_b32_e32 v80, 0xffff, v88
	v_lshrrev_b32_e32 v82, 16, v88
	v_pk_fma_f16 v65, v94, v81, v65
	v_pk_fma_f16 v64, v94, v84, v64
	;; [unrolled: 1-line block ×3, first 2 shown]
	v_mul_u32_u24_e32 v85, 0x10001, v80
	v_mul_u32_u24_e32 v88, 0x10001, v82
	v_pk_fma_f16 v63, v95, v84, v63
	v_and_b32_e32 v84, 0xffff, v89
	v_lshrrev_b32_e32 v86, 16, v89
	ds_load_2addr_b64 v[80:83], v96 offset0:192 offset1:224
	s_wait_dscnt 0x1
	v_pk_fma_f16 v65, v76, v85, v65
	v_pk_fma_f16 v64, v76, v88, v64
	;; [unrolled: 1-line block ×3, first 2 shown]
	v_mul_u32_u24_e32 v76, 0x10001, v84
	v_mul_u32_u24_e32 v89, 0x10001, v86
	ds_load_b128 v[84:87], v53 offset:128
	v_pk_fma_f16 v63, v77, v88, v63
	v_lshrrev_b32_e32 v77, 16, v90
	v_add_nc_u32_e32 v96, 0x2000, v39
	v_and_b32_e32 v92, 0xffff, v90
	v_pk_fma_f16 v65, v78, v76, v65
	v_pk_fma_f16 v64, v78, v89, v64
	;; [unrolled: 1-line block ×4, first 2 shown]
	v_mul_u32_u24_e32 v89, 0x10001, v77
	ds_load_2addr_b64 v[76:79], v96 offset1:32
	v_mul_u32_u24_e32 v88, 0x10001, v92
	v_and_b32_e32 v90, 0xffff, v91
	v_lshrrev_b32_e32 v91, 16, v91
	s_wait_dscnt 0x2
	v_pk_fma_f16 v64, v80, v89, v64
	v_pk_fma_f16 v63, v81, v89, v63
	v_pk_fma_f16 v65, v80, v88, v65
	v_pk_fma_f16 v67, v81, v88, v67
	v_mul_u32_u24_e32 v80, 0x10001, v90
	v_mul_u32_u24_e32 v81, 0x10001, v91
	ds_load_b128 v[88:91], v53 offset:144
	s_wait_dscnt 0x2
	v_and_b32_e32 v92, 0xffff, v84
	v_lshrrev_b32_e32 v84, 16, v84
	v_pk_fma_f16 v65, v82, v80, v65
	v_pk_fma_f16 v64, v82, v81, v64
	;; [unrolled: 1-line block ×3, first 2 shown]
	v_mul_u32_u24_e32 v80, 0x10001, v92
	v_mul_u32_u24_e32 v82, 0x10001, v84
	v_and_b32_e32 v84, 0xffff, v85
	ds_load_2addr_b64 v[92:95], v96 offset0:64 offset1:96
	v_pk_fma_f16 v63, v83, v81, v63
	v_lshrrev_b32_e32 v81, 16, v85
	s_wait_dscnt 0x2
	v_pk_fma_f16 v65, v76, v80, v65
	v_mul_u32_u24_e32 v83, 0x10001, v84
	v_pk_fma_f16 v64, v76, v82, v64
	v_pk_fma_f16 v67, v77, v80, v67
	v_mul_u32_u24_e32 v76, 0x10001, v81
	v_pk_fma_f16 v63, v77, v82, v63
	v_and_b32_e32 v77, 0xffff, v86
	v_pk_fma_f16 v65, v78, v83, v65
	v_lshrrev_b32_e32 v80, 16, v86
	v_pk_fma_f16 v64, v78, v76, v64
	v_pk_fma_f16 v67, v79, v83, v67
	;; [unrolled: 1-line block ×3, first 2 shown]
	v_mul_u32_u24_e32 v81, 0x10001, v77
	ds_load_2addr_b64 v[76:79], v96 offset0:128 offset1:160
	v_mul_u32_u24_e32 v80, 0x10001, v80
	v_and_b32_e32 v82, 0xffff, v87
	v_lshrrev_b32_e32 v83, 16, v87
	s_wait_dscnt 0x1
	v_pk_fma_f16 v65, v92, v81, v65
	v_pk_fma_f16 v67, v93, v81, v67
	;; [unrolled: 1-line block ×3, first 2 shown]
	v_mul_u32_u24_e32 v81, 0x10001, v82
	v_mul_u32_u24_e32 v84, 0x10001, v83
	v_pk_fma_f16 v63, v93, v80, v63
	v_and_b32_e32 v80, 0xffff, v88
	v_lshrrev_b32_e32 v82, 16, v88
	v_pk_fma_f16 v65, v94, v81, v65
	v_pk_fma_f16 v64, v94, v84, v64
	;; [unrolled: 1-line block ×3, first 2 shown]
	v_mul_u32_u24_e32 v85, 0x10001, v80
	v_mul_u32_u24_e32 v88, 0x10001, v82
	v_pk_fma_f16 v63, v95, v84, v63
	v_and_b32_e32 v84, 0xffff, v89
	v_lshrrev_b32_e32 v86, 16, v89
	ds_load_2addr_b64 v[80:83], v96 offset0:192 offset1:224
	s_wait_dscnt 0x1
	v_pk_fma_f16 v65, v76, v85, v65
	v_pk_fma_f16 v64, v76, v88, v64
	;; [unrolled: 1-line block ×3, first 2 shown]
	v_mul_u32_u24_e32 v76, 0x10001, v84
	v_mul_u32_u24_e32 v89, 0x10001, v86
	ds_load_b128 v[84:87], v53 offset:160
	v_pk_fma_f16 v63, v77, v88, v63
	v_lshrrev_b32_e32 v77, 16, v90
	v_add_nc_u32_e32 v96, 0x2800, v39
	v_and_b32_e32 v92, 0xffff, v90
	v_pk_fma_f16 v65, v78, v76, v65
	v_pk_fma_f16 v64, v78, v89, v64
	;; [unrolled: 1-line block ×4, first 2 shown]
	v_mul_u32_u24_e32 v89, 0x10001, v77
	ds_load_2addr_b64 v[76:79], v96 offset1:32
	v_mul_u32_u24_e32 v88, 0x10001, v92
	v_and_b32_e32 v90, 0xffff, v91
	v_lshrrev_b32_e32 v91, 16, v91
	s_wait_dscnt 0x2
	v_pk_fma_f16 v64, v80, v89, v64
	v_pk_fma_f16 v63, v81, v89, v63
	;; [unrolled: 1-line block ×4, first 2 shown]
	v_mul_u32_u24_e32 v80, 0x10001, v90
	v_mul_u32_u24_e32 v81, 0x10001, v91
	ds_load_b128 v[88:91], v53 offset:176
	s_wait_dscnt 0x2
	v_and_b32_e32 v92, 0xffff, v84
	v_lshrrev_b32_e32 v84, 16, v84
	v_pk_fma_f16 v65, v82, v80, v65
	v_pk_fma_f16 v64, v82, v81, v64
	;; [unrolled: 1-line block ×3, first 2 shown]
	v_mul_u32_u24_e32 v80, 0x10001, v92
	v_mul_u32_u24_e32 v82, 0x10001, v84
	v_and_b32_e32 v84, 0xffff, v85
	ds_load_2addr_b64 v[92:95], v96 offset0:64 offset1:96
	v_pk_fma_f16 v63, v83, v81, v63
	v_lshrrev_b32_e32 v81, 16, v85
	s_wait_dscnt 0x2
	v_pk_fma_f16 v65, v76, v80, v65
	v_mul_u32_u24_e32 v83, 0x10001, v84
	v_pk_fma_f16 v64, v76, v82, v64
	v_pk_fma_f16 v67, v77, v80, v67
	v_mul_u32_u24_e32 v76, 0x10001, v81
	v_pk_fma_f16 v63, v77, v82, v63
	v_and_b32_e32 v77, 0xffff, v86
	v_pk_fma_f16 v65, v78, v83, v65
	v_lshrrev_b32_e32 v80, 16, v86
	v_pk_fma_f16 v64, v78, v76, v64
	v_pk_fma_f16 v67, v79, v83, v67
	v_pk_fma_f16 v63, v79, v76, v63
	v_mul_u32_u24_e32 v81, 0x10001, v77
	ds_load_2addr_b64 v[76:79], v96 offset0:128 offset1:160
	v_mul_u32_u24_e32 v80, 0x10001, v80
	v_and_b32_e32 v82, 0xffff, v87
	v_lshrrev_b32_e32 v83, 16, v87
	s_wait_dscnt 0x1
	v_pk_fma_f16 v65, v92, v81, v65
	v_pk_fma_f16 v67, v93, v81, v67
	;; [unrolled: 1-line block ×3, first 2 shown]
	v_mul_u32_u24_e32 v81, 0x10001, v82
	v_mul_u32_u24_e32 v84, 0x10001, v83
	v_pk_fma_f16 v63, v93, v80, v63
	v_and_b32_e32 v80, 0xffff, v88
	v_lshrrev_b32_e32 v82, 16, v88
	v_pk_fma_f16 v65, v94, v81, v65
	v_pk_fma_f16 v64, v94, v84, v64
	;; [unrolled: 1-line block ×3, first 2 shown]
	v_mul_u32_u24_e32 v85, 0x10001, v80
	v_mul_u32_u24_e32 v88, 0x10001, v82
	v_pk_fma_f16 v63, v95, v84, v63
	v_and_b32_e32 v84, 0xffff, v89
	v_lshrrev_b32_e32 v86, 16, v89
	ds_load_2addr_b64 v[80:83], v96 offset0:192 offset1:224
	s_wait_dscnt 0x1
	v_pk_fma_f16 v65, v76, v85, v65
	v_pk_fma_f16 v64, v76, v88, v64
	;; [unrolled: 1-line block ×3, first 2 shown]
	v_mul_u32_u24_e32 v76, 0x10001, v84
	v_mul_u32_u24_e32 v89, 0x10001, v86
	ds_load_b128 v[84:87], v53 offset:192
	v_pk_fma_f16 v63, v77, v88, v63
	v_lshrrev_b32_e32 v77, 16, v90
	v_add_nc_u32_e32 v96, 0x3000, v39
	v_and_b32_e32 v92, 0xffff, v90
	v_pk_fma_f16 v65, v78, v76, v65
	v_pk_fma_f16 v64, v78, v89, v64
	;; [unrolled: 1-line block ×4, first 2 shown]
	v_mul_u32_u24_e32 v89, 0x10001, v77
	ds_load_2addr_b64 v[76:79], v96 offset1:32
	v_mul_u32_u24_e32 v88, 0x10001, v92
	v_and_b32_e32 v90, 0xffff, v91
	v_lshrrev_b32_e32 v91, 16, v91
	s_wait_dscnt 0x2
	v_pk_fma_f16 v64, v80, v89, v64
	v_pk_fma_f16 v63, v81, v89, v63
	;; [unrolled: 1-line block ×4, first 2 shown]
	v_mul_u32_u24_e32 v80, 0x10001, v90
	v_mul_u32_u24_e32 v81, 0x10001, v91
	ds_load_b128 v[88:91], v53 offset:208
	s_wait_dscnt 0x2
	v_and_b32_e32 v92, 0xffff, v84
	v_lshrrev_b32_e32 v84, 16, v84
	v_pk_fma_f16 v65, v82, v80, v65
	v_pk_fma_f16 v64, v82, v81, v64
	;; [unrolled: 1-line block ×3, first 2 shown]
	v_mul_u32_u24_e32 v80, 0x10001, v92
	v_mul_u32_u24_e32 v82, 0x10001, v84
	v_and_b32_e32 v84, 0xffff, v85
	ds_load_2addr_b64 v[92:95], v96 offset0:64 offset1:96
	v_pk_fma_f16 v63, v83, v81, v63
	v_lshrrev_b32_e32 v81, 16, v85
	s_wait_dscnt 0x2
	v_pk_fma_f16 v65, v76, v80, v65
	v_mul_u32_u24_e32 v83, 0x10001, v84
	v_pk_fma_f16 v64, v76, v82, v64
	v_pk_fma_f16 v67, v77, v80, v67
	v_mul_u32_u24_e32 v76, 0x10001, v81
	v_pk_fma_f16 v63, v77, v82, v63
	v_and_b32_e32 v77, 0xffff, v86
	v_pk_fma_f16 v65, v78, v83, v65
	v_lshrrev_b32_e32 v80, 16, v86
	v_pk_fma_f16 v64, v78, v76, v64
	v_pk_fma_f16 v67, v79, v83, v67
	;; [unrolled: 1-line block ×3, first 2 shown]
	v_mul_u32_u24_e32 v81, 0x10001, v77
	ds_load_2addr_b64 v[76:79], v96 offset0:128 offset1:160
	v_mul_u32_u24_e32 v80, 0x10001, v80
	v_and_b32_e32 v82, 0xffff, v87
	v_lshrrev_b32_e32 v83, 16, v87
	s_wait_dscnt 0x1
	v_pk_fma_f16 v65, v92, v81, v65
	v_pk_fma_f16 v67, v93, v81, v67
	v_pk_fma_f16 v64, v92, v80, v64
	v_mul_u32_u24_e32 v81, 0x10001, v82
	v_mul_u32_u24_e32 v84, 0x10001, v83
	v_pk_fma_f16 v63, v93, v80, v63
	v_and_b32_e32 v80, 0xffff, v88
	v_lshrrev_b32_e32 v82, 16, v88
	v_pk_fma_f16 v65, v94, v81, v65
	v_pk_fma_f16 v64, v94, v84, v64
	;; [unrolled: 1-line block ×3, first 2 shown]
	v_mul_u32_u24_e32 v85, 0x10001, v80
	v_mul_u32_u24_e32 v88, 0x10001, v82
	v_pk_fma_f16 v63, v95, v84, v63
	v_and_b32_e32 v84, 0xffff, v89
	v_lshrrev_b32_e32 v86, 16, v89
	ds_load_2addr_b64 v[80:83], v96 offset0:192 offset1:224
	s_wait_dscnt 0x1
	v_pk_fma_f16 v65, v76, v85, v65
	v_pk_fma_f16 v64, v76, v88, v64
	v_pk_fma_f16 v67, v77, v85, v67
	v_mul_u32_u24_e32 v76, 0x10001, v84
	v_mul_u32_u24_e32 v89, 0x10001, v86
	ds_load_b128 v[84:87], v53 offset:224
	v_pk_fma_f16 v63, v77, v88, v63
	v_lshrrev_b32_e32 v77, 16, v90
	v_add_nc_u32_e32 v96, 0x3800, v39
	v_and_b32_e32 v92, 0xffff, v90
	v_pk_fma_f16 v65, v78, v76, v65
	v_pk_fma_f16 v64, v78, v89, v64
	;; [unrolled: 1-line block ×4, first 2 shown]
	v_mul_u32_u24_e32 v89, 0x10001, v77
	ds_load_2addr_b64 v[76:79], v96 offset1:32
	v_mul_u32_u24_e32 v88, 0x10001, v92
	v_and_b32_e32 v90, 0xffff, v91
	v_lshrrev_b32_e32 v91, 16, v91
	s_wait_dscnt 0x2
	v_pk_fma_f16 v64, v80, v89, v64
	v_pk_fma_f16 v63, v81, v89, v63
	;; [unrolled: 1-line block ×4, first 2 shown]
	v_mul_u32_u24_e32 v80, 0x10001, v90
	v_mul_u32_u24_e32 v81, 0x10001, v91
	ds_load_b128 v[88:91], v53 offset:240
	s_wait_dscnt 0x2
	v_and_b32_e32 v92, 0xffff, v84
	v_lshrrev_b32_e32 v84, 16, v84
	v_pk_fma_f16 v65, v82, v80, v65
	v_pk_fma_f16 v64, v82, v81, v64
	v_pk_fma_f16 v67, v83, v80, v67
	v_mul_u32_u24_e32 v80, 0x10001, v92
	v_mul_u32_u24_e32 v82, 0x10001, v84
	v_and_b32_e32 v84, 0xffff, v85
	ds_load_2addr_b64 v[92:95], v96 offset0:64 offset1:96
	v_pk_fma_f16 v63, v83, v81, v63
	v_lshrrev_b32_e32 v81, 16, v85
	s_wait_dscnt 0x2
	v_pk_fma_f16 v65, v76, v80, v65
	v_mul_u32_u24_e32 v83, 0x10001, v84
	v_pk_fma_f16 v64, v76, v82, v64
	v_pk_fma_f16 v67, v77, v80, v67
	v_mul_u32_u24_e32 v76, 0x10001, v81
	v_pk_fma_f16 v63, v77, v82, v63
	v_and_b32_e32 v77, 0xffff, v86
	v_pk_fma_f16 v65, v78, v83, v65
	v_lshrrev_b32_e32 v80, 16, v86
	v_pk_fma_f16 v64, v78, v76, v64
	v_pk_fma_f16 v67, v79, v83, v67
	;; [unrolled: 1-line block ×3, first 2 shown]
	v_mul_u32_u24_e32 v81, 0x10001, v77
	ds_load_2addr_b64 v[76:79], v96 offset0:128 offset1:160
	v_mul_u32_u24_e32 v80, 0x10001, v80
	v_and_b32_e32 v82, 0xffff, v87
	v_lshrrev_b32_e32 v83, 16, v87
	s_wait_dscnt 0x1
	v_pk_fma_f16 v65, v92, v81, v65
	v_pk_fma_f16 v67, v93, v81, v67
	v_pk_fma_f16 v64, v92, v80, v64
	v_mul_u32_u24_e32 v81, 0x10001, v82
	v_mul_u32_u24_e32 v84, 0x10001, v83
	v_pk_fma_f16 v63, v93, v80, v63
	v_and_b32_e32 v80, 0xffff, v88
	v_lshrrev_b32_e32 v82, 16, v88
	v_pk_fma_f16 v65, v94, v81, v65
	v_pk_fma_f16 v64, v94, v84, v64
	;; [unrolled: 1-line block ×3, first 2 shown]
	v_mul_u32_u24_e32 v85, 0x10001, v80
	v_mul_u32_u24_e32 v88, 0x10001, v82
	v_pk_fma_f16 v63, v95, v84, v63
	v_and_b32_e32 v84, 0xffff, v89
	v_lshrrev_b32_e32 v86, 16, v89
	ds_load_2addr_b64 v[80:83], v96 offset0:192 offset1:224
	s_wait_dscnt 0x1
	v_pk_fma_f16 v65, v76, v85, v65
	v_pk_fma_f16 v64, v76, v88, v64
	;; [unrolled: 1-line block ×3, first 2 shown]
	v_mul_u32_u24_e32 v76, 0x10001, v84
	v_mul_u32_u24_e32 v89, 0x10001, v86
	ds_load_b128 v[84:87], v53 offset:256
	v_pk_fma_f16 v63, v77, v88, v63
	v_lshrrev_b32_e32 v77, 16, v90
	v_add_nc_u32_e32 v96, 0x4000, v39
	v_and_b32_e32 v92, 0xffff, v90
	v_pk_fma_f16 v65, v78, v76, v65
	v_pk_fma_f16 v64, v78, v89, v64
	;; [unrolled: 1-line block ×4, first 2 shown]
	v_mul_u32_u24_e32 v89, 0x10001, v77
	ds_load_2addr_b64 v[76:79], v96 offset1:32
	v_mul_u32_u24_e32 v88, 0x10001, v92
	v_and_b32_e32 v90, 0xffff, v91
	v_lshrrev_b32_e32 v91, 16, v91
	s_wait_dscnt 0x2
	v_pk_fma_f16 v64, v80, v89, v64
	v_pk_fma_f16 v63, v81, v89, v63
	;; [unrolled: 1-line block ×4, first 2 shown]
	v_mul_u32_u24_e32 v80, 0x10001, v90
	v_mul_u32_u24_e32 v81, 0x10001, v91
	ds_load_b128 v[88:91], v53 offset:272
	s_wait_dscnt 0x2
	v_and_b32_e32 v92, 0xffff, v84
	v_lshrrev_b32_e32 v84, 16, v84
	v_pk_fma_f16 v65, v82, v80, v65
	v_pk_fma_f16 v64, v82, v81, v64
	v_pk_fma_f16 v67, v83, v80, v67
	v_mul_u32_u24_e32 v80, 0x10001, v92
	v_mul_u32_u24_e32 v82, 0x10001, v84
	v_and_b32_e32 v84, 0xffff, v85
	ds_load_2addr_b64 v[92:95], v96 offset0:64 offset1:96
	v_pk_fma_f16 v63, v83, v81, v63
	v_lshrrev_b32_e32 v81, 16, v85
	s_wait_dscnt 0x2
	v_pk_fma_f16 v65, v76, v80, v65
	v_mul_u32_u24_e32 v83, 0x10001, v84
	v_pk_fma_f16 v64, v76, v82, v64
	v_pk_fma_f16 v67, v77, v80, v67
	v_mul_u32_u24_e32 v76, 0x10001, v81
	v_pk_fma_f16 v63, v77, v82, v63
	v_and_b32_e32 v77, 0xffff, v86
	v_pk_fma_f16 v65, v78, v83, v65
	v_lshrrev_b32_e32 v80, 16, v86
	v_pk_fma_f16 v64, v78, v76, v64
	v_pk_fma_f16 v67, v79, v83, v67
	;; [unrolled: 1-line block ×3, first 2 shown]
	v_mul_u32_u24_e32 v81, 0x10001, v77
	ds_load_2addr_b64 v[76:79], v96 offset0:128 offset1:160
	v_mul_u32_u24_e32 v80, 0x10001, v80
	v_and_b32_e32 v82, 0xffff, v87
	v_lshrrev_b32_e32 v83, 16, v87
	s_wait_dscnt 0x1
	v_pk_fma_f16 v65, v92, v81, v65
	v_pk_fma_f16 v67, v93, v81, v67
	v_pk_fma_f16 v64, v92, v80, v64
	v_mul_u32_u24_e32 v81, 0x10001, v82
	v_mul_u32_u24_e32 v84, 0x10001, v83
	v_pk_fma_f16 v63, v93, v80, v63
	v_and_b32_e32 v80, 0xffff, v88
	v_lshrrev_b32_e32 v82, 16, v88
	v_pk_fma_f16 v65, v94, v81, v65
	v_pk_fma_f16 v64, v94, v84, v64
	;; [unrolled: 1-line block ×3, first 2 shown]
	v_mul_u32_u24_e32 v85, 0x10001, v80
	v_mul_u32_u24_e32 v88, 0x10001, v82
	v_pk_fma_f16 v63, v95, v84, v63
	v_and_b32_e32 v84, 0xffff, v89
	v_lshrrev_b32_e32 v86, 16, v89
	ds_load_2addr_b64 v[80:83], v96 offset0:192 offset1:224
	s_wait_dscnt 0x1
	v_pk_fma_f16 v65, v76, v85, v65
	v_pk_fma_f16 v64, v76, v88, v64
	;; [unrolled: 1-line block ×3, first 2 shown]
	v_mul_u32_u24_e32 v76, 0x10001, v84
	v_mul_u32_u24_e32 v89, 0x10001, v86
	ds_load_b128 v[84:87], v53 offset:288
	v_pk_fma_f16 v63, v77, v88, v63
	v_lshrrev_b32_e32 v77, 16, v90
	v_add_nc_u32_e32 v96, 0x4800, v39
	v_and_b32_e32 v92, 0xffff, v90
	v_pk_fma_f16 v65, v78, v76, v65
	v_pk_fma_f16 v64, v78, v89, v64
	;; [unrolled: 1-line block ×4, first 2 shown]
	v_mul_u32_u24_e32 v89, 0x10001, v77
	ds_load_2addr_b64 v[76:79], v96 offset1:32
	v_mul_u32_u24_e32 v88, 0x10001, v92
	v_and_b32_e32 v90, 0xffff, v91
	v_lshrrev_b32_e32 v91, 16, v91
	s_wait_dscnt 0x2
	v_pk_fma_f16 v64, v80, v89, v64
	v_pk_fma_f16 v63, v81, v89, v63
	v_pk_fma_f16 v65, v80, v88, v65
	v_pk_fma_f16 v67, v81, v88, v67
	v_mul_u32_u24_e32 v80, 0x10001, v90
	v_mul_u32_u24_e32 v81, 0x10001, v91
	ds_load_b128 v[88:91], v53 offset:304
	s_wait_dscnt 0x2
	v_and_b32_e32 v92, 0xffff, v84
	v_lshrrev_b32_e32 v84, 16, v84
	v_pk_fma_f16 v65, v82, v80, v65
	v_pk_fma_f16 v64, v82, v81, v64
	;; [unrolled: 1-line block ×3, first 2 shown]
	v_mul_u32_u24_e32 v80, 0x10001, v92
	v_mul_u32_u24_e32 v82, 0x10001, v84
	v_and_b32_e32 v84, 0xffff, v85
	ds_load_2addr_b64 v[92:95], v96 offset0:64 offset1:96
	v_pk_fma_f16 v63, v83, v81, v63
	v_lshrrev_b32_e32 v81, 16, v85
	s_wait_dscnt 0x2
	v_pk_fma_f16 v65, v76, v80, v65
	v_mul_u32_u24_e32 v83, 0x10001, v84
	v_pk_fma_f16 v64, v76, v82, v64
	v_pk_fma_f16 v67, v77, v80, v67
	v_mul_u32_u24_e32 v76, 0x10001, v81
	v_pk_fma_f16 v63, v77, v82, v63
	v_and_b32_e32 v77, 0xffff, v86
	v_pk_fma_f16 v65, v78, v83, v65
	v_lshrrev_b32_e32 v80, 16, v86
	v_pk_fma_f16 v64, v78, v76, v64
	v_pk_fma_f16 v67, v79, v83, v67
	;; [unrolled: 1-line block ×3, first 2 shown]
	v_mul_u32_u24_e32 v81, 0x10001, v77
	ds_load_2addr_b64 v[76:79], v96 offset0:128 offset1:160
	v_mul_u32_u24_e32 v80, 0x10001, v80
	v_and_b32_e32 v82, 0xffff, v87
	v_lshrrev_b32_e32 v83, 16, v87
	s_wait_dscnt 0x1
	v_pk_fma_f16 v65, v92, v81, v65
	v_pk_fma_f16 v67, v93, v81, v67
	;; [unrolled: 1-line block ×3, first 2 shown]
	v_mul_u32_u24_e32 v81, 0x10001, v82
	v_mul_u32_u24_e32 v84, 0x10001, v83
	v_pk_fma_f16 v63, v93, v80, v63
	v_and_b32_e32 v80, 0xffff, v88
	v_lshrrev_b32_e32 v82, 16, v88
	v_pk_fma_f16 v65, v94, v81, v65
	v_pk_fma_f16 v64, v94, v84, v64
	v_pk_fma_f16 v67, v95, v81, v67
	v_mul_u32_u24_e32 v85, 0x10001, v80
	v_mul_u32_u24_e32 v88, 0x10001, v82
	v_pk_fma_f16 v63, v95, v84, v63
	v_and_b32_e32 v84, 0xffff, v89
	v_lshrrev_b32_e32 v86, 16, v89
	ds_load_2addr_b64 v[80:83], v96 offset0:192 offset1:224
	s_wait_dscnt 0x1
	v_pk_fma_f16 v65, v76, v85, v65
	v_pk_fma_f16 v64, v76, v88, v64
	;; [unrolled: 1-line block ×3, first 2 shown]
	v_mul_u32_u24_e32 v76, 0x10001, v84
	v_mul_u32_u24_e32 v89, 0x10001, v86
	ds_load_b128 v[84:87], v53 offset:320
	v_pk_fma_f16 v63, v77, v88, v63
	v_lshrrev_b32_e32 v77, 16, v90
	v_add_nc_u32_e32 v96, 0x5000, v39
	v_and_b32_e32 v92, 0xffff, v90
	v_pk_fma_f16 v65, v78, v76, v65
	v_pk_fma_f16 v64, v78, v89, v64
	;; [unrolled: 1-line block ×4, first 2 shown]
	v_mul_u32_u24_e32 v89, 0x10001, v77
	ds_load_2addr_b64 v[76:79], v96 offset1:32
	v_mul_u32_u24_e32 v88, 0x10001, v92
	v_and_b32_e32 v90, 0xffff, v91
	v_lshrrev_b32_e32 v91, 16, v91
	s_wait_dscnt 0x2
	v_pk_fma_f16 v64, v80, v89, v64
	v_pk_fma_f16 v63, v81, v89, v63
	;; [unrolled: 1-line block ×4, first 2 shown]
	v_mul_u32_u24_e32 v80, 0x10001, v90
	v_mul_u32_u24_e32 v81, 0x10001, v91
	ds_load_b128 v[88:91], v53 offset:336
	s_wait_dscnt 0x2
	v_and_b32_e32 v92, 0xffff, v84
	v_lshrrev_b32_e32 v84, 16, v84
	v_pk_fma_f16 v65, v82, v80, v65
	v_pk_fma_f16 v64, v82, v81, v64
	;; [unrolled: 1-line block ×3, first 2 shown]
	v_mul_u32_u24_e32 v80, 0x10001, v92
	v_mul_u32_u24_e32 v82, 0x10001, v84
	v_and_b32_e32 v84, 0xffff, v85
	ds_load_2addr_b64 v[92:95], v96 offset0:64 offset1:96
	v_pk_fma_f16 v63, v83, v81, v63
	v_lshrrev_b32_e32 v81, 16, v85
	s_wait_dscnt 0x2
	v_pk_fma_f16 v65, v76, v80, v65
	v_mul_u32_u24_e32 v83, 0x10001, v84
	v_pk_fma_f16 v64, v76, v82, v64
	v_pk_fma_f16 v67, v77, v80, v67
	v_mul_u32_u24_e32 v76, 0x10001, v81
	v_pk_fma_f16 v63, v77, v82, v63
	v_and_b32_e32 v77, 0xffff, v86
	v_pk_fma_f16 v65, v78, v83, v65
	v_lshrrev_b32_e32 v80, 16, v86
	v_pk_fma_f16 v64, v78, v76, v64
	v_pk_fma_f16 v67, v79, v83, v67
	;; [unrolled: 1-line block ×3, first 2 shown]
	v_mul_u32_u24_e32 v81, 0x10001, v77
	ds_load_2addr_b64 v[76:79], v96 offset0:128 offset1:160
	v_mul_u32_u24_e32 v80, 0x10001, v80
	v_and_b32_e32 v82, 0xffff, v87
	v_lshrrev_b32_e32 v83, 16, v87
	s_wait_dscnt 0x1
	v_pk_fma_f16 v65, v92, v81, v65
	v_pk_fma_f16 v67, v93, v81, v67
	;; [unrolled: 1-line block ×3, first 2 shown]
	v_mul_u32_u24_e32 v81, 0x10001, v82
	v_mul_u32_u24_e32 v84, 0x10001, v83
	v_pk_fma_f16 v63, v93, v80, v63
	v_and_b32_e32 v80, 0xffff, v88
	v_lshrrev_b32_e32 v82, 16, v88
	v_pk_fma_f16 v65, v94, v81, v65
	v_pk_fma_f16 v64, v94, v84, v64
	;; [unrolled: 1-line block ×3, first 2 shown]
	v_mul_u32_u24_e32 v85, 0x10001, v80
	v_mul_u32_u24_e32 v88, 0x10001, v82
	v_pk_fma_f16 v63, v95, v84, v63
	v_and_b32_e32 v84, 0xffff, v89
	v_lshrrev_b32_e32 v86, 16, v89
	ds_load_2addr_b64 v[80:83], v96 offset0:192 offset1:224
	s_wait_dscnt 0x1
	v_pk_fma_f16 v65, v76, v85, v65
	v_pk_fma_f16 v64, v76, v88, v64
	;; [unrolled: 1-line block ×3, first 2 shown]
	v_mul_u32_u24_e32 v76, 0x10001, v84
	v_mul_u32_u24_e32 v89, 0x10001, v86
	ds_load_b128 v[84:87], v53 offset:352
	v_pk_fma_f16 v63, v77, v88, v63
	v_lshrrev_b32_e32 v77, 16, v90
	v_add_nc_u32_e32 v96, 0x5800, v39
	v_and_b32_e32 v92, 0xffff, v90
	v_pk_fma_f16 v65, v78, v76, v65
	v_pk_fma_f16 v64, v78, v89, v64
	;; [unrolled: 1-line block ×4, first 2 shown]
	v_mul_u32_u24_e32 v89, 0x10001, v77
	ds_load_2addr_b64 v[76:79], v96 offset1:32
	v_mul_u32_u24_e32 v88, 0x10001, v92
	v_and_b32_e32 v90, 0xffff, v91
	v_lshrrev_b32_e32 v91, 16, v91
	s_wait_dscnt 0x2
	v_pk_fma_f16 v64, v80, v89, v64
	v_pk_fma_f16 v63, v81, v89, v63
	v_pk_fma_f16 v65, v80, v88, v65
	v_pk_fma_f16 v67, v81, v88, v67
	v_mul_u32_u24_e32 v80, 0x10001, v90
	v_mul_u32_u24_e32 v81, 0x10001, v91
	ds_load_b128 v[88:91], v53 offset:368
	s_wait_dscnt 0x2
	v_and_b32_e32 v92, 0xffff, v84
	v_lshrrev_b32_e32 v84, 16, v84
	v_pk_fma_f16 v65, v82, v80, v65
	v_pk_fma_f16 v64, v82, v81, v64
	;; [unrolled: 1-line block ×3, first 2 shown]
	v_mul_u32_u24_e32 v80, 0x10001, v92
	v_mul_u32_u24_e32 v82, 0x10001, v84
	v_and_b32_e32 v84, 0xffff, v85
	ds_load_2addr_b64 v[92:95], v96 offset0:64 offset1:96
	v_pk_fma_f16 v63, v83, v81, v63
	v_lshrrev_b32_e32 v81, 16, v85
	s_wait_dscnt 0x2
	v_pk_fma_f16 v65, v76, v80, v65
	v_mul_u32_u24_e32 v83, 0x10001, v84
	v_pk_fma_f16 v64, v76, v82, v64
	v_pk_fma_f16 v67, v77, v80, v67
	v_mul_u32_u24_e32 v76, 0x10001, v81
	v_pk_fma_f16 v63, v77, v82, v63
	v_and_b32_e32 v77, 0xffff, v86
	v_pk_fma_f16 v65, v78, v83, v65
	v_lshrrev_b32_e32 v80, 16, v86
	v_pk_fma_f16 v64, v78, v76, v64
	v_pk_fma_f16 v67, v79, v83, v67
	;; [unrolled: 1-line block ×3, first 2 shown]
	v_mul_u32_u24_e32 v81, 0x10001, v77
	ds_load_2addr_b64 v[76:79], v96 offset0:128 offset1:160
	v_mul_u32_u24_e32 v80, 0x10001, v80
	v_and_b32_e32 v82, 0xffff, v87
	v_lshrrev_b32_e32 v83, 16, v87
	s_wait_dscnt 0x1
	v_pk_fma_f16 v65, v92, v81, v65
	v_pk_fma_f16 v67, v93, v81, v67
	;; [unrolled: 1-line block ×3, first 2 shown]
	v_mul_u32_u24_e32 v81, 0x10001, v82
	v_mul_u32_u24_e32 v84, 0x10001, v83
	v_pk_fma_f16 v63, v93, v80, v63
	v_and_b32_e32 v80, 0xffff, v88
	v_lshrrev_b32_e32 v82, 16, v88
	v_pk_fma_f16 v65, v94, v81, v65
	v_pk_fma_f16 v64, v94, v84, v64
	;; [unrolled: 1-line block ×3, first 2 shown]
	v_mul_u32_u24_e32 v85, 0x10001, v80
	v_mul_u32_u24_e32 v88, 0x10001, v82
	v_pk_fma_f16 v63, v95, v84, v63
	v_and_b32_e32 v84, 0xffff, v89
	v_lshrrev_b32_e32 v86, 16, v89
	ds_load_2addr_b64 v[80:83], v96 offset0:192 offset1:224
	s_wait_dscnt 0x1
	v_pk_fma_f16 v65, v76, v85, v65
	v_pk_fma_f16 v64, v76, v88, v64
	;; [unrolled: 1-line block ×3, first 2 shown]
	v_mul_u32_u24_e32 v76, 0x10001, v84
	v_mul_u32_u24_e32 v89, 0x10001, v86
	ds_load_b128 v[84:87], v53 offset:384
	v_pk_fma_f16 v63, v77, v88, v63
	v_lshrrev_b32_e32 v77, 16, v90
	v_add_nc_u32_e32 v96, 0x6000, v39
	v_and_b32_e32 v92, 0xffff, v90
	v_pk_fma_f16 v65, v78, v76, v65
	v_pk_fma_f16 v64, v78, v89, v64
	;; [unrolled: 1-line block ×4, first 2 shown]
	v_mul_u32_u24_e32 v89, 0x10001, v77
	ds_load_2addr_b64 v[76:79], v96 offset1:32
	v_mul_u32_u24_e32 v88, 0x10001, v92
	v_and_b32_e32 v90, 0xffff, v91
	v_lshrrev_b32_e32 v91, 16, v91
	s_wait_dscnt 0x2
	v_pk_fma_f16 v64, v80, v89, v64
	v_pk_fma_f16 v63, v81, v89, v63
	;; [unrolled: 1-line block ×4, first 2 shown]
	v_mul_u32_u24_e32 v80, 0x10001, v90
	v_mul_u32_u24_e32 v81, 0x10001, v91
	ds_load_b128 v[88:91], v53 offset:400
	s_wait_dscnt 0x2
	v_and_b32_e32 v92, 0xffff, v84
	v_lshrrev_b32_e32 v84, 16, v84
	v_pk_fma_f16 v65, v82, v80, v65
	v_pk_fma_f16 v64, v82, v81, v64
	;; [unrolled: 1-line block ×3, first 2 shown]
	v_mul_u32_u24_e32 v80, 0x10001, v92
	v_mul_u32_u24_e32 v82, 0x10001, v84
	v_and_b32_e32 v84, 0xffff, v85
	ds_load_2addr_b64 v[92:95], v96 offset0:64 offset1:96
	v_pk_fma_f16 v63, v83, v81, v63
	v_lshrrev_b32_e32 v81, 16, v85
	s_wait_dscnt 0x2
	v_pk_fma_f16 v65, v76, v80, v65
	v_mul_u32_u24_e32 v83, 0x10001, v84
	v_pk_fma_f16 v64, v76, v82, v64
	v_pk_fma_f16 v67, v77, v80, v67
	v_mul_u32_u24_e32 v76, 0x10001, v81
	v_pk_fma_f16 v63, v77, v82, v63
	v_and_b32_e32 v77, 0xffff, v86
	v_pk_fma_f16 v65, v78, v83, v65
	v_lshrrev_b32_e32 v80, 16, v86
	v_pk_fma_f16 v64, v78, v76, v64
	v_pk_fma_f16 v67, v79, v83, v67
	;; [unrolled: 1-line block ×3, first 2 shown]
	v_mul_u32_u24_e32 v81, 0x10001, v77
	ds_load_2addr_b64 v[76:79], v96 offset0:128 offset1:160
	v_mul_u32_u24_e32 v80, 0x10001, v80
	v_and_b32_e32 v82, 0xffff, v87
	v_lshrrev_b32_e32 v83, 16, v87
	s_wait_dscnt 0x1
	v_pk_fma_f16 v65, v92, v81, v65
	v_pk_fma_f16 v67, v93, v81, v67
	;; [unrolled: 1-line block ×3, first 2 shown]
	v_mul_u32_u24_e32 v81, 0x10001, v82
	v_mul_u32_u24_e32 v84, 0x10001, v83
	v_pk_fma_f16 v63, v93, v80, v63
	v_and_b32_e32 v80, 0xffff, v88
	v_lshrrev_b32_e32 v82, 16, v88
	v_pk_fma_f16 v65, v94, v81, v65
	v_pk_fma_f16 v64, v94, v84, v64
	v_pk_fma_f16 v67, v95, v81, v67
	v_mul_u32_u24_e32 v85, 0x10001, v80
	v_mul_u32_u24_e32 v88, 0x10001, v82
	v_pk_fma_f16 v63, v95, v84, v63
	v_and_b32_e32 v84, 0xffff, v89
	v_lshrrev_b32_e32 v86, 16, v89
	ds_load_2addr_b64 v[80:83], v96 offset0:192 offset1:224
	s_wait_dscnt 0x1
	v_pk_fma_f16 v65, v76, v85, v65
	v_pk_fma_f16 v64, v76, v88, v64
	;; [unrolled: 1-line block ×3, first 2 shown]
	v_mul_u32_u24_e32 v76, 0x10001, v84
	v_mul_u32_u24_e32 v89, 0x10001, v86
	ds_load_b128 v[84:87], v53 offset:416
	v_pk_fma_f16 v63, v77, v88, v63
	v_lshrrev_b32_e32 v77, 16, v90
	v_add_nc_u32_e32 v96, 0x6800, v39
	v_and_b32_e32 v92, 0xffff, v90
	v_pk_fma_f16 v65, v78, v76, v65
	v_pk_fma_f16 v64, v78, v89, v64
	;; [unrolled: 1-line block ×4, first 2 shown]
	v_mul_u32_u24_e32 v89, 0x10001, v77
	ds_load_2addr_b64 v[76:79], v96 offset1:32
	v_mul_u32_u24_e32 v88, 0x10001, v92
	v_and_b32_e32 v90, 0xffff, v91
	v_lshrrev_b32_e32 v91, 16, v91
	s_wait_dscnt 0x2
	v_pk_fma_f16 v64, v80, v89, v64
	v_pk_fma_f16 v63, v81, v89, v63
	;; [unrolled: 1-line block ×4, first 2 shown]
	v_mul_u32_u24_e32 v80, 0x10001, v90
	v_mul_u32_u24_e32 v81, 0x10001, v91
	ds_load_b128 v[88:91], v53 offset:432
	s_wait_dscnt 0x2
	v_and_b32_e32 v92, 0xffff, v84
	v_lshrrev_b32_e32 v84, 16, v84
	v_pk_fma_f16 v65, v82, v80, v65
	v_pk_fma_f16 v64, v82, v81, v64
	;; [unrolled: 1-line block ×3, first 2 shown]
	v_mul_u32_u24_e32 v80, 0x10001, v92
	v_mul_u32_u24_e32 v82, 0x10001, v84
	v_and_b32_e32 v84, 0xffff, v85
	ds_load_2addr_b64 v[92:95], v96 offset0:64 offset1:96
	v_pk_fma_f16 v63, v83, v81, v63
	v_lshrrev_b32_e32 v81, 16, v85
	s_wait_dscnt 0x2
	v_pk_fma_f16 v65, v76, v80, v65
	v_mul_u32_u24_e32 v83, 0x10001, v84
	v_pk_fma_f16 v64, v76, v82, v64
	v_pk_fma_f16 v67, v77, v80, v67
	v_mul_u32_u24_e32 v76, 0x10001, v81
	v_pk_fma_f16 v63, v77, v82, v63
	v_and_b32_e32 v77, 0xffff, v86
	v_pk_fma_f16 v65, v78, v83, v65
	v_lshrrev_b32_e32 v80, 16, v86
	v_pk_fma_f16 v64, v78, v76, v64
	v_pk_fma_f16 v67, v79, v83, v67
	;; [unrolled: 1-line block ×3, first 2 shown]
	v_mul_u32_u24_e32 v81, 0x10001, v77
	ds_load_2addr_b64 v[76:79], v96 offset0:128 offset1:160
	v_mul_u32_u24_e32 v80, 0x10001, v80
	v_and_b32_e32 v82, 0xffff, v87
	v_lshrrev_b32_e32 v83, 16, v87
	s_wait_dscnt 0x1
	v_pk_fma_f16 v65, v92, v81, v65
	v_pk_fma_f16 v67, v93, v81, v67
	;; [unrolled: 1-line block ×3, first 2 shown]
	v_mul_u32_u24_e32 v81, 0x10001, v82
	v_mul_u32_u24_e32 v84, 0x10001, v83
	v_pk_fma_f16 v63, v93, v80, v63
	v_and_b32_e32 v80, 0xffff, v88
	v_lshrrev_b32_e32 v82, 16, v88
	v_pk_fma_f16 v65, v94, v81, v65
	v_pk_fma_f16 v64, v94, v84, v64
	;; [unrolled: 1-line block ×3, first 2 shown]
	v_mul_u32_u24_e32 v85, 0x10001, v80
	v_mul_u32_u24_e32 v88, 0x10001, v82
	v_pk_fma_f16 v63, v95, v84, v63
	v_and_b32_e32 v84, 0xffff, v89
	v_lshrrev_b32_e32 v86, 16, v89
	ds_load_2addr_b64 v[80:83], v96 offset0:192 offset1:224
	s_wait_dscnt 0x1
	v_pk_fma_f16 v65, v76, v85, v65
	v_pk_fma_f16 v64, v76, v88, v64
	;; [unrolled: 1-line block ×3, first 2 shown]
	v_mul_u32_u24_e32 v76, 0x10001, v84
	v_mul_u32_u24_e32 v89, 0x10001, v86
	ds_load_b128 v[84:87], v53 offset:448
	v_pk_fma_f16 v63, v77, v88, v63
	v_lshrrev_b32_e32 v77, 16, v90
	v_add_nc_u32_e32 v96, 0x7000, v39
	v_and_b32_e32 v92, 0xffff, v90
	v_pk_fma_f16 v65, v78, v76, v65
	v_pk_fma_f16 v64, v78, v89, v64
	v_pk_fma_f16 v67, v79, v76, v67
	v_pk_fma_f16 v63, v79, v89, v63
	v_mul_u32_u24_e32 v89, 0x10001, v77
	ds_load_2addr_b64 v[76:79], v96 offset1:32
	v_mul_u32_u24_e32 v88, 0x10001, v92
	v_and_b32_e32 v90, 0xffff, v91
	v_lshrrev_b32_e32 v91, 16, v91
	s_wait_dscnt 0x2
	v_pk_fma_f16 v64, v80, v89, v64
	v_pk_fma_f16 v63, v81, v89, v63
	;; [unrolled: 1-line block ×4, first 2 shown]
	v_mul_u32_u24_e32 v80, 0x10001, v90
	v_mul_u32_u24_e32 v81, 0x10001, v91
	ds_load_b128 v[88:91], v53 offset:464
	s_wait_dscnt 0x2
	v_and_b32_e32 v92, 0xffff, v84
	v_lshrrev_b32_e32 v84, 16, v84
	v_pk_fma_f16 v65, v82, v80, v65
	v_pk_fma_f16 v64, v82, v81, v64
	;; [unrolled: 1-line block ×3, first 2 shown]
	v_mul_u32_u24_e32 v80, 0x10001, v92
	v_mul_u32_u24_e32 v82, 0x10001, v84
	v_and_b32_e32 v84, 0xffff, v85
	ds_load_2addr_b64 v[92:95], v96 offset0:64 offset1:96
	v_pk_fma_f16 v63, v83, v81, v63
	v_lshrrev_b32_e32 v81, 16, v85
	s_wait_dscnt 0x2
	v_pk_fma_f16 v65, v76, v80, v65
	v_mul_u32_u24_e32 v83, 0x10001, v84
	v_pk_fma_f16 v64, v76, v82, v64
	v_pk_fma_f16 v67, v77, v80, v67
	v_mul_u32_u24_e32 v76, 0x10001, v81
	v_pk_fma_f16 v63, v77, v82, v63
	v_and_b32_e32 v77, 0xffff, v86
	v_pk_fma_f16 v65, v78, v83, v65
	v_lshrrev_b32_e32 v80, 16, v86
	v_pk_fma_f16 v64, v78, v76, v64
	v_pk_fma_f16 v67, v79, v83, v67
	;; [unrolled: 1-line block ×3, first 2 shown]
	v_mul_u32_u24_e32 v81, 0x10001, v77
	ds_load_2addr_b64 v[76:79], v96 offset0:128 offset1:160
	v_mul_u32_u24_e32 v80, 0x10001, v80
	v_and_b32_e32 v82, 0xffff, v87
	v_lshrrev_b32_e32 v83, 16, v87
	s_wait_dscnt 0x1
	v_pk_fma_f16 v65, v92, v81, v65
	v_pk_fma_f16 v67, v93, v81, v67
	;; [unrolled: 1-line block ×3, first 2 shown]
	v_mul_u32_u24_e32 v81, 0x10001, v82
	v_mul_u32_u24_e32 v84, 0x10001, v83
	v_pk_fma_f16 v63, v93, v80, v63
	v_and_b32_e32 v80, 0xffff, v88
	v_lshrrev_b32_e32 v82, 16, v88
	v_pk_fma_f16 v65, v94, v81, v65
	v_pk_fma_f16 v64, v94, v84, v64
	;; [unrolled: 1-line block ×3, first 2 shown]
	v_mul_u32_u24_e32 v85, 0x10001, v80
	v_mul_u32_u24_e32 v88, 0x10001, v82
	v_pk_fma_f16 v63, v95, v84, v63
	v_and_b32_e32 v84, 0xffff, v89
	v_lshrrev_b32_e32 v86, 16, v89
	ds_load_2addr_b64 v[80:83], v96 offset0:192 offset1:224
	s_wait_dscnt 0x1
	v_pk_fma_f16 v65, v76, v85, v65
	v_pk_fma_f16 v64, v76, v88, v64
	;; [unrolled: 1-line block ×3, first 2 shown]
	v_mul_u32_u24_e32 v76, 0x10001, v84
	v_mul_u32_u24_e32 v89, 0x10001, v86
	ds_load_b128 v[84:87], v53 offset:480
	v_and_b32_e32 v92, 0xffff, v90
	v_pk_fma_f16 v63, v77, v88, v63
	v_lshrrev_b32_e32 v77, 16, v90
	v_add_nc_u32_e32 v96, 0x7800, v39
	v_pk_fma_f16 v65, v78, v76, v65
	v_pk_fma_f16 v64, v78, v89, v64
	v_mul_u32_u24_e32 v88, 0x10001, v92
	v_pk_fma_f16 v67, v79, v76, v67
	v_pk_fma_f16 v63, v79, v89, v63
	v_mul_u32_u24_e32 v89, 0x10001, v77
	ds_load_2addr_b64 v[76:79], v96 offset1:32
	v_and_b32_e32 v90, 0xffff, v91
	v_lshrrev_b32_e32 v91, 16, v91
	s_wait_dscnt 0x2
	v_pk_fma_f16 v65, v80, v88, v65
	v_pk_fma_f16 v64, v80, v89, v64
	;; [unrolled: 1-line block ×4, first 2 shown]
	v_mul_u32_u24_e32 v80, 0x10001, v90
	v_mul_u32_u24_e32 v81, 0x10001, v91
	ds_load_b128 v[88:91], v53 offset:496
	s_wait_dscnt 0x2
	v_and_b32_e32 v92, 0xffff, v84
	v_lshrrev_b32_e32 v84, 16, v84
	v_pk_fma_f16 v65, v82, v80, v65
	v_pk_fma_f16 v67, v83, v80, v67
	;; [unrolled: 1-line block ×3, first 2 shown]
	v_mul_u32_u24_e32 v80, 0x10001, v92
	ds_load_2addr_b64 v[92:95], v96 offset0:64 offset1:96
	v_mul_u32_u24_e32 v82, 0x10001, v84
	v_and_b32_e32 v84, 0xffff, v85
	v_pk_fma_f16 v63, v83, v81, v63
	v_lshrrev_b32_e32 v81, 16, v85
	s_wait_dscnt 0x2
	v_pk_fma_f16 v65, v76, v80, v65
	v_pk_fma_f16 v64, v76, v82, v64
	v_mul_u32_u24_e32 v76, 0x10001, v84
	v_pk_fma_f16 v67, v77, v80, v67
	v_mul_u32_u24_e32 v84, 0x10001, v81
	v_pk_fma_f16 v63, v77, v82, v63
	v_and_b32_e32 v77, 0xffff, v86
	v_lshrrev_b32_e32 v85, 16, v86
	ds_load_2addr_b64 v[80:83], v96 offset0:128 offset1:160
	v_pk_fma_f16 v65, v78, v76, v65
	v_pk_fma_f16 v64, v78, v84, v64
	;; [unrolled: 1-line block ×3, first 2 shown]
	v_mul_u32_u24_e32 v76, 0x10001, v77
	v_mul_u32_u24_e32 v77, 0x10001, v85
	v_pk_fma_f16 v63, v79, v84, v63
	v_and_b32_e32 v78, 0xffff, v87
	v_lshrrev_b32_e32 v79, 16, v87
	s_wait_dscnt 0x1
	v_pk_fma_f16 v65, v92, v76, v65
	v_pk_fma_f16 v64, v92, v77, v64
	;; [unrolled: 1-line block ×3, first 2 shown]
	v_mul_u32_u24_e32 v78, 0x10001, v78
	v_mul_u32_u24_e32 v79, 0x10001, v79
	v_and_b32_e32 v76, 0xffff, v88
	v_lshrrev_b32_e32 v84, 16, v88
	v_pk_fma_f16 v63, v93, v77, v63
	v_pk_fma_f16 v65, v94, v78, v65
	;; [unrolled: 1-line block ×3, first 2 shown]
	v_mul_u32_u24_e32 v77, 0x10001, v76
	v_mul_u32_u24_e32 v84, 0x10001, v84
	v_add_f32_e32 v76, v69, v66
	v_pk_fma_f16 v69, v95, v78, v67
	v_pk_fma_f16 v63, v95, v79, v63
	s_wait_dscnt 0x0
	v_pk_fma_f16 v78, v80, v77, v65
	v_pk_fma_f16 v79, v80, v84, v64
	ds_load_2addr_b64 v[64:67], v96 offset0:192 offset1:224
	s_wait_loadcnt_dscnt 0x0
	s_barrier_signal -1
	s_barrier_wait -1
	global_inv scope:SCOPE_SE
	s_load_b32 s11, s[24:25], 0x4
	v_and_b32_e32 v80, 0xffff, v89
	v_lshrrev_b32_e32 v85, 16, v89
	v_pk_fma_f16 v69, v81, v77, v69
	v_pk_fma_f16 v63, v81, v84, v63
	v_and_b32_e32 v81, 0xffff, v90
	v_mul_u32_u24_e32 v77, 0x10001, v80
	v_mul_u32_u24_e32 v80, 0x10001, v85
	v_lshrrev_b32_e32 v84, 16, v90
	v_fmac_f32_e32 v76, v62, v68
	s_delay_alu instid0(VALU_DEP_4) | instskip(NEXT) | instid1(VALU_DEP_4)
	v_pk_fma_f16 v78, v82, v77, v78
	v_pk_fma_f16 v79, v82, v80, v79
	;; [unrolled: 1-line block ×3, first 2 shown]
	v_mul_u32_u24_e32 v77, 0x10001, v81
	v_mul_u32_u24_e32 v81, 0x10001, v84
	v_and_b32_e32 v82, 0xffff, v91
	v_lshrrev_b32_e32 v84, 16, v91
	v_pk_fma_f16 v63, v83, v80, v63
	v_pk_fma_f16 v78, v64, v77, v78
	;; [unrolled: 1-line block ×3, first 2 shown]
	v_mul_u32_u24_e32 v79, 0x10001, v82
	v_mul_u32_u24_e32 v80, 0x10001, v84
	v_pk_fma_f16 v69, v65, v77, v69
	v_pk_fma_f16 v62, v65, v81, v63
	s_wait_kmcnt 0x0
	s_lshl_b32 s11, s11, 7
	v_pk_fma_f16 v65, v66, v79, v78
	v_pk_fma_f16 v64, v66, v80, v64
	;; [unrolled: 1-line block ×4, first 2 shown]
	s_wait_alu 0xfffe
	s_add_co_i32 s10, s11, s10
	s_wait_alu 0xfffe
	s_cmp_ge_i32 s10, s28
	s_cbranch_scc1 .LBB73_43
; %bb.42:                               ;   in Loop: Header=BB73_9 Depth=1
	v_dual_mov_b32 v69, v35 :: v_dual_mov_b32 v68, v36
	v_dual_mov_b32 v67, v75 :: v_dual_mov_b32 v62, v76
	s_branch .LBB73_9
.LBB73_43:
	v_mov_b32_e32 v5, v40
.LBB73_44:
	v_cmp_lt_i32_e32 vcc_lo, v74, v41
	s_cmp_lg_u64 s[12:13], 0
	s_cselect_b32 s3, -1, 0
	s_cmp_eq_u32 s4, 0
	s_wait_alu 0xfffd
	v_cndmask_b32_e32 v2, v5, v74, vcc_lo
	v_cmp_lt_i32_e32 vcc_lo, v70, v41
	s_cselect_b32 s5, -1, 0
	s_wait_alu 0xfffe
	s_and_b32 s3, s5, s3
	s_wait_alu 0xfffd
	v_cndmask_b32_e32 v4, v5, v70, vcc_lo
	v_cmp_lt_i32_e32 vcc_lo, v71, v41
	s_wait_alu 0xfffd
	v_dual_cndmask_b32 v7, v5, v71 :: v_dual_lshlrev_b32 v2, 2, v2
	ds_bpermute_b32 v3, v2, v75
	ds_bpermute_b32 v2, v2, v76
	v_cmp_lt_i32_e32 vcc_lo, v72, v41
	v_lshlrev_b32_e32 v7, 2, v7
	s_wait_dscnt 0x1
	v_dual_add_f32 v3, v75, v3 :: v_dual_lshlrev_b32 v4, 2, v4
	s_wait_dscnt 0x0
	v_add_f32_e32 v2, v76, v2
	ds_bpermute_b32 v6, v4, v3
	s_wait_dscnt 0x0
	v_add_f32_e32 v3, v3, v6
	ds_bpermute_b32 v4, v4, v2
	;; [unrolled: 3-line block ×3, first 2 shown]
	ds_bpermute_b32 v6, v7, v2
	s_wait_alu 0xfffd
	v_cndmask_b32_e32 v7, v5, v72, vcc_lo
	v_cmp_lt_i32_e32 vcc_lo, v73, v41
	s_delay_alu instid0(VALU_DEP_2)
	v_lshlrev_b32_e32 v7, 2, v7
	s_wait_dscnt 0x0
	v_dual_add_f32 v3, v3, v4 :: v_dual_add_f32 v2, v2, v6
	ds_bpermute_b32 v4, v7, v3
	ds_bpermute_b32 v6, v7, v2
	s_wait_alu 0xfffd
	v_cndmask_b32_e32 v5, v5, v73, vcc_lo
	s_wait_alu 0xfffe
	s_and_b32 vcc_lo, exec_lo, s3
	s_wait_dscnt 0x0
	v_dual_add_f32 v3, v3, v4 :: v_dual_add_f32 v4, v2, v6
	v_lshlrev_b32_e32 v5, 2, v5
	ds_bpermute_b32 v2, v5, v3
	s_wait_dscnt 0x0
	v_add_f32_e32 v2, v3, v2
	ds_bpermute_b32 v5, v5, v4
	s_wait_dscnt 0x0
	v_add_f32_e32 v3, v4, v5
	s_wait_alu 0xfffe
	s_cbranch_vccz .LBB73_47
; %bb.45:
	v_add_nc_u32_e32 v4, s33, v37
	s_delay_alu instid0(VALU_DEP_1) | instskip(NEXT) | instid1(VALU_DEP_1)
	v_ashrrev_i32_e32 v5, 31, v4
	v_lshlrev_b64_e32 v[4:5], 2, v[4:5]
	s_delay_alu instid0(VALU_DEP_1) | instskip(SKIP_1) | instid1(VALU_DEP_2)
	v_add_co_u32 v4, vcc_lo, s12, v4
	s_wait_alu 0xfffd
	v_add_co_ci_u32_e64 v5, null, s13, v5, vcc_lo
	global_load_b64 v[4:5], v[4:5], off
	v_max_num_f32_e32 v6, v35, v35
	s_wait_loadcnt 0x0
	v_dual_max_num_f32 v8, v36, v36 :: v_dual_max_num_f32 v9, v5, v5
	v_max_num_f32_e32 v7, v4, v4
	s_delay_alu instid0(VALU_DEP_1) | instskip(NEXT) | instid1(VALU_DEP_1)
	v_dual_max_num_f32 v6, v6, v7 :: v_dual_max_num_f32 v7, v8, v9
	v_dual_sub_f32 v8, v35, v6 :: v_dual_sub_f32 v5, v5, v7
	v_sub_f32_e32 v4, v4, v6
	v_dual_sub_f32 v9, v36, v7 :: v_dual_mov_b32 v36, v7
	s_delay_alu instid0(VALU_DEP_3) | instskip(NEXT) | instid1(VALU_DEP_4)
	v_cmp_ngt_f32_e32 vcc_lo, 0xc2ce8ed0, v8
	v_mul_f32_e32 v13, 0x3fb8aa3b, v5
	s_delay_alu instid0(VALU_DEP_3) | instskip(SKIP_1) | instid1(VALU_DEP_3)
	v_dual_mul_f32 v11, 0x3fb8aa3b, v4 :: v_dual_mul_f32 v12, 0x3fb8aa3b, v9
	v_mov_b32_e32 v35, v6
	v_fma_f32 v20, 0x3fb8aa3b, v5, -v13
	s_delay_alu instid0(VALU_DEP_3)
	v_rndne_f32_e32 v19, v11
	v_mul_f32_e32 v10, 0x3fb8aa3b, v8
	v_fma_f32 v16, 0x3fb8aa3b, v4, -v11
	v_fma_f32 v17, 0x3fb8aa3b, v9, -v12
	v_rndne_f32_e32 v18, v12
	v_sub_f32_e32 v11, v11, v19
	v_fma_f32 v14, 0x3fb8aa3b, v8, -v10
	v_rndne_f32_e32 v15, v10
	v_rndne_f32_e32 v21, v13
	v_dual_fmac_f32 v17, 0x32a5705f, v9 :: v_dual_fmac_f32 v16, 0x32a5705f, v4
	s_delay_alu instid0(VALU_DEP_4) | instskip(NEXT) | instid1(VALU_DEP_3)
	v_fmac_f32_e32 v14, 0x32a5705f, v8
	v_dual_sub_f32 v10, v10, v15 :: v_dual_sub_f32 v13, v13, v21
	s_delay_alu instid0(VALU_DEP_3) | instskip(SKIP_1) | instid1(VALU_DEP_3)
	v_dual_sub_f32 v12, v12, v18 :: v_dual_add_f32 v11, v11, v16
	v_fmac_f32_e32 v20, 0x32a5705f, v5
	v_add_f32_e32 v10, v10, v14
	v_cvt_i32_f32_e32 v14, v15
	s_delay_alu instid0(VALU_DEP_4)
	v_add_f32_e32 v12, v12, v17
	v_cvt_i32_f32_e32 v15, v18
	v_add_f32_e32 v13, v13, v20
	v_exp_f32_e32 v10, v10
	v_exp_f32_e32 v11, v11
	;; [unrolled: 1-line block ×3, first 2 shown]
	v_cvt_i32_f32_e32 v16, v19
	v_exp_f32_e32 v13, v13
	v_ldexp_f32 v10, v10, v14
	v_cvt_i32_f32_e32 v14, v21
	s_delay_alu instid0(TRANS32_DEP_2) | instskip(NEXT) | instid1(TRANS32_DEP_3)
	v_ldexp_f32 v12, v12, v15
	v_ldexp_f32 v11, v11, v16
	s_wait_alu 0xfffd
	v_cndmask_b32_e32 v10, 0, v10, vcc_lo
	v_cmp_ngt_f32_e32 vcc_lo, 0xc2ce8ed0, v9
	s_wait_alu 0xfffd
	v_cndmask_b32_e32 v12, 0, v12, vcc_lo
	v_cmp_nlt_f32_e32 vcc_lo, 0x42b17218, v8
	s_wait_alu 0xfffd
	v_cndmask_b32_e32 v8, 0x7f800000, v10, vcc_lo
	v_cmp_nlt_f32_e32 vcc_lo, 0x42b17218, v9
	v_ldexp_f32 v10, v13, v14
	s_wait_alu 0xfffd
	v_cndmask_b32_e32 v9, 0x7f800000, v12, vcc_lo
	v_cmp_ngt_f32_e32 vcc_lo, 0xc2ce8ed0, v4
	s_wait_alu 0xfffd
	v_cndmask_b32_e32 v11, 0, v11, vcc_lo
	v_cmp_ngt_f32_e32 vcc_lo, 0xc2ce8ed0, v5
	s_wait_alu 0xfffd
	v_cndmask_b32_e32 v10, 0, v10, vcc_lo
	v_cmp_nlt_f32_e32 vcc_lo, 0x42b17218, v4
	s_wait_alu 0xfffd
	v_cndmask_b32_e32 v4, 0x7f800000, v11, vcc_lo
	v_cmp_nlt_f32_e32 vcc_lo, 0x42b17218, v5
	s_wait_alu 0xfffd
	v_cndmask_b32_e32 v5, 0x7f800000, v10, vcc_lo
	s_delay_alu instid0(VALU_DEP_1) | instskip(NEXT) | instid1(VALU_DEP_1)
	v_fmac_f32_e32 v5, v3, v9
	v_dual_mov_b32 v3, v5 :: v_dual_fmac_f32 v4, v2, v8
	v_cvt_f16_f32_e32 v12, v8
	s_delay_alu instid0(VALU_DEP_2) | instskip(SKIP_1) | instid1(VALU_DEP_3)
	v_mov_b32_e32 v2, v4
	v_cvt_f16_f32_e32 v13, v9
	v_and_b32_e32 v11, 0xffff, v12
	s_delay_alu instid0(VALU_DEP_2) | instskip(NEXT) | instid1(VALU_DEP_2)
	v_and_b32_e32 v12, 0xffff, v13
	v_mul_u32_u24_e32 v8, 0x10001, v11
	s_delay_alu instid0(VALU_DEP_2) | instskip(NEXT) | instid1(VALU_DEP_2)
	v_mul_u32_u24_e32 v6, 0x10001, v12
	v_pk_mul_f16 v65, v65, v8
	v_pk_mul_f16 v66, v66, v8
	s_delay_alu instid0(VALU_DEP_3)
	v_pk_mul_f16 v64, v64, v6
	v_pk_mul_f16 v63, v63, v6
	s_mov_b32 s3, exec_lo
	v_cmpx_gt_i32_e64 s22, v1
	s_cbranch_execnz .LBB73_48
.LBB73_46:
	s_nop 0
	s_sendmsg sendmsg(MSG_DEALLOC_VGPRS)
	s_endpgm
.LBB73_47:
	s_delay_alu instid0(VALU_DEP_1)
	v_dual_mov_b32 v5, v3 :: v_dual_mov_b32 v4, v2
	s_mov_b32 s3, exec_lo
	v_cmpx_gt_i32_e64 s22, v1
	s_cbranch_execz .LBB73_46
.LBB73_48:
	s_load_b32 s1, s[0:1], 0xd4
	v_mov_b32_e32 v6, 1.0
	s_wait_kmcnt 0x0
	s_cmp_lg_u32 s1, 1
	s_cselect_b32 s5, -1, 0
	s_cmp_eq_u32 s1, 1
	s_cselect_b32 s3, -1, 0
	s_wait_alu 0xfffe
	s_and_b32 vcc_lo, exec_lo, s5
	s_wait_alu 0xfffe
	s_cbranch_vccnz .LBB73_50
; %bb.49:
	v_div_scale_f32 v6, null, v2, v2, 1.0
	s_delay_alu instid0(VALU_DEP_1) | instskip(NEXT) | instid1(TRANS32_DEP_1)
	v_rcp_f32_e32 v7, v6
	v_fma_f32 v8, -v6, v7, 1.0
	s_delay_alu instid0(VALU_DEP_1) | instskip(SKIP_1) | instid1(VALU_DEP_1)
	v_fmac_f32_e32 v7, v8, v7
	v_div_scale_f32 v8, vcc_lo, 1.0, v2, 1.0
	v_mul_f32_e32 v9, v8, v7
	s_delay_alu instid0(VALU_DEP_1) | instskip(NEXT) | instid1(VALU_DEP_1)
	v_fma_f32 v10, -v6, v9, v8
	v_fmac_f32_e32 v9, v10, v7
	s_delay_alu instid0(VALU_DEP_1) | instskip(SKIP_1) | instid1(VALU_DEP_1)
	v_fma_f32 v6, -v6, v9, v8
	s_wait_alu 0xfffd
	v_div_fmas_f32 v6, v6, v7, v9
	s_delay_alu instid0(VALU_DEP_1)
	v_div_fixup_f32 v6, v6, v2, 1.0
.LBB73_50:
	v_mad_co_u64_u32 v[1:2], null, s2, s22, v[1:2]
	v_cvt_f32_f16_e32 v9, v65
	v_mov_b32_e32 v8, 0
	v_cmp_eq_u32_e32 vcc_lo, 0, v0
	v_lshrrev_b32_e32 v0, 16, v65
	v_cvt_f32_f16_e32 v10, v66
	v_mul_lo_u32 v1, v1, s23
	s_delay_alu instid0(VALU_DEP_3) | instskip(NEXT) | instid1(VALU_DEP_2)
	v_cvt_f32_f16_e32 v0, v0
	v_add3_u32 v1, s33, v37, v1
	s_delay_alu instid0(VALU_DEP_1) | instskip(SKIP_1) | instid1(VALU_DEP_1)
	v_mad_co_u64_u32 v[1:2], null, s1, v1, s[4:5]
	v_lshrrev_b32_e32 v2, 16, v66
	v_cvt_f32_f16_e32 v2, v2
	s_delay_alu instid0(VALU_DEP_3) | instskip(NEXT) | instid1(VALU_DEP_1)
	v_lshl_add_u32 v7, v1, 7, v38
	v_lshlrev_b64_e32 v[11:12], 2, v[7:8]
	v_mul_f32_e32 v7, v6, v9
	v_mul_f32_e32 v9, v6, v10
	;; [unrolled: 1-line block ×4, first 2 shown]
	v_add_co_u32 v11, s0, s16, v11
	s_wait_alu 0xf1ff
	v_add_co_ci_u32_e64 v12, null, s17, v12, s0
	s_and_b32 s0, vcc_lo, s5
	global_store_b128 v[11:12], v[7:10], off
	s_wait_alu 0xfffe
	s_and_saveexec_b32 s2, s0
	s_cbranch_execz .LBB73_52
; %bb.51:
	v_ashrrev_i32_e32 v2, 31, v1
	v_dual_mov_b32 v8, v35 :: v_dual_mov_b32 v9, v4
	s_delay_alu instid0(VALU_DEP_2) | instskip(NEXT) | instid1(VALU_DEP_1)
	v_lshlrev_b64_e32 v[6:7], 3, v[1:2]
	v_add_co_u32 v6, vcc_lo, s18, v6
	s_wait_alu 0xfffd
	s_delay_alu instid0(VALU_DEP_2)
	v_add_co_ci_u32_e64 v7, null, s19, v7, vcc_lo
	global_store_b64 v[6:7], v[8:9], off
.LBB73_52:
	s_wait_alu 0xfffe
	s_or_b32 exec_lo, exec_lo, s2
	v_mov_b32_e32 v2, 1.0
	s_and_not1_b32 vcc_lo, exec_lo, s3
	s_wait_alu 0xfffe
	s_cbranch_vccnz .LBB73_54
; %bb.53:
	v_div_scale_f32 v0, null, v3, v3, 1.0
	s_delay_alu instid0(VALU_DEP_1) | instskip(NEXT) | instid1(TRANS32_DEP_1)
	v_rcp_f32_e32 v2, v0
	v_fma_f32 v4, -v0, v2, 1.0
	s_delay_alu instid0(VALU_DEP_1) | instskip(SKIP_1) | instid1(VALU_DEP_1)
	v_fmac_f32_e32 v2, v4, v2
	v_div_scale_f32 v4, vcc_lo, 1.0, v3, 1.0
	v_mul_f32_e32 v6, v4, v2
	s_delay_alu instid0(VALU_DEP_1) | instskip(NEXT) | instid1(VALU_DEP_1)
	v_fma_f32 v7, -v0, v6, v4
	v_fmac_f32_e32 v6, v7, v2
	s_delay_alu instid0(VALU_DEP_1) | instskip(SKIP_1) | instid1(VALU_DEP_1)
	v_fma_f32 v0, -v0, v6, v4
	s_wait_alu 0xfffd
	v_div_fmas_f32 v0, v0, v2, v6
	s_delay_alu instid0(VALU_DEP_1)
	v_div_fixup_f32 v2, v0, v3, 1.0
.LBB73_54:
	v_add_nc_u32_e32 v0, s1, v1
	v_lshrrev_b32_e32 v1, 16, v64
	v_lshrrev_b32_e32 v6, 16, v63
	v_cvt_f32_f16_e32 v7, v64
	v_cvt_f32_f16_e32 v8, v63
	v_lshl_add_u32 v3, v0, 7, v38
	v_cvt_f32_f16_e32 v1, v1
	v_mov_b32_e32 v4, 0
	v_cvt_f32_f16_e32 v9, v6
	v_mul_f32_e32 v6, v2, v7
	v_mul_f32_e32 v8, v2, v8
	v_mul_f32_e32 v7, v2, v1
	v_lshlrev_b64_e32 v[3:4], 2, v[3:4]
	v_mul_f32_e32 v9, v2, v9
	s_delay_alu instid0(VALU_DEP_2) | instskip(SKIP_1) | instid1(VALU_DEP_3)
	v_add_co_u32 v1, vcc_lo, s16, v3
	s_wait_alu 0xfffd
	v_add_co_ci_u32_e64 v2, null, s17, v4, vcc_lo
	global_store_b128 v[1:2], v[6:9], off
	s_and_b32 exec_lo, exec_lo, s0
	s_cbranch_execz .LBB73_46
; %bb.55:
	v_ashrrev_i32_e32 v1, 31, v0
	v_mov_b32_e32 v4, v36
	s_delay_alu instid0(VALU_DEP_2) | instskip(NEXT) | instid1(VALU_DEP_1)
	v_lshlrev_b64_e32 v[0:1], 3, v[0:1]
	v_add_co_u32 v0, vcc_lo, s18, v0
	s_wait_alu 0xfffd
	s_delay_alu instid0(VALU_DEP_2)
	v_add_co_ci_u32_e64 v1, null, s19, v1, vcc_lo
	global_store_b64 v[0:1], v[4:5], off
	s_nop 0
	s_sendmsg sendmsg(MSG_DEALLOC_VGPRS)
	s_endpgm
	.section	.rodata,"a",@progbits
	.p2align	6, 0x0
	.amdhsa_kernel _ZL15flash_attn_tileILi128ELi128ELi2ELi8ELb1EEvPKcS1_S1_S1_S1_PKiPfP15HIP_vector_typeIfLj2EEffffjfiS5_IjLj3EEiiiiiiiiiiiliiliiiiil
		.amdhsa_group_segment_fixed_size 43008
		.amdhsa_private_segment_fixed_size 0
		.amdhsa_kernarg_size 464
		.amdhsa_user_sgpr_count 2
		.amdhsa_user_sgpr_dispatch_ptr 0
		.amdhsa_user_sgpr_queue_ptr 0
		.amdhsa_user_sgpr_kernarg_segment_ptr 1
		.amdhsa_user_sgpr_dispatch_id 0
		.amdhsa_user_sgpr_private_segment_size 0
		.amdhsa_wavefront_size32 1
		.amdhsa_uses_dynamic_stack 0
		.amdhsa_enable_private_segment 0
		.amdhsa_system_sgpr_workgroup_id_x 1
		.amdhsa_system_sgpr_workgroup_id_y 1
		.amdhsa_system_sgpr_workgroup_id_z 1
		.amdhsa_system_sgpr_workgroup_info 0
		.amdhsa_system_vgpr_workitem_id 1
		.amdhsa_next_free_vgpr 217
		.amdhsa_next_free_sgpr 42
		.amdhsa_reserve_vcc 1
		.amdhsa_float_round_mode_32 0
		.amdhsa_float_round_mode_16_64 0
		.amdhsa_float_denorm_mode_32 3
		.amdhsa_float_denorm_mode_16_64 3
		.amdhsa_fp16_overflow 0
		.amdhsa_workgroup_processor_mode 1
		.amdhsa_memory_ordered 1
		.amdhsa_forward_progress 1
		.amdhsa_inst_pref_size 148
		.amdhsa_round_robin_scheduling 0
		.amdhsa_exception_fp_ieee_invalid_op 0
		.amdhsa_exception_fp_denorm_src 0
		.amdhsa_exception_fp_ieee_div_zero 0
		.amdhsa_exception_fp_ieee_overflow 0
		.amdhsa_exception_fp_ieee_underflow 0
		.amdhsa_exception_fp_ieee_inexact 0
		.amdhsa_exception_int_div_zero 0
	.end_amdhsa_kernel
	.section	.text._ZL15flash_attn_tileILi128ELi128ELi2ELi8ELb1EEvPKcS1_S1_S1_S1_PKiPfP15HIP_vector_typeIfLj2EEffffjfiS5_IjLj3EEiiiiiiiiiiiliiliiiiil,"axG",@progbits,_ZL15flash_attn_tileILi128ELi128ELi2ELi8ELb1EEvPKcS1_S1_S1_S1_PKiPfP15HIP_vector_typeIfLj2EEffffjfiS5_IjLj3EEiiiiiiiiiiiliiliiiiil,comdat
.Lfunc_end73:
	.size	_ZL15flash_attn_tileILi128ELi128ELi2ELi8ELb1EEvPKcS1_S1_S1_S1_PKiPfP15HIP_vector_typeIfLj2EEffffjfiS5_IjLj3EEiiiiiiiiiiiliiliiiiil, .Lfunc_end73-_ZL15flash_attn_tileILi128ELi128ELi2ELi8ELb1EEvPKcS1_S1_S1_S1_PKiPfP15HIP_vector_typeIfLj2EEffffjfiS5_IjLj3EEiiiiiiiiiiiliiliiiiil
                                        ; -- End function
	.set _ZL15flash_attn_tileILi128ELi128ELi2ELi8ELb1EEvPKcS1_S1_S1_S1_PKiPfP15HIP_vector_typeIfLj2EEffffjfiS5_IjLj3EEiiiiiiiiiiiliiliiiiil.num_vgpr, 163
	.set _ZL15flash_attn_tileILi128ELi128ELi2ELi8ELb1EEvPKcS1_S1_S1_S1_PKiPfP15HIP_vector_typeIfLj2EEffffjfiS5_IjLj3EEiiiiiiiiiiiliiliiiiil.num_agpr, 0
	.set _ZL15flash_attn_tileILi128ELi128ELi2ELi8ELb1EEvPKcS1_S1_S1_S1_PKiPfP15HIP_vector_typeIfLj2EEffffjfiS5_IjLj3EEiiiiiiiiiiiliiliiiiil.numbered_sgpr, 42
	.set _ZL15flash_attn_tileILi128ELi128ELi2ELi8ELb1EEvPKcS1_S1_S1_S1_PKiPfP15HIP_vector_typeIfLj2EEffffjfiS5_IjLj3EEiiiiiiiiiiiliiliiiiil.num_named_barrier, 0
	.set _ZL15flash_attn_tileILi128ELi128ELi2ELi8ELb1EEvPKcS1_S1_S1_S1_PKiPfP15HIP_vector_typeIfLj2EEffffjfiS5_IjLj3EEiiiiiiiiiiiliiliiiiil.private_seg_size, 0
	.set _ZL15flash_attn_tileILi128ELi128ELi2ELi8ELb1EEvPKcS1_S1_S1_S1_PKiPfP15HIP_vector_typeIfLj2EEffffjfiS5_IjLj3EEiiiiiiiiiiiliiliiiiil.uses_vcc, 1
	.set _ZL15flash_attn_tileILi128ELi128ELi2ELi8ELb1EEvPKcS1_S1_S1_S1_PKiPfP15HIP_vector_typeIfLj2EEffffjfiS5_IjLj3EEiiiiiiiiiiiliiliiiiil.uses_flat_scratch, 0
	.set _ZL15flash_attn_tileILi128ELi128ELi2ELi8ELb1EEvPKcS1_S1_S1_S1_PKiPfP15HIP_vector_typeIfLj2EEffffjfiS5_IjLj3EEiiiiiiiiiiiliiliiiiil.has_dyn_sized_stack, 0
	.set _ZL15flash_attn_tileILi128ELi128ELi2ELi8ELb1EEvPKcS1_S1_S1_S1_PKiPfP15HIP_vector_typeIfLj2EEffffjfiS5_IjLj3EEiiiiiiiiiiiliiliiiiil.has_recursion, 0
	.set _ZL15flash_attn_tileILi128ELi128ELi2ELi8ELb1EEvPKcS1_S1_S1_S1_PKiPfP15HIP_vector_typeIfLj2EEffffjfiS5_IjLj3EEiiiiiiiiiiiliiliiiiil.has_indirect_call, 0
	.section	.AMDGPU.csdata,"",@progbits
; Kernel info:
; codeLenInByte = 18832
; TotalNumSgprs: 44
; NumVgprs: 163
; ScratchSize: 0
; MemoryBound: 0
; FloatMode: 240
; IeeeMode: 1
; LDSByteSize: 43008 bytes/workgroup (compile time only)
; SGPRBlocks: 0
; VGPRBlocks: 27
; NumSGPRsForWavesPerEU: 44
; NumVGPRsForWavesPerEU: 217
; Occupancy: 6
; WaveLimiterHint : 1
; COMPUTE_PGM_RSRC2:SCRATCH_EN: 0
; COMPUTE_PGM_RSRC2:USER_SGPR: 2
; COMPUTE_PGM_RSRC2:TRAP_HANDLER: 0
; COMPUTE_PGM_RSRC2:TGID_X_EN: 1
; COMPUTE_PGM_RSRC2:TGID_Y_EN: 1
; COMPUTE_PGM_RSRC2:TGID_Z_EN: 1
; COMPUTE_PGM_RSRC2:TIDIG_COMP_CNT: 1
	.section	.text._ZL15flash_attn_tileILi128ELi128ELi1ELi8ELb1EEvPKcS1_S1_S1_S1_PKiPfP15HIP_vector_typeIfLj2EEffffjfiS5_IjLj3EEiiiiiiiiiiiliiliiiiil,"axG",@progbits,_ZL15flash_attn_tileILi128ELi128ELi1ELi8ELb1EEvPKcS1_S1_S1_S1_PKiPfP15HIP_vector_typeIfLj2EEffffjfiS5_IjLj3EEiiiiiiiiiiiliiliiiiil,comdat
	.globl	_ZL15flash_attn_tileILi128ELi128ELi1ELi8ELb1EEvPKcS1_S1_S1_S1_PKiPfP15HIP_vector_typeIfLj2EEffffjfiS5_IjLj3EEiiiiiiiiiiiliiliiiiil ; -- Begin function _ZL15flash_attn_tileILi128ELi128ELi1ELi8ELb1EEvPKcS1_S1_S1_S1_PKiPfP15HIP_vector_typeIfLj2EEffffjfiS5_IjLj3EEiiiiiiiiiiiliiliiiiil
	.p2align	8
	.type	_ZL15flash_attn_tileILi128ELi128ELi1ELi8ELb1EEvPKcS1_S1_S1_S1_PKiPfP15HIP_vector_typeIfLj2EEffffjfiS5_IjLj3EEiiiiiiiiiiiliiliiiiil,@function
_ZL15flash_attn_tileILi128ELi128ELi1ELi8ELb1EEvPKcS1_S1_S1_S1_PKiPfP15HIP_vector_typeIfLj2EEffffjfiS5_IjLj3EEiiiiiiiiiiiliiliiiiil: ; @_ZL15flash_attn_tileILi128ELi128ELi1ELi8ELb1EEvPKcS1_S1_S1_S1_PKiPfP15HIP_vector_typeIfLj2EEffffjfiS5_IjLj3EEiiiiiiiiiiiliiliiiiil
; %bb.0:
	s_clause 0x1
	s_load_b128 s[20:23], s[0:1], 0x5c
	s_load_b64 s[28:29], s[0:1], 0x80
	s_lshr_b32 s5, ttmp7, 16
	s_load_b64 s[36:37], s[0:1], 0xb8
	s_mov_b32 s35, 0
	s_mov_b64 s[30:31], 0
	s_wait_kmcnt 0x0
	s_ashr_i32 s2, s23, 31
	s_delay_alu instid0(SALU_CYCLE_1) | instskip(NEXT) | instid1(SALU_CYCLE_1)
	s_lshr_b32 s2, s2, 29
	s_add_co_i32 s2, s23, s2
	s_delay_alu instid0(SALU_CYCLE_1) | instskip(NEXT) | instid1(SALU_CYCLE_1)
	s_ashr_i32 s2, s2, 3
	s_cvt_f32_u32 s3, s2
	s_sub_co_i32 s4, 0, s2
	s_delay_alu instid0(SALU_CYCLE_2) | instskip(NEXT) | instid1(TRANS32_DEP_1)
	v_rcp_iflag_f32_e32 v1, s3
	v_readfirstlane_b32 s3, v1
	s_mul_f32 s3, s3, 0x4f7ffffe
	s_wait_alu 0xfffe
	s_delay_alu instid0(SALU_CYCLE_2) | instskip(SKIP_1) | instid1(SALU_CYCLE_2)
	s_cvt_u32_f32 s3, s3
	s_wait_alu 0xfffe
	s_mul_i32 s4, s4, s3
	s_delay_alu instid0(SALU_CYCLE_1) | instskip(NEXT) | instid1(SALU_CYCLE_1)
	s_mul_hi_u32 s4, s3, s4
	s_add_co_i32 s3, s3, s4
	s_wait_alu 0xfffe
	s_mul_hi_u32 s3, s5, s3
	s_wait_alu 0xfffe
	s_mul_i32 s4, s3, s2
	s_add_co_i32 s6, s3, 1
	s_sub_co_i32 s4, s5, s4
	s_delay_alu instid0(SALU_CYCLE_1)
	s_sub_co_i32 s7, s4, s2
	s_cmp_ge_u32 s4, s2
	s_cselect_b32 s3, s6, s3
	s_cselect_b32 s4, s7, s4
	s_wait_alu 0xfffe
	s_add_co_i32 s6, s3, 1
	s_cmp_ge_u32 s4, s2
	s_cselect_b32 s2, s6, s3
	s_abs_i32 s3, s29
	s_abs_i32 s8, s23
	s_wait_alu 0xfffe
	s_cvt_f32_u32 s4, s3
	s_sub_co_i32 s6, 0, s3
	s_lshl_b32 s5, s5, 3
	s_mul_i32 s7, s2, s23
	v_rcp_iflag_f32_e32 v1, s4
	s_sub_co_i32 s33, s5, s7
	s_xor_b32 s5, s23, s29
	s_wait_alu 0xfffe
	s_ashr_i32 s24, s5, 31
	s_delay_alu instid0(TRANS32_DEP_1) | instskip(SKIP_2) | instid1(SALU_CYCLE_2)
	v_readfirstlane_b32 s4, v1
	s_mul_f32 s4, s4, 0x4f7ffffe
	s_wait_alu 0xfffe
	s_cvt_u32_f32 s4, s4
	s_wait_alu 0xfffe
	s_delay_alu instid0(SALU_CYCLE_2) | instskip(NEXT) | instid1(SALU_CYCLE_1)
	s_mul_i32 s6, s6, s4
	s_mul_hi_u32 s6, s4, s6
	s_delay_alu instid0(SALU_CYCLE_1) | instskip(SKIP_4) | instid1(SALU_CYCLE_1)
	s_add_co_i32 s4, s4, s6
	s_wait_alu 0xfffe
	s_mul_hi_u32 s4, s8, s4
	s_wait_alu 0xfffe
	s_mul_i32 s6, s4, s3
	s_sub_co_i32 s5, s8, s6
	s_add_co_i32 s6, s4, 1
	s_wait_alu 0xfffe
	s_sub_co_i32 s7, s5, s3
	s_cmp_ge_u32 s5, s3
	s_cselect_b32 s4, s6, s4
	s_cselect_b32 s5, s7, s5
	s_wait_alu 0xfffe
	s_add_co_i32 s6, s4, 1
	s_cmp_ge_u32 s5, s3
	s_cselect_b32 s3, s6, s4
	s_load_b512 s[4:19], s[0:1], 0x0
	s_xor_b32 s3, s3, s24
	s_wait_alu 0xfffe
	s_sub_co_i32 s38, s3, s24
	s_delay_alu instid0(SALU_CYCLE_1) | instskip(NEXT) | instid1(SALU_CYCLE_1)
	s_abs_i32 s29, s38
	s_cvt_f32_u32 s3, s29
	s_wait_alu 0xfffe
	s_delay_alu instid0(SALU_CYCLE_2) | instskip(SKIP_2) | instid1(TRANS32_DEP_1)
	v_rcp_iflag_f32_e32 v1, s3
	s_wait_kmcnt 0x0
	s_cmp_eq_u64 s[10:11], 0
	v_readfirstlane_b32 s27, v1
	s_cbranch_scc1 .LBB74_2
; %bb.1:
	s_abs_i32 s3, s36
	s_wait_alu 0xfffe
	s_cvt_f32_u32 s24, s3
	s_delay_alu instid0(SALU_CYCLE_3) | instskip(NEXT) | instid1(TRANS32_DEP_1)
	v_rcp_iflag_f32_e32 v1, s24
	v_readfirstlane_b32 s24, v1
	s_mul_f32 s24, s24, 0x4f7ffffe
	s_wait_alu 0xfffe
	s_delay_alu instid0(SALU_CYCLE_2) | instskip(SKIP_2) | instid1(SALU_CYCLE_1)
	s_cvt_u32_f32 s26, s24
	s_sub_co_i32 s24, 0, s3
	s_wait_alu 0xfffe
	s_mul_i32 s24, s24, s26
	s_wait_alu 0xfffe
	s_mul_hi_u32 s30, s26, s24
	s_load_b64 s[24:25], s[0:1], 0xc8
	s_add_co_i32 s26, s26, s30
	s_delay_alu instid0(SALU_CYCLE_1) | instskip(NEXT) | instid1(SALU_CYCLE_1)
	s_mul_hi_u32 s26, s2, s26
	s_mul_i32 s26, s26, s3
	s_delay_alu instid0(SALU_CYCLE_1) | instskip(NEXT) | instid1(SALU_CYCLE_1)
	s_sub_co_i32 s26, s2, s26
	s_sub_co_i32 s30, s26, s3
	s_cmp_ge_u32 s26, s3
	s_cselect_b32 s26, s30, s26
	s_delay_alu instid0(SALU_CYCLE_1) | instskip(SKIP_2) | instid1(SALU_CYCLE_1)
	s_sub_co_i32 s30, s26, s3
	s_cmp_ge_u32 s26, s3
	s_cselect_b32 s30, s30, s26
	s_ashr_i32 s31, s30, 31
	s_wait_kmcnt 0x0
	s_mul_u64 s[24:25], s[24:25], s[30:31]
	s_wait_alu 0xfffe
	s_add_nc_u64 s[30:31], s[10:11], s[24:25]
.LBB74_2:
	v_lshrrev_b32_e32 v1, 10, v0
	s_load_b96 s[24:26], s[0:1], 0x70
	v_and_b32_e32 v69, 0x3ff, v0
	s_delay_alu instid0(VALU_DEP_2) | instskip(NEXT) | instid1(VALU_DEP_2)
	v_bfe_u32 v1, v1, 2, 8
	v_lshlrev_b32_e32 v91, 3, v69
	s_delay_alu instid0(VALU_DEP_2) | instskip(NEXT) | instid1(VALU_DEP_1)
	v_add_nc_u32_e32 v68, ttmp9, v1
	v_mul_hi_u32 v1, s20, v68
	s_wait_kmcnt 0x0
	s_mul_i32 s10, s33, s25
	s_mov_b32 s20, s25
	s_delay_alu instid0(VALU_DEP_1) | instskip(SKIP_1) | instid1(VALU_DEP_1)
	v_add_nc_u32_e32 v1, v68, v1
	s_ashr_i32 s11, s10, 31
	v_lshrrev_b32_e32 v2, s21, v1
	v_bfe_u32 v1, v0, 10, 10
	s_ashr_i32 s21, s25, 31
	s_ashr_i32 s25, s24, 31
	s_wait_alu 0xfffe
	s_lshr_b64 s[40:41], s[24:25], 2
	v_mul_lo_u32 v2, v2, s22
	v_lshlrev_b32_e32 v3, 1, v1
	s_lshr_b32 s3, s25, 2
	s_delay_alu instid0(VALU_DEP_1) | instskip(SKIP_1) | instid1(VALU_DEP_4)
	v_and_b32_e32 v90, 6, v3
	v_or_b32_e32 v13, 1, v3
	v_sub_nc_u32_e32 v2, v68, v2
	s_delay_alu instid0(VALU_DEP_1) | instskip(SKIP_4) | instid1(VALU_DEP_1)
	v_mad_co_u64_u32 v[4:5], null, s40, v2, 0
	s_lshr_b64 s[40:41], s[20:21], 2
	s_mul_i32 s20, s2, s26
	s_wait_alu 0xfffe
	v_mad_co_u64_u32 v[6:7], null, s40, v90, 0
	v_mad_co_u64_u32 v[10:11], null, s3, v2, v[5:6]
	s_delay_alu instid0(VALU_DEP_2)
	v_mov_b32_e32 v0, v7
	s_lshr_b32 s3, s21, 2
	s_ashr_i32 s21, s20, 31
	s_cmp_eq_u64 s[14:15], 0
	s_wait_alu 0xfffe
	s_add_nc_u64 s[4:5], s[4:5], s[20:21]
	s_delay_alu instid0(VALU_DEP_2)
	v_mov_b32_e32 v5, v10
	v_mad_co_u64_u32 v[11:12], null, s3, v90, v[0:1]
	v_and_b32_e32 v14, 7, v13
	s_wait_alu 0xfffe
	s_add_nc_u64 s[4:5], s[4:5], s[10:11]
	v_lshlrev_b64_e32 v[4:5], 2, v[4:5]
	v_lshlrev_b32_e32 v0, 4, v69
	v_add_nc_u32_e32 v12, 0x2400, v91
	v_mad_co_u64_u32 v[8:9], null, s40, v14, 0
	s_delay_alu instid0(VALU_DEP_1) | instskip(NEXT) | instid1(VALU_DEP_1)
	v_mov_b32_e32 v7, v9
	v_mad_co_u64_u32 v[9:10], null, s3, v14, v[7:8]
	v_mov_b32_e32 v7, v11
	s_wait_alu 0xfffe
	v_add_co_u32 v10, vcc_lo, s4, v4
	s_delay_alu instid0(VALU_DEP_1) | instskip(NEXT) | instid1(VALU_DEP_3)
	v_add_co_ci_u32_e64 v11, null, s5, v5, vcc_lo
	v_lshlrev_b64_e32 v[4:5], 2, v[6:7]
	s_delay_alu instid0(VALU_DEP_3) | instskip(SKIP_3) | instid1(VALU_DEP_3)
	v_add_co_u32 v0, vcc_lo, v10, v0
	v_lshlrev_b64_e32 v[6:7], 2, v[8:9]
	s_wait_alu 0xfffd
	v_add_co_ci_u32_e64 v10, null, 0, v11, vcc_lo
	v_add_co_u32 v4, vcc_lo, v0, v4
	s_load_b32 s3, s[0:1], 0x40
	v_add_co_ci_u32_e64 v5, null, v10, v5, vcc_lo
	v_add_co_u32 v8, vcc_lo, v0, v6
	s_wait_alu 0xfffd
	v_add_co_ci_u32_e64 v9, null, v10, v7, vcc_lo
	s_clause 0x1
	global_load_b128 v[4:7], v[4:5], off
	global_load_b128 v[8:11], v[8:9], off
	v_lshlrev_b32_e32 v0, 9, v1
	s_delay_alu instid0(VALU_DEP_1)
	v_add_nc_u32_e32 v14, v12, v0
	s_wait_loadcnt 0x1
	s_wait_kmcnt 0x0
	v_fma_mixlo_f16 v4, s3, v4, 0
	v_fma_mixlo_f16 v5, s3, v5, 0
	s_wait_loadcnt 0x0
	v_fma_mixlo_f16 v8, s3, v8, 0
	v_fma_mixlo_f16 v9, s3, v9, 0
	;; [unrolled: 1-line block ×4, first 2 shown]
	v_lshlrev_b32_e32 v5, 16, v5
	v_and_b32_e32 v4, 0xffff, v4
	v_fma_mixlo_f16 v10, s3, v10, 0
	v_fma_mixlo_f16 v11, s3, v11, 0
	v_lshlrev_b32_e32 v9, 16, v9
	v_and_b32_e32 v8, 0xffff, v8
	v_lshlrev_b32_e32 v7, 16, v7
	v_and_b32_e32 v6, 0xffff, v6
	v_or_b32_e32 v4, v5, v4
	v_lshlrev_b32_e32 v11, 16, v11
	v_and_b32_e32 v10, 0xffff, v10
	v_or_b32_e32 v8, v9, v8
	v_or3_b32 v5, v7, v6, 0
	v_or3_b32 v4, 0, 0, v4
	v_lshl_add_u32 v9, v13, 8, v12
	v_or3_b32 v7, v11, v10, 0
	v_or3_b32 v6, 0, 0, v8
	ds_store_b64 v14, v[4:5]
	ds_store_b64 v9, v[6:7]
	s_wait_dscnt 0x0
	s_barrier_signal -1
	s_barrier_wait -1
	global_inv scope:SCOPE_SE
	s_cbranch_scc1 .LBB74_4
; %bb.3:
	s_load_b32 s3, s[0:1], 0xd0
	s_mov_b32 s5, 0
	s_wait_kmcnt 0x0
	s_mul_i32 s3, s3, s2
	s_wait_alu 0xfffe
	s_add_co_i32 s4, s3, ttmp9
	s_wait_alu 0xfffe
	s_lshl_b64 s[4:5], s[4:5], 2
	s_wait_alu 0xfffe
	s_add_nc_u64 s[4:5], s[14:15], s[4:5]
	s_load_b32 s28, s[4:5], 0x0
.LBB74_4:
	s_and_b32 s4, ttmp7, 0xffff
	v_mbcnt_lo_u32_b32 v92, -1, 0
	s_wait_alu 0xfffe
	s_lshl_b32 s10, s4, 6
	s_wait_kmcnt 0x0
	s_cmp_lt_i32 s10, s28
	s_cbranch_scc1 .LBB74_7
; %bb.5:
	v_mbcnt_lo_u32_b32 v4, -1, 0
	v_mov_b32_e32 v93, 32
	s_delay_alu instid0(VALU_DEP_2)
	v_xor_b32_e32 v111, 16, v4
	v_xor_b32_e32 v107, 8, v4
	v_xor_b32_e32 v108, 4, v4
	v_xor_b32_e32 v109, 2, v4
	v_xor_b32_e32 v110, 1, v4
	v_lshlrev_b32_e32 v89, 2, v69
	s_mov_b32 s3, 0
	s_cbranch_execz .LBB74_8
; %bb.6:
	v_dual_mov_b32 v49, 0 :: v_dual_mov_b32 v88, 0xfeffffff
	v_dual_mov_b32 v113, 0 :: v_dual_mov_b32 v112, 0
	;; [unrolled: 1-line block ×4, first 2 shown]
	s_branch .LBB74_28
.LBB74_7:
                                        ; implicit-def: $vgpr4
                                        ; implicit-def: $vgpr93
                                        ; implicit-def: $vgpr111
                                        ; implicit-def: $vgpr107
                                        ; implicit-def: $vgpr108
                                        ; implicit-def: $vgpr109
                                        ; implicit-def: $vgpr110
	v_lshlrev_b32_e32 v89, 2, v69
	s_mov_b32 s3, 0
.LBB74_8:
	s_mul_f32 s5, s27, 0x4f7ffffe
	s_clause 0x1
	s_load_b128 s[24:27], s[0:1], 0x98
	s_load_b64 s[20:21], s[0:1], 0x8c
	s_sub_co_i32 s14, 0, s29
	s_abs_i32 s34, s33
	s_cvt_u32_f32 s11, s5
	s_load_b32 s5, s[0:1], 0x54
	s_mov_b32 s15, s35
	s_ashr_i32 s36, s33, 31
	s_mul_i32 s14, s14, s11
	v_lshrrev_b32_e32 v4, 3, v69
	s_mul_hi_u32 s14, s11, s14
	s_ashr_i32 s37, s37, 1
	s_add_co_i32 s14, s11, s14
	s_ashr_i32 s11, s38, 31
	s_load_b64 s[38:39], s[0:1], 0xa8
	s_mul_u64 s[14:15], s[34:35], s[14:15]
	s_xor_b32 s11, s36, s11
	s_mul_i32 s35, s15, s29
	s_add_co_i32 s36, s15, 1
	v_lshl_add_u32 v5, v1, 2, v4
	s_wait_kmcnt 0x0
	s_ashr_i32 s14, s26, 2
	s_sub_co_i32 s26, s34, s35
	s_ashr_i32 s20, s20, 2
	s_sub_co_i32 s34, s26, s29
	s_cmp_ge_u32 s26, s29
	v_dual_mov_b32 v16, 0 :: v_dual_and_b32 v17, 28, v89
	s_cselect_b32 s15, s36, s15
	s_cselect_b32 s26, s34, s26
	s_add_co_i32 s34, s15, 1
	s_cmp_ge_u32 s26, s29
	s_wait_alu 0xfffe
	v_mul_lo_u32 v4, s20, v5
	s_cselect_b32 s15, s34, s15
	v_lshrrev_b32_e32 v7, 4, v69
	s_xor_b32 s15, s15, s11
	v_dual_mov_b32 v93, 32 :: v_dual_lshlrev_b32 v6, 2, v17
	s_mul_u64 s[24:25], s[24:25], s[2:3]
	s_mul_u64 s[34:35], s[38:39], s[2:3]
	s_sub_co_i32 s3, s15, s11
	s_wait_alu 0xfffe
	s_add_nc_u64 s[6:7], s[6:7], s[24:25]
	s_mul_i32 s24, s3, s21
	s_mul_i32 s26, s3, s27
	s_lshl_b32 s3, s20, 4
	v_dual_mov_b32 v20, 0xfeffffff :: v_dual_add_nc_u32 v3, v7, v3
	v_mad_u32_u24 v94, 0x90, v5, v6
	s_wait_alu 0xfffe
	v_add_nc_u32_e32 v6, s3, v4
	v_lshlrev_b32_e32 v105, 2, v17
	v_mul_lo_u32 v10, s14, v3
	v_mov_b32_e32 v17, 0
	s_delay_alu instid0(VALU_DEP_4) | instskip(SKIP_3) | instid1(VALU_DEP_4)
	v_dual_mov_b32 v49, 0 :: v_dual_add_nc_u32 v8, s3, v6
	v_dual_mov_b32 v19, 0xfeffffff :: v_dual_and_b32 v18, 60, v89
	v_add_nc_u32_e32 v98, 0x2400, v0
	v_mad_co_u64_u32 v[70:71], null, v2, s37, v[69:70]
	v_add_nc_u32_e32 v12, s3, v8
	s_lshl_b32 s3, s14, 3
	v_dual_mov_b32 v50, 0 :: v_dual_lshlrev_b32 v11, 2, v18
	s_wait_alu 0xfffe
	v_add_nc_u32_e32 v14, s3, v10
	v_ashrrev_i32_e32 v5, 31, v4
	v_ashrrev_i32_e32 v7, 31, v6
	;; [unrolled: 1-line block ×4, first 2 shown]
	v_add_nc_u32_e32 v0, s3, v14
	v_lshl_or_b32 v100, v3, 8, v11
	v_lshl_add_u32 v101, v1, 8, 0x2c00
	v_ashrrev_i32_e32 v11, 31, v10
	v_ashrrev_i32_e32 v15, 31, v14
	v_add_nc_u32_e32 v2, s3, v0
	v_ashrrev_i32_e32 v1, 31, v0
	v_lshlrev_b64_e32 v[71:72], 2, v[4:5]
	v_lshlrev_b64_e32 v[73:74], 2, v[6:7]
	;; [unrolled: 1-line block ×3, first 2 shown]
	v_ashrrev_i32_e32 v3, 31, v2
	v_lshlrev_b64_e32 v[77:78], 2, v[12:13]
	v_lshlrev_b64_e32 v[79:80], 2, v[10:11]
	;; [unrolled: 1-line block ×5, first 2 shown]
	v_dual_mov_b32 v48, 0 :: v_dual_add_nc_u32 v95, 0x900, v94
	v_add_nc_u32_e32 v96, 0x1200, v94
	v_add_nc_u32_e32 v97, 0x1b00, v94
	v_mul_u32_u24_e32 v99, 0x90, v69
	v_add_nc_u32_e32 v102, 0x800, v100
	v_add_nc_u32_e32 v103, 0x1000, v100
	;; [unrolled: 1-line block ×3, first 2 shown]
	v_lshlrev_b32_e32 v106, 2, v18
	v_mov_b32_e32 v18, 0
	s_add_nc_u64 s[8:9], s[8:9], s[34:35]
	s_ashr_i32 s25, s24, 31
	s_ashr_i32 s27, s26, 31
	s_wait_alu 0xfffe
	s_add_nc_u64 s[6:7], s[6:7], s[24:25]
	s_add_nc_u64 s[8:9], s[8:9], s[26:27]
	s_ashr_i32 s21, s20, 31
	s_ashr_i32 s15, s14, 31
	s_add_nc_u64 s[24:25], s[0:1], 0xd0
	s_mov_b32 s3, 0xbbbac73d
.LBB74_9:                               ; =>This Inner Loop Header: Depth=1
	s_ashr_i32 s11, s10, 31
	s_wait_alu 0xfffe
	s_mul_u64 s[26:27], s[10:11], s[20:21]
	s_wait_alu 0xfffe
	s_lshl_b64 s[26:27], s[26:27], 2
	s_wait_alu 0xfffe
	s_add_nc_u64 s[26:27], s[6:7], s[26:27]
	s_wait_alu 0xfffe
	v_add_co_u32 v0, vcc_lo, s26, v71
	s_wait_alu 0xfffd
	v_add_co_ci_u32_e64 v1, null, s27, v72, vcc_lo
	v_add_co_u32 v2, vcc_lo, s26, v73
	s_wait_alu 0xfffd
	v_add_co_ci_u32_e64 v3, null, s27, v74, vcc_lo
	;; [unrolled: 3-line block ×8, first 2 shown]
	s_clause 0x3
	global_load_b128 v[8:11], v[0:1], off
	global_load_b128 v[12:15], v[2:3], off
	;; [unrolled: 1-line block ×4, first 2 shown]
	s_wait_loadcnt 0x3
	ds_store_b128 v94, v[8:11]
	s_wait_loadcnt 0x2
	ds_store_b128 v95, v[12:15]
	;; [unrolled: 2-line block ×4, first 2 shown]
	s_wait_dscnt 0x0
	s_barrier_signal -1
	s_barrier_wait -1
	global_inv scope:SCOPE_SE
	ds_load_b128 v[10:13], v99
	ds_load_b128 v[23:26], v98
	ds_load_b128 v[27:30], v98 offset:256
	ds_load_b128 v[31:34], v99 offset:4608
	v_dual_mov_b32 v8, 0 :: v_dual_mov_b32 v21, 0
	s_wait_dscnt 0x2
	;;#ASMSTART
	v_dot2_f32_f16 v8, v10, v23, v8
	;;#ASMEND
	;;#ASMSTART
	v_dot2_f32_f16 v8, v11, v24, v8
	;;#ASMEND
	;; [unrolled: 3-line block ×4, first 2 shown]
	s_wait_dscnt 0x1
	;;#ASMSTART
	v_dot2_f32_f16 v21, v10, v27, v21
	;;#ASMEND
	;;#ASMSTART
	v_dot2_f32_f16 v21, v11, v28, v21
	;;#ASMEND
	v_dual_mov_b32 v9, 0 :: v_dual_mov_b32 v22, 0
	;;#ASMSTART
	v_dot2_f32_f16 v21, v12, v29, v21
	;;#ASMEND
	;;#ASMSTART
	v_dot2_f32_f16 v21, v13, v30, v21
	;;#ASMEND
	s_wait_dscnt 0x0
	;;#ASMSTART
	v_dot2_f32_f16 v9, v31, v23, v9
	;;#ASMEND
	;;#ASMSTART
	v_dot2_f32_f16 v9, v32, v24, v9
	;;#ASMEND
	;;#ASMSTART
	v_dot2_f32_f16 v9, v33, v25, v9
	;;#ASMEND
	;;#ASMSTART
	v_dot2_f32_f16 v9, v34, v26, v9
	;;#ASMEND
	;;#ASMSTART
	v_dot2_f32_f16 v22, v31, v27, v22
	;;#ASMEND
	;;#ASMSTART
	v_dot2_f32_f16 v22, v32, v28, v22
	;;#ASMEND
	;;#ASMSTART
	v_dot2_f32_f16 v22, v33, v29, v22
	;;#ASMEND
	;;#ASMSTART
	v_dot2_f32_f16 v22, v34, v30, v22
	;;#ASMEND
	ds_load_b128 v[10:13], v99 offset:16
	ds_load_b128 v[23:26], v98 offset:16
	ds_load_b128 v[27:30], v98 offset:272
	ds_load_b128 v[31:34], v99 offset:4624
	s_wait_dscnt 0x2
	;;#ASMSTART
	v_dot2_f32_f16 v8, v10, v23, v8
	;;#ASMEND
	;;#ASMSTART
	v_dot2_f32_f16 v8, v11, v24, v8
	;;#ASMEND
	;;#ASMSTART
	v_dot2_f32_f16 v8, v12, v25, v8
	;;#ASMEND
	;;#ASMSTART
	v_dot2_f32_f16 v8, v13, v26, v8
	;;#ASMEND
	s_wait_dscnt 0x1
	;;#ASMSTART
	v_dot2_f32_f16 v21, v10, v27, v21
	;;#ASMEND
	;;#ASMSTART
	v_dot2_f32_f16 v21, v11, v28, v21
	;;#ASMEND
	;;#ASMSTART
	v_dot2_f32_f16 v21, v12, v29, v21
	;;#ASMEND
	;;#ASMSTART
	v_dot2_f32_f16 v21, v13, v30, v21
	;;#ASMEND
	s_wait_dscnt 0x0
	;;#ASMSTART
	v_dot2_f32_f16 v9, v31, v23, v9
	;;#ASMEND
	;;#ASMSTART
	v_dot2_f32_f16 v9, v32, v24, v9
	;;#ASMEND
	;;#ASMSTART
	v_dot2_f32_f16 v9, v33, v25, v9
	;;#ASMEND
	;;#ASMSTART
	v_dot2_f32_f16 v9, v34, v26, v9
	;;#ASMEND
	;;#ASMSTART
	v_dot2_f32_f16 v22, v31, v27, v22
	;;#ASMEND
	;;#ASMSTART
	v_dot2_f32_f16 v22, v32, v28, v22
	;;#ASMEND
	;;#ASMSTART
	v_dot2_f32_f16 v22, v33, v29, v22
	;;#ASMEND
	;;#ASMSTART
	v_dot2_f32_f16 v22, v34, v30, v22
	;;#ASMEND
	ds_load_b128 v[10:13], v99 offset:32
	ds_load_b128 v[23:26], v98 offset:32
	ds_load_b128 v[27:30], v98 offset:288
	ds_load_b128 v[31:34], v99 offset:4640
	s_wait_dscnt 0x2
	;;#ASMSTART
	v_dot2_f32_f16 v8, v10, v23, v8
	;;#ASMEND
	;;#ASMSTART
	v_dot2_f32_f16 v8, v11, v24, v8
	;;#ASMEND
	;;#ASMSTART
	v_dot2_f32_f16 v8, v12, v25, v8
	;;#ASMEND
	;;#ASMSTART
	v_dot2_f32_f16 v8, v13, v26, v8
	;;#ASMEND
	s_wait_dscnt 0x1
	;;#ASMSTART
	v_dot2_f32_f16 v21, v10, v27, v21
	;;#ASMEND
	;;#ASMSTART
	v_dot2_f32_f16 v21, v11, v28, v21
	;;#ASMEND
	;; [unrolled: 55-line block ×7, first 2 shown]
	;;#ASMSTART
	v_dot2_f32_f16 v21, v12, v29, v21
	;;#ASMEND
	;;#ASMSTART
	v_dot2_f32_f16 v21, v13, v30, v21
	;;#ASMEND
	s_wait_dscnt 0x0
	;;#ASMSTART
	v_dot2_f32_f16 v9, v31, v23, v9
	;;#ASMEND
	;;#ASMSTART
	v_dot2_f32_f16 v9, v32, v24, v9
	;;#ASMEND
	;; [unrolled: 3-line block ×8, first 2 shown]
	s_wait_loadcnt 0x0
	s_barrier_signal -1
	s_barrier_wait -1
	global_inv scope:SCOPE_SE
	s_clause 0x3
	global_load_b128 v[10:13], v[0:1], off offset:128
	global_load_b128 v[0:3], v[2:3], off offset:128
	;; [unrolled: 1-line block ×4, first 2 shown]
	s_wait_loadcnt 0x3
	ds_store_b128 v94, v[10:13]
	s_wait_loadcnt 0x2
	ds_store_b128 v95, v[0:3]
	;; [unrolled: 2-line block ×4, first 2 shown]
	s_wait_dscnt 0x0
	s_barrier_signal -1
	s_barrier_wait -1
	global_inv scope:SCOPE_SE
	ds_load_b128 v[0:3], v99
	ds_load_b128 v[4:7], v98 offset:128
	ds_load_b128 v[10:13], v98 offset:384
	ds_load_b128 v[23:26], v99 offset:4608
	s_wait_dscnt 0x2
	;;#ASMSTART
	v_dot2_f32_f16 v8, v0, v4, v8
	;;#ASMEND
	;;#ASMSTART
	v_dot2_f32_f16 v8, v1, v5, v8
	;;#ASMEND
	;;#ASMSTART
	v_dot2_f32_f16 v8, v2, v6, v8
	;;#ASMEND
	;;#ASMSTART
	v_dot2_f32_f16 v8, v3, v7, v8
	;;#ASMEND
	s_wait_dscnt 0x1
	;;#ASMSTART
	v_dot2_f32_f16 v21, v0, v10, v21
	;;#ASMEND
	;;#ASMSTART
	v_dot2_f32_f16 v21, v1, v11, v21
	;;#ASMEND
	;;#ASMSTART
	v_dot2_f32_f16 v21, v2, v12, v21
	;;#ASMEND
	;;#ASMSTART
	v_dot2_f32_f16 v21, v3, v13, v21
	;;#ASMEND
	s_wait_dscnt 0x0
	;;#ASMSTART
	v_dot2_f32_f16 v9, v23, v4, v9
	;;#ASMEND
	;;#ASMSTART
	v_dot2_f32_f16 v9, v24, v5, v9
	;;#ASMEND
	;;#ASMSTART
	v_dot2_f32_f16 v9, v25, v6, v9
	;;#ASMEND
	;;#ASMSTART
	v_dot2_f32_f16 v9, v26, v7, v9
	;;#ASMEND
	;;#ASMSTART
	v_dot2_f32_f16 v22, v23, v10, v22
	;;#ASMEND
	;;#ASMSTART
	v_dot2_f32_f16 v22, v24, v11, v22
	;;#ASMEND
	;;#ASMSTART
	v_dot2_f32_f16 v22, v25, v12, v22
	;;#ASMEND
	;;#ASMSTART
	v_dot2_f32_f16 v22, v26, v13, v22
	;;#ASMEND
	ds_load_b128 v[0:3], v99 offset:16
	ds_load_b128 v[4:7], v98 offset:144
	ds_load_b128 v[10:13], v98 offset:400
	ds_load_b128 v[23:26], v99 offset:4624
	s_wait_dscnt 0x2
	;;#ASMSTART
	v_dot2_f32_f16 v8, v0, v4, v8
	;;#ASMEND
	;;#ASMSTART
	v_dot2_f32_f16 v8, v1, v5, v8
	;;#ASMEND
	;;#ASMSTART
	v_dot2_f32_f16 v8, v2, v6, v8
	;;#ASMEND
	;;#ASMSTART
	v_dot2_f32_f16 v8, v3, v7, v8
	;;#ASMEND
	s_wait_dscnt 0x1
	;;#ASMSTART
	v_dot2_f32_f16 v21, v0, v10, v21
	;;#ASMEND
	;;#ASMSTART
	v_dot2_f32_f16 v21, v1, v11, v21
	;;#ASMEND
	;;#ASMSTART
	v_dot2_f32_f16 v21, v2, v12, v21
	;;#ASMEND
	;;#ASMSTART
	v_dot2_f32_f16 v21, v3, v13, v21
	;;#ASMEND
	s_wait_dscnt 0x0
	;;#ASMSTART
	v_dot2_f32_f16 v9, v23, v4, v9
	;;#ASMEND
	;;#ASMSTART
	v_dot2_f32_f16 v9, v24, v5, v9
	;;#ASMEND
	;;#ASMSTART
	v_dot2_f32_f16 v9, v25, v6, v9
	;;#ASMEND
	;;#ASMSTART
	v_dot2_f32_f16 v9, v26, v7, v9
	;;#ASMEND
	;;#ASMSTART
	v_dot2_f32_f16 v22, v23, v10, v22
	;;#ASMEND
	;;#ASMSTART
	v_dot2_f32_f16 v22, v24, v11, v22
	;;#ASMEND
	;;#ASMSTART
	v_dot2_f32_f16 v22, v25, v12, v22
	;;#ASMEND
	;;#ASMSTART
	v_dot2_f32_f16 v22, v26, v13, v22
	;;#ASMEND
	ds_load_b128 v[0:3], v99 offset:32
	;; [unrolled: 55-line block ×7, first 2 shown]
	ds_load_b128 v[4:7], v98 offset:240
	ds_load_b128 v[10:13], v98 offset:496
	;; [unrolled: 1-line block ×3, first 2 shown]
	s_wait_dscnt 0x2
	;;#ASMSTART
	v_dot2_f32_f16 v8, v0, v4, v8
	;;#ASMEND
	;;#ASMSTART
	v_dot2_f32_f16 v8, v1, v5, v8
	;;#ASMEND
	;; [unrolled: 3-line block ×4, first 2 shown]
	s_wait_dscnt 0x1
	;;#ASMSTART
	v_dot2_f32_f16 v21, v0, v10, v21
	;;#ASMEND
	;;#ASMSTART
	v_dot2_f32_f16 v21, v1, v11, v21
	;;#ASMEND
	;; [unrolled: 3-line block ×4, first 2 shown]
	s_wait_dscnt 0x0
	;;#ASMSTART
	v_dot2_f32_f16 v9, v23, v4, v9
	;;#ASMEND
	v_cmp_ngt_f32_e64 s26, 0x3f200000, |v8|
	;;#ASMSTART
	v_dot2_f32_f16 v9, v24, v5, v9
	;;#ASMEND
	;;#ASMSTART
	v_dot2_f32_f16 v9, v25, v6, v9
	;;#ASMEND
	;; [unrolled: 3-line block ×7, first 2 shown]
                                        ; implicit-def: $vgpr2
	s_and_saveexec_b32 s27, s26
	s_wait_alu 0xfffe
	s_xor_b32 s26, exec_lo, s27
	s_cbranch_execz .LBB74_11
; %bb.10:                               ;   in Loop: Header=BB74_9 Depth=1
	v_add_f32_e64 v0, |v8|, |v8|
	s_delay_alu instid0(VALU_DEP_1) | instskip(SKIP_1) | instid1(VALU_DEP_2)
	v_mul_f32_e32 v1, 0x3fb8aa3b, v0
	v_cmp_ngt_f32_e32 vcc_lo, 0xc2ce8ed0, v0
	v_rndne_f32_e32 v2, v1
	v_fma_f32 v3, 0x3fb8aa3b, v0, -v1
	s_delay_alu instid0(VALU_DEP_2) | instskip(NEXT) | instid1(VALU_DEP_2)
	v_sub_f32_e32 v1, v1, v2
	v_fmac_f32_e32 v3, 0x32a5705f, v0
	v_cvt_i32_f32_e32 v2, v2
	s_delay_alu instid0(VALU_DEP_2) | instskip(NEXT) | instid1(VALU_DEP_1)
	v_add_f32_e32 v1, v1, v3
	v_exp_f32_e32 v1, v1
	s_delay_alu instid0(TRANS32_DEP_1) | instskip(SKIP_1) | instid1(VALU_DEP_1)
	v_ldexp_f32 v1, v1, v2
	s_wait_alu 0xfffd
	v_cndmask_b32_e32 v1, 0, v1, vcc_lo
	v_cmp_nlt_f32_e32 vcc_lo, 0x42b17218, v0
	s_wait_alu 0xfffd
	s_delay_alu instid0(VALU_DEP_2) | instskip(NEXT) | instid1(VALU_DEP_1)
	v_cndmask_b32_e32 v0, 0x7f800000, v1, vcc_lo
	v_add_f32_e32 v0, 1.0, v0
	s_delay_alu instid0(VALU_DEP_1) | instskip(NEXT) | instid1(TRANS32_DEP_1)
	v_rcp_f32_e32 v0, v0
	v_fma_f32 v2, v0, -2.0, 1.0
.LBB74_11:                              ;   in Loop: Header=BB74_9 Depth=1
	s_wait_alu 0xfffe
	s_and_not1_saveexec_b32 s26, s26
	s_cbranch_execz .LBB74_13
; %bb.12:                               ;   in Loop: Header=BB74_9 Depth=1
	v_mul_f32_e32 v0, v8, v8
	s_delay_alu instid0(VALU_DEP_1) | instskip(NEXT) | instid1(VALU_DEP_1)
	v_fmaak_f32 v1, s3, v0, 0x3ca908c9
	v_fmaak_f32 v1, v0, v1, 0xbd5c1c4e
	s_delay_alu instid0(VALU_DEP_1) | instskip(NEXT) | instid1(VALU_DEP_1)
	v_fmaak_f32 v1, v0, v1, 0x3e088382
	v_fmaak_f32 v1, v0, v1, 0xbeaaaa99
	s_delay_alu instid0(VALU_DEP_1) | instskip(NEXT) | instid1(VALU_DEP_1)
	v_mul_f32_e64 v1, |v8|, v1
	v_fma_f32 v2, v0, v1, |v8|
.LBB74_13:                              ;   in Loop: Header=BB74_9 Depth=1
	s_wait_alu 0xfffe
	s_or_b32 exec_lo, exec_lo, s26
	v_add_nc_u32_e32 v0, s10, v70
	v_cmp_ngt_f32_e64 s26, 0x3f200000, |v9|
                                        ; implicit-def: $vgpr3
	s_delay_alu instid0(VALU_DEP_2) | instskip(NEXT) | instid1(VALU_DEP_1)
	v_ashrrev_i32_e32 v1, 31, v0
	v_lshlrev_b64_e32 v[0:1], 1, v[0:1]
	s_delay_alu instid0(VALU_DEP_1) | instskip(SKIP_1) | instid1(VALU_DEP_2)
	v_add_co_u32 v0, vcc_lo, s30, v0
	s_wait_alu 0xfffd
	v_add_co_ci_u32_e64 v1, null, s31, v1, vcc_lo
	global_load_u16 v28, v[0:1], off
	s_and_saveexec_b32 s27, s26
	s_wait_alu 0xfffe
	s_xor_b32 s26, exec_lo, s27
	s_cbranch_execz .LBB74_15
; %bb.14:                               ;   in Loop: Header=BB74_9 Depth=1
	v_add_f32_e64 v3, |v9|, |v9|
	s_delay_alu instid0(VALU_DEP_1) | instskip(SKIP_1) | instid1(VALU_DEP_2)
	v_mul_f32_e32 v4, 0x3fb8aa3b, v3
	v_cmp_ngt_f32_e32 vcc_lo, 0xc2ce8ed0, v3
	v_rndne_f32_e32 v5, v4
	v_fma_f32 v6, 0x3fb8aa3b, v3, -v4
	s_delay_alu instid0(VALU_DEP_2) | instskip(NEXT) | instid1(VALU_DEP_2)
	v_sub_f32_e32 v4, v4, v5
	v_fmac_f32_e32 v6, 0x32a5705f, v3
	v_cvt_i32_f32_e32 v5, v5
	s_delay_alu instid0(VALU_DEP_2) | instskip(NEXT) | instid1(VALU_DEP_1)
	v_add_f32_e32 v4, v4, v6
	v_exp_f32_e32 v4, v4
	s_delay_alu instid0(TRANS32_DEP_1) | instskip(SKIP_1) | instid1(VALU_DEP_1)
	v_ldexp_f32 v4, v4, v5
	s_wait_alu 0xfffd
	v_cndmask_b32_e32 v4, 0, v4, vcc_lo
	v_cmp_nlt_f32_e32 vcc_lo, 0x42b17218, v3
	s_wait_alu 0xfffd
	s_delay_alu instid0(VALU_DEP_2) | instskip(NEXT) | instid1(VALU_DEP_1)
	v_cndmask_b32_e32 v3, 0x7f800000, v4, vcc_lo
	v_add_f32_e32 v3, 1.0, v3
	s_delay_alu instid0(VALU_DEP_1) | instskip(NEXT) | instid1(TRANS32_DEP_1)
	v_rcp_f32_e32 v3, v3
	v_fma_f32 v3, v3, -2.0, 1.0
.LBB74_15:                              ;   in Loop: Header=BB74_9 Depth=1
	s_wait_alu 0xfffe
	s_and_not1_saveexec_b32 s26, s26
	s_cbranch_execz .LBB74_17
; %bb.16:                               ;   in Loop: Header=BB74_9 Depth=1
	v_mul_f32_e32 v3, v9, v9
	s_delay_alu instid0(VALU_DEP_1) | instskip(NEXT) | instid1(VALU_DEP_1)
	v_fmaak_f32 v4, s3, v3, 0x3ca908c9
	v_fmaak_f32 v4, v3, v4, 0xbd5c1c4e
	s_delay_alu instid0(VALU_DEP_1) | instskip(NEXT) | instid1(VALU_DEP_1)
	v_fmaak_f32 v4, v3, v4, 0x3e088382
	v_fmaak_f32 v4, v3, v4, 0xbeaaaa99
	s_delay_alu instid0(VALU_DEP_1) | instskip(NEXT) | instid1(VALU_DEP_1)
	v_mul_f32_e64 v4, |v9|, v4
	v_fma_f32 v3, v3, v4, |v9|
.LBB74_17:                              ;   in Loop: Header=BB74_9 Depth=1
	s_wait_alu 0xfffe
	s_or_b32 exec_lo, exec_lo, s26
	global_load_u16 v30, v[0:1], off offset:64
	v_bfi_b32 v0, 0x7fffffff, v2, v8
	v_bfi_b32 v1, 0x7fffffff, v3, v9
	v_xor_b32_e32 v111, 16, v92
	v_xor_b32_e32 v107, 8, v92
	;; [unrolled: 1-line block ×3, first 2 shown]
	s_wait_loadcnt 0x1
	v_fma_mix_f32 v25, s5, v0, v28 op_sel_hi:[0,0,1]
	v_xor_b32_e32 v109, 2, v92
	v_cmp_gt_i32_e32 vcc_lo, 32, v111
	v_xor_b32_e32 v110, 1, v92
	v_cmp_ngt_f32_e64 s26, 0x3f200000, |v21|
	v_add_f32_e32 v0, 0x40051340, v25
                                        ; implicit-def: $vgpr35
	s_wait_loadcnt 0x0
	v_fma_mix_f32 v26, s5, v1, v30 op_sel_hi:[0,0,1]
	s_wait_alu 0xfffd
	v_cndmask_b32_e32 v1, v92, v111, vcc_lo
	v_cmp_gt_i32_e32 vcc_lo, 32, v107
	s_delay_alu instid0(VALU_DEP_2) | instskip(NEXT) | instid1(VALU_DEP_1)
	v_dual_add_f32 v2, 0x40051340, v26 :: v_dual_lshlrev_b32 v31, 2, v1
	v_max3_num_f32 v0, v20, v0, v2
	ds_bpermute_b32 v1, v31, v0
	s_wait_alu 0xfffd
	v_cndmask_b32_e32 v2, v92, v107, vcc_lo
	v_cmp_gt_i32_e32 vcc_lo, 32, v108
	s_wait_dscnt 0x0
	s_delay_alu instid0(VALU_DEP_2) | instskip(SKIP_3) | instid1(VALU_DEP_2)
	v_dual_max_num_f32 v1, v1, v1 :: v_dual_lshlrev_b32 v32, 2, v2
	s_wait_alu 0xfffd
	v_cndmask_b32_e32 v2, v92, v108, vcc_lo
	v_cmp_gt_i32_e32 vcc_lo, 32, v109
	v_dual_max_num_f32 v0, v0, v1 :: v_dual_lshlrev_b32 v33, 2, v2
	s_wait_alu 0xfffd
	v_cndmask_b32_e32 v2, v92, v109, vcc_lo
	v_cmp_gt_i32_e32 vcc_lo, 32, v110
	ds_bpermute_b32 v1, v32, v0
	v_lshlrev_b32_e32 v24, 2, v2
	s_wait_alu 0xfffd
	v_cndmask_b32_e32 v2, v92, v110, vcc_lo
	s_delay_alu instid0(VALU_DEP_1) | instskip(SKIP_2) | instid1(VALU_DEP_1)
	v_lshlrev_b32_e32 v23, 2, v2
	s_wait_dscnt 0x0
	v_max_num_f32_e32 v1, v1, v1
	v_max_num_f32_e32 v0, v0, v1
	ds_bpermute_b32 v1, v33, v0
	s_wait_dscnt 0x0
	v_max_num_f32_e32 v1, v1, v1
	s_delay_alu instid0(VALU_DEP_1) | instskip(SKIP_3) | instid1(VALU_DEP_1)
	v_max_num_f32_e32 v0, v0, v1
	ds_bpermute_b32 v1, v24, v0
	s_wait_dscnt 0x0
	v_max_num_f32_e32 v1, v1, v1
	v_max_num_f32_e32 v27, v0, v1
	ds_bpermute_b32 v34, v23, v27
	s_and_saveexec_b32 s27, s26
	s_wait_alu 0xfffe
	s_xor_b32 s26, exec_lo, s27
	s_cbranch_execz .LBB74_19
; %bb.18:                               ;   in Loop: Header=BB74_9 Depth=1
	v_add_f32_e64 v0, |v21|, |v21|
	s_delay_alu instid0(VALU_DEP_1) | instskip(SKIP_1) | instid1(VALU_DEP_2)
	v_mul_f32_e32 v1, 0x3fb8aa3b, v0
	v_cmp_ngt_f32_e32 vcc_lo, 0xc2ce8ed0, v0
	v_rndne_f32_e32 v2, v1
	v_fma_f32 v3, 0x3fb8aa3b, v0, -v1
	s_delay_alu instid0(VALU_DEP_2) | instskip(NEXT) | instid1(VALU_DEP_2)
	v_sub_f32_e32 v1, v1, v2
	v_fmac_f32_e32 v3, 0x32a5705f, v0
	v_cvt_i32_f32_e32 v2, v2
	s_delay_alu instid0(VALU_DEP_2) | instskip(NEXT) | instid1(VALU_DEP_1)
	v_add_f32_e32 v1, v1, v3
	v_exp_f32_e32 v1, v1
	s_delay_alu instid0(TRANS32_DEP_1) | instskip(SKIP_1) | instid1(VALU_DEP_1)
	v_ldexp_f32 v1, v1, v2
	s_wait_alu 0xfffd
	v_cndmask_b32_e32 v1, 0, v1, vcc_lo
	v_cmp_nlt_f32_e32 vcc_lo, 0x42b17218, v0
	s_wait_alu 0xfffd
	s_delay_alu instid0(VALU_DEP_2) | instskip(NEXT) | instid1(VALU_DEP_1)
	v_cndmask_b32_e32 v0, 0x7f800000, v1, vcc_lo
	v_add_f32_e32 v0, 1.0, v0
	s_delay_alu instid0(VALU_DEP_1) | instskip(NEXT) | instid1(TRANS32_DEP_1)
	v_rcp_f32_e32 v0, v0
	v_fma_f32 v35, v0, -2.0, 1.0
.LBB74_19:                              ;   in Loop: Header=BB74_9 Depth=1
	s_wait_alu 0xfffe
	s_and_not1_saveexec_b32 s26, s26
	s_cbranch_execz .LBB74_21
; %bb.20:                               ;   in Loop: Header=BB74_9 Depth=1
	v_mul_f32_e32 v0, v21, v21
	s_delay_alu instid0(VALU_DEP_1) | instskip(NEXT) | instid1(VALU_DEP_1)
	v_fmaak_f32 v1, s3, v0, 0x3ca908c9
	v_fmaak_f32 v1, v0, v1, 0xbd5c1c4e
	s_delay_alu instid0(VALU_DEP_1) | instskip(NEXT) | instid1(VALU_DEP_1)
	v_fmaak_f32 v1, v0, v1, 0x3e088382
	v_fmaak_f32 v1, v0, v1, 0xbeaaaa99
	s_delay_alu instid0(VALU_DEP_1) | instskip(NEXT) | instid1(VALU_DEP_1)
	v_mul_f32_e64 v1, |v21|, v1
	v_fma_f32 v35, v0, v1, |v21|
.LBB74_21:                              ;   in Loop: Header=BB74_9 Depth=1
	s_wait_alu 0xfffe
	s_or_b32 exec_lo, exec_lo, s26
	v_cmp_ngt_f32_e64 s26, 0x3f200000, |v22|
                                        ; implicit-def: $vgpr36
	s_and_saveexec_b32 s27, s26
	s_wait_alu 0xfffe
	s_xor_b32 s26, exec_lo, s27
	s_cbranch_execz .LBB74_23
; %bb.22:                               ;   in Loop: Header=BB74_9 Depth=1
	v_add_f32_e64 v0, |v22|, |v22|
	s_delay_alu instid0(VALU_DEP_1) | instskip(SKIP_1) | instid1(VALU_DEP_2)
	v_mul_f32_e32 v1, 0x3fb8aa3b, v0
	v_cmp_ngt_f32_e32 vcc_lo, 0xc2ce8ed0, v0
	v_rndne_f32_e32 v2, v1
	v_fma_f32 v3, 0x3fb8aa3b, v0, -v1
	s_delay_alu instid0(VALU_DEP_2) | instskip(NEXT) | instid1(VALU_DEP_2)
	v_sub_f32_e32 v1, v1, v2
	v_fmac_f32_e32 v3, 0x32a5705f, v0
	v_cvt_i32_f32_e32 v2, v2
	s_delay_alu instid0(VALU_DEP_2) | instskip(NEXT) | instid1(VALU_DEP_1)
	v_add_f32_e32 v1, v1, v3
	v_exp_f32_e32 v1, v1
	s_delay_alu instid0(TRANS32_DEP_1) | instskip(SKIP_1) | instid1(VALU_DEP_1)
	v_ldexp_f32 v1, v1, v2
	s_wait_alu 0xfffd
	v_cndmask_b32_e32 v1, 0, v1, vcc_lo
	v_cmp_nlt_f32_e32 vcc_lo, 0x42b17218, v0
	s_wait_alu 0xfffd
	s_delay_alu instid0(VALU_DEP_2) | instskip(NEXT) | instid1(VALU_DEP_1)
	v_cndmask_b32_e32 v0, 0x7f800000, v1, vcc_lo
	v_add_f32_e32 v0, 1.0, v0
	s_delay_alu instid0(VALU_DEP_1) | instskip(NEXT) | instid1(TRANS32_DEP_1)
	v_rcp_f32_e32 v0, v0
	v_fma_f32 v36, v0, -2.0, 1.0
.LBB74_23:                              ;   in Loop: Header=BB74_9 Depth=1
	s_wait_alu 0xfffe
	s_and_not1_saveexec_b32 s26, s26
	s_cbranch_execz .LBB74_25
; %bb.24:                               ;   in Loop: Header=BB74_9 Depth=1
	v_mul_f32_e32 v0, v22, v22
	s_delay_alu instid0(VALU_DEP_1) | instskip(NEXT) | instid1(VALU_DEP_1)
	v_fmaak_f32 v1, s3, v0, 0x3ca908c9
	v_fmaak_f32 v1, v0, v1, 0xbd5c1c4e
	s_delay_alu instid0(VALU_DEP_1) | instskip(NEXT) | instid1(VALU_DEP_1)
	v_fmaak_f32 v1, v0, v1, 0x3e088382
	v_fmaak_f32 v1, v0, v1, 0xbeaaaa99
	s_delay_alu instid0(VALU_DEP_1) | instskip(NEXT) | instid1(VALU_DEP_1)
	v_mul_f32_e64 v1, |v22|, v1
	v_fma_f32 v36, v0, v1, |v22|
.LBB74_25:                              ;   in Loop: Header=BB74_9 Depth=1
	s_wait_alu 0xfffe
	s_or_b32 exec_lo, exec_lo, s26
	s_mul_u64 s[26:27], s[10:11], s[14:15]
	s_wait_dscnt 0x0
	s_wait_alu 0xfffe
	s_lshl_b64 s[26:27], s[26:27], 2
	s_barrier_signal -1
	s_wait_alu 0xfffe
	s_add_nc_u64 s[26:27], s[8:9], s[26:27]
	s_barrier_wait -1
	s_wait_alu 0xfffe
	v_add_co_u32 v0, vcc_lo, s26, v79
	s_wait_alu 0xfffd
	v_add_co_ci_u32_e64 v1, null, s27, v80, vcc_lo
	v_add_co_u32 v2, vcc_lo, s26, v81
	s_wait_alu 0xfffd
	v_add_co_ci_u32_e64 v3, null, s27, v82, vcc_lo
	;; [unrolled: 3-line block ×8, first 2 shown]
	global_inv scope:SCOPE_SE
	s_clause 0x3
	global_load_b128 v[0:3], v[0:1], off
	global_load_b128 v[4:7], v[4:5], off
	;; [unrolled: 1-line block ×4, first 2 shown]
	v_cvt_f32_f16_e32 v29, v28
	v_cvt_f32_f16_e32 v28, v30
	v_bfi_b32 v21, 0x7fffffff, v35, v21
	v_bfi_b32 v22, 0x7fffffff, v36, v22
	v_max_num_f32_e32 v27, v27, v27
	v_add_nc_u32_e32 v60, 0x1000, v91
	s_or_b32 s26, s10, 32
	s_delay_alu instid0(VALU_DEP_3) | instskip(SKIP_3) | instid1(VALU_DEP_2)
	v_dual_fmac_f32 v29, s5, v21 :: v_dual_fmac_f32 v28, s5, v22
	s_wait_alu 0xfffe
	s_ashr_i32 s27, s26, 31
	v_dual_max_num_f32 v30, v34, v34 :: v_dual_add_nc_u32 v51, 0x800, v91
	v_dual_add_f32 v21, 0x40051340, v29 :: v_dual_add_f32 v22, 0x40051340, v28
	s_wait_alu 0xfffe
	s_mul_u64 s[26:27], s[26:27], s[14:15]
	v_add_nc_u32_e32 v114, 0x1800, v91
	s_wait_alu 0xfffe
	s_lshl_b64 s[26:27], s[26:27], 2
	v_max3_num_f32 v21, v19, v21, v22
	s_wait_alu 0xfffe
	s_add_nc_u64 s[26:27], s[8:9], s[26:27]
	ds_bpermute_b32 v22, v31, v21
	s_wait_dscnt 0x0
	v_dual_max_num_f32 v22, v22, v22 :: v_dual_add_nc_u32 v31, v101, v89
	s_delay_alu instid0(VALU_DEP_1) | instskip(SKIP_3) | instid1(VALU_DEP_1)
	v_max_num_f32_e32 v21, v21, v22
	ds_bpermute_b32 v22, v32, v21
	s_wait_dscnt 0x0
	v_max_num_f32_e32 v22, v22, v22
	v_max_num_f32_e32 v21, v21, v22
	ds_bpermute_b32 v22, v33, v21
	s_wait_dscnt 0x0
	v_max_num_f32_e32 v22, v22, v22
	s_delay_alu instid0(VALU_DEP_1)
	v_max_num_f32_e32 v21, v21, v22
	s_wait_alu 0xfffe
	v_add_co_u32 v22, vcc_lo, s26, v79
	ds_bpermute_b32 v24, v24, v21
	v_max_num_f32_e32 v87, v27, v30
	s_wait_alu 0xfffd
	v_add_co_ci_u32_e64 v27, null, s27, v80, vcc_lo
	v_add_co_u32 v30, vcc_lo, s26, v81
	s_wait_alu 0xfffd
	v_add_co_ci_u32_e64 v32, null, s27, v82, vcc_lo
	v_add_co_u32 v33, vcc_lo, s26, v83
	;; [unrolled: 3-line block ×4, first 2 shown]
	s_wait_alu 0xfffd
	v_add_co_ci_u32_e64 v45, null, 0, v27, vcc_lo
	s_wait_dscnt 0x0
	v_dual_max_num_f32 v22, v24, v24 :: v_dual_sub_f32 v25, v25, v87
	v_sub_f32_e32 v20, v20, v87
	v_add_co_u32 v46, vcc_lo, v30, v106
	s_wait_alu 0xfffd
	v_add_co_ci_u32_e64 v47, null, 0, v32, vcc_lo
	v_dual_mul_f32 v37, 0x3fb8aa3b, v25 :: v_dual_sub_f32 v26, v26, v87
	v_mul_f32_e32 v39, 0x3fb8aa3b, v20
	v_add_co_u32 v40, vcc_lo, v33, v106
	s_delay_alu instid0(VALU_DEP_3) | instskip(SKIP_1) | instid1(VALU_DEP_4)
	v_fma_f32 v24, 0x3fb8aa3b, v25, -v37
	v_rndne_f32_e32 v27, v37
	v_fma_f32 v32, 0x3fb8aa3b, v20, -v39
	v_mul_f32_e32 v38, 0x3fb8aa3b, v26
	v_rndne_f32_e32 v42, v39
	v_dual_fmac_f32 v24, 0x32a5705f, v25 :: v_dual_max_num_f32 v21, v21, v22
	s_delay_alu instid0(VALU_DEP_4) | instskip(NEXT) | instid1(VALU_DEP_3)
	v_dual_fmac_f32 v32, 0x32a5705f, v20 :: v_dual_sub_f32 v37, v37, v27
	v_sub_f32_e32 v39, v39, v42
	v_fma_f32 v22, 0x3fb8aa3b, v26, -v38
	ds_bpermute_b32 v23, v23, v21
	v_rndne_f32_e32 v30, v38
	v_add_f32_e32 v24, v37, v24
	v_cvt_i32_f32_e32 v27, v27
	s_wait_alu 0xfffd
	v_add_co_ci_u32_e64 v41, null, 0, v34, vcc_lo
	v_cvt_i32_f32_e32 v33, v42
	v_exp_f32_e32 v24, v24
	v_add_co_u32 v42, vcc_lo, v35, v106
	v_fmac_f32_e32 v22, 0x32a5705f, v26
	s_wait_alu 0xfffd
	v_add_co_ci_u32_e64 v43, null, 0, v36, vcc_lo
	v_cmp_ngt_f32_e32 vcc_lo, 0xc2ce8ed0, v25
	s_delay_alu instid0(TRANS32_DEP_1)
	v_ldexp_f32 v24, v24, v27
	v_sub_f32_e32 v38, v38, v30
	v_cvt_i32_f32_e32 v30, v30
	s_wait_dscnt 0x0
	v_max_num_f32_e32 v23, v23, v23
	s_wait_alu 0xfffd
	s_delay_alu instid0(VALU_DEP_1) | instskip(SKIP_2) | instid1(VALU_DEP_3)
	v_dual_max_num_f32 v88, v21, v23 :: v_dual_cndmask_b32 v23, 0, v24
	v_add_f32_e32 v22, v38, v22
	v_cmp_ngt_f32_e32 vcc_lo, 0xc2ce8ed0, v26
	v_sub_f32_e32 v19, v19, v88
	v_sub_f32_e32 v24, v29, v88
	s_delay_alu instid0(VALU_DEP_4) | instskip(NEXT) | instid1(VALU_DEP_2)
	v_exp_f32_e32 v22, v22
	v_mul_f32_e32 v29, 0x3fb8aa3b, v19
	s_delay_alu instid0(VALU_DEP_1) | instskip(NEXT) | instid1(TRANS32_DEP_1)
	v_rndne_f32_e32 v34, v29
	v_ldexp_f32 v21, v22, v30
	s_wait_alu 0xfffd
	s_delay_alu instid0(VALU_DEP_1) | instskip(NEXT) | instid1(VALU_DEP_1)
	v_dual_add_f32 v32, v39, v32 :: v_dual_cndmask_b32 v21, 0, v21
	v_exp_f32_e32 v32, v32
	v_cmp_ngt_f32_e32 vcc_lo, 0xc2ce8ed0, v20
	s_delay_alu instid0(TRANS32_DEP_1)
	v_ldexp_f32 v22, v32, v33
	v_sub_f32_e32 v27, v28, v88
	v_mul_f32_e32 v28, 0x3fb8aa3b, v24
	v_fma_f32 v33, 0x3fb8aa3b, v19, -v29
	v_sub_f32_e32 v29, v29, v34
	s_wait_alu 0xfffd
	v_cndmask_b32_e32 v22, 0, v22, vcc_lo
	v_cmp_nlt_f32_e32 vcc_lo, 0x42b17218, v25
	v_fma_f32 v32, 0x3fb8aa3b, v24, -v28
	v_fmac_f32_e32 v33, 0x32a5705f, v19
	v_rndne_f32_e32 v35, v28
	s_wait_alu 0xfffd
	v_cndmask_b32_e32 v23, 0x7f800000, v23, vcc_lo
	v_fmac_f32_e32 v32, 0x32a5705f, v24
	v_dual_mul_f32 v30, 0x3fb8aa3b, v27 :: v_dual_add_f32 v29, v29, v33
	v_cmp_nlt_f32_e32 vcc_lo, 0x42b17218, v26
	v_sub_f32_e32 v28, v28, v35
	s_delay_alu instid0(VALU_DEP_3)
	v_fma_f32 v36, 0x3fb8aa3b, v27, -v30
	v_rndne_f32_e32 v37, v30
	v_exp_f32_e32 v29, v29
	s_wait_alu 0xfffd
	v_cndmask_b32_e32 v21, 0x7f800000, v21, vcc_lo
	v_dual_add_f32 v25, v28, v32 :: v_dual_fmac_f32 v36, 0x32a5705f, v27
	v_sub_f32_e32 v30, v30, v37
	v_cmp_nlt_f32_e32 vcc_lo, 0x42b17218, v20
	v_cvt_f16_f32_e32 v32, v23
	s_delay_alu instid0(VALU_DEP_4)
	v_exp_f32_e32 v25, v25
	v_add_f32_e32 v112, v23, v21
	v_add_f32_e32 v28, v30, v36
	s_wait_alu 0xfffd
	v_cndmask_b32_e32 v20, 0x7f800000, v22, vcc_lo
	v_cvt_i32_f32_e32 v22, v35
	v_cvt_i32_f32_e32 v30, v37
	v_cmp_ngt_f32_e32 vcc_lo, 0xc2ce8ed0, v19
	v_exp_f32_e32 v26, v28
	v_cvt_i32_f32_e32 v28, v34
	v_ldexp_f32 v22, v25, v22
	s_delay_alu instid0(VALU_DEP_2) | instskip(NEXT) | instid1(TRANS32_DEP_1)
	v_ldexp_f32 v28, v29, v28
	v_ldexp_f32 v25, v26, v30
	s_wait_alu 0xfffd
	s_delay_alu instid0(VALU_DEP_2)
	v_cndmask_b32_e32 v26, 0, v28, vcc_lo
	v_cmp_ngt_f32_e32 vcc_lo, 0xc2ce8ed0, v24
	s_wait_alu 0xfffd
	v_cndmask_b32_e32 v22, 0, v22, vcc_lo
	v_cmp_ngt_f32_e32 vcc_lo, 0xc2ce8ed0, v27
	s_wait_alu 0xfffd
	v_cndmask_b32_e32 v25, 0, v25, vcc_lo
	v_cmp_nlt_f32_e32 vcc_lo, 0x42b17218, v19
	s_wait_alu 0xfffd
	v_cndmask_b32_e32 v52, 0x7f800000, v26, vcc_lo
	v_cmp_nlt_f32_e32 vcc_lo, 0x42b17218, v24
	s_delay_alu instid0(VALU_DEP_2) | instskip(SKIP_3) | instid1(VALU_DEP_3)
	v_cvt_f16_f32_e32 v24, v52
	s_wait_alu 0xfffd
	v_cndmask_b32_e32 v19, 0x7f800000, v22, vcc_lo
	v_cmp_nlt_f32_e32 vcc_lo, 0x42b17218, v27
	v_and_b32_e32 v24, 0xffff, v24
	s_delay_alu instid0(VALU_DEP_3)
	v_cvt_f16_f32_e32 v27, v19
	s_wait_alu 0xfffd
	v_cndmask_b32_e32 v22, 0x7f800000, v25, vcc_lo
	v_cvt_f16_f32_e32 v25, v21
	v_mul_u32_u24_e32 v58, 0x10001, v24
	v_pack_b32_f16 v21, v32, v27
	s_delay_alu instid0(VALU_DEP_4) | instskip(SKIP_1) | instid1(VALU_DEP_4)
	v_add_f32_e32 v113, v19, v22
	v_cvt_f16_f32_e32 v28, v22
	v_pk_mul_f16 v65, v16, v58
	s_delay_alu instid0(VALU_DEP_3) | instskip(SKIP_1) | instid1(VALU_DEP_4)
	v_fmac_f32_e32 v113, v50, v52
	v_cvt_f16_f32_e32 v29, v20
	v_pack_b32_f16 v23, v25, v28
	v_fmac_f32_e32 v112, v18, v20
	s_delay_alu instid0(VALU_DEP_3)
	v_and_b32_e32 v26, 0xffff, v29
	ds_store_2addr_b32 v31, v21, v23 offset1:32
	s_wait_loadcnt 0x3
	ds_store_b128 v100, v[0:3]
	s_wait_loadcnt 0x2
	ds_store_b128 v102, v[4:7]
	;; [unrolled: 2-line block ×4, first 2 shown]
	v_mul_u32_u24_e32 v57, 0x10001, v26
	s_wait_dscnt 0x0
	s_barrier_signal -1
	s_barrier_wait -1
	global_inv scope:SCOPE_SE
	v_pk_mul_f16 v59, v17, v57
	ds_load_2addr_b64 v[53:56], v91 offset1:32
	ds_load_b128 v[61:64], v101
	ds_load_b128 v[115:118], v101 offset:16
	ds_load_b128 v[119:122], v101 offset:32
	;; [unrolled: 1-line block ×3, first 2 shown]
	ds_load_2addr_b64 v[127:130], v91 offset0:64 offset1:96
	ds_load_2addr_b64 v[131:134], v91 offset0:128 offset1:160
	;; [unrolled: 1-line block ×3, first 2 shown]
	ds_load_2addr_b64 v[139:142], v51 offset1:32
	ds_load_2addr_b64 v[36:39], v51 offset0:64 offset1:96
	ds_load_2addr_b64 v[32:35], v51 offset0:128 offset1:160
	;; [unrolled: 1-line block ×3, first 2 shown]
	ds_load_2addr_b64 v[16:19], v60 offset1:32
	ds_load_2addr_b64 v[12:15], v60 offset0:64 offset1:96
	ds_load_2addr_b64 v[8:11], v60 offset0:128 offset1:160
	ds_load_b128 v[143:146], v101 offset:64
	ds_load_b128 v[147:150], v101 offset:80
	ds_load_2addr_b64 v[4:7], v60 offset0:192 offset1:224
	ds_load_2addr_b64 v[0:3], v114 offset1:32
	ds_load_2addr_b64 v[24:27], v114 offset0:64 offset1:96
	ds_load_2addr_b64 v[20:23], v114 offset0:128 offset1:160
	ds_load_b128 v[151:154], v101 offset:96
	ds_load_b128 v[155:158], v101 offset:112
	s_wait_dscnt 0x15
	v_lshrrev_b32_e32 v66, 16, v61
	v_and_b32_e32 v61, 0xffff, v61
	s_wait_dscnt 0x13
	v_lshrrev_b32_e32 v168, 16, v119
	v_and_b32_e32 v169, 0xffff, v119
	v_lshrrev_b32_e32 v67, 16, v62
	v_mul_u32_u24_e32 v66, 0x10001, v66
	v_mul_u32_u24_e32 v119, 0x10001, v61
	v_and_b32_e32 v159, 0xffff, v62
	v_lshrrev_b32_e32 v170, 16, v120
	v_and_b32_e32 v171, 0xffff, v120
	v_and_b32_e32 v161, 0xffff, v63
	v_pk_mul_f16 v120, v53, v119
	v_pk_mul_f16 v53, v53, v66
	v_pk_fma_f16 v59, v54, v119, v59
	v_mul_u32_u24_e32 v159, 0x10001, v159
	v_pk_fma_f16 v54, v54, v66, v65
	v_pk_fma_f16 v49, v49, v57, v120
	;; [unrolled: 1-line block ×3, first 2 shown]
	v_mul_u32_u24_e32 v53, 0x10001, v67
	v_pk_fma_f16 v58, v56, v159, v59
	v_lshrrev_b32_e32 v160, 16, v63
	v_pk_fma_f16 v49, v55, v159, v49
	v_lshrrev_b32_e32 v162, 16, v64
	v_pk_fma_f16 v65, v56, v53, v54
	v_pk_fma_f16 v48, v55, v53, v48
	v_mul_u32_u24_e32 v53, 0x10001, v161
	v_and_b32_e32 v163, 0xffff, v64
	v_lshrrev_b32_e32 v172, 16, v121
	v_and_b32_e32 v173, 0xffff, v121
	v_lshrrev_b32_e32 v174, 16, v122
	v_and_b32_e32 v175, 0xffff, v122
	ds_load_2addr_b64 v[61:64], v114 offset0:192 offset1:224
	s_wait_loadcnt_dscnt 0x0
	s_barrier_signal -1
	s_barrier_wait -1
	global_inv scope:SCOPE_SE
	s_clause 0x1
	global_load_b128 v[119:122], v[44:45], off
	global_load_b128 v[44:47], v[46:47], off
	v_pk_fma_f16 v58, v128, v53, v58
	v_pk_fma_f16 v49, v127, v53, v49
	s_clause 0x1
	global_load_b128 v[53:56], v[40:41], off
	global_load_b128 v[40:43], v[42:43], off
	v_mul_u32_u24_e32 v159, 0x10001, v160
	v_lshrrev_b32_e32 v164, 16, v115
	v_and_b32_e32 v115, 0xffff, v115
	v_mul_u32_u24_e32 v160, 0x10001, v163
	v_mul_u32_u24_e32 v161, 0x10001, v162
	v_pk_fma_f16 v65, v128, v159, v65
	v_pk_fma_f16 v48, v127, v159, v48
	v_lshrrev_b32_e32 v165, 16, v116
	v_and_b32_e32 v116, 0xffff, v116
	v_mul_u32_u24_e32 v115, 0x10001, v115
	v_mul_u32_u24_e32 v162, 0x10001, v164
	v_pk_fma_f16 v58, v130, v160, v58
	v_pk_fma_f16 v65, v130, v161, v65
	v_pk_fma_f16 v49, v129, v160, v49
	v_pk_fma_f16 v48, v129, v161, v48
	v_lshrrev_b32_e32 v166, 16, v117
	v_and_b32_e32 v117, 0xffff, v117
	v_mul_u32_u24_e32 v116, 0x10001, v116
	v_mul_u32_u24_e32 v163, 0x10001, v165
	v_pk_fma_f16 v58, v132, v115, v58
	v_pk_fma_f16 v65, v132, v162, v65
	;; [unrolled: 8-line block ×3, first 2 shown]
	v_pk_fma_f16 v49, v133, v116, v49
	v_pk_fma_f16 v48, v133, v163, v48
	v_mul_u32_u24_e32 v118, 0x10001, v118
	v_mul_u32_u24_e32 v165, 0x10001, v167
	v_pk_fma_f16 v58, v136, v117, v58
	v_pk_fma_f16 v65, v136, v164, v65
	v_pk_fma_f16 v49, v135, v117, v49
	v_pk_fma_f16 v48, v135, v164, v48
	v_mul_u32_u24_e32 v166, 0x10001, v169
	v_mul_u32_u24_e32 v167, 0x10001, v168
	v_pk_fma_f16 v58, v138, v118, v58
	v_pk_fma_f16 v65, v138, v165, v65
	;; [unrolled: 6-line block ×4, first 2 shown]
	v_pk_fma_f16 v49, v141, v168, v49
	v_pk_fma_f16 v48, v141, v169, v48
	v_lshrrev_b32_e32 v176, 16, v123
	v_and_b32_e32 v123, 0xffff, v123
	v_mul_u32_u24_e32 v172, 0x10001, v175
	v_mul_u32_u24_e32 v173, 0x10001, v174
	v_pk_fma_f16 v58, v37, v170, v58
	v_pk_fma_f16 v37, v37, v171, v65
	v_pk_fma_f16 v49, v36, v170, v49
	v_pk_fma_f16 v36, v36, v171, v48
	v_lshrrev_b32_e32 v177, 16, v124
	v_and_b32_e32 v124, 0xffff, v124
	v_mul_u32_u24_e32 v123, 0x10001, v123
	v_mul_u32_u24_e32 v174, 0x10001, v176
	v_pk_fma_f16 v58, v39, v172, v58
	v_pk_fma_f16 v37, v39, v173, v37
	;; [unrolled: 8-line block ×20, first 2 shown]
	v_pk_fma_f16 v3, v22, v4, v3
	v_pk_fma_f16 v0, v22, v2, v0
	v_mul_u32_u24_e32 v6, 0x10001, v158
	v_mul_u32_u24_e32 v2, 0x10001, v157
	v_pk_fma_f16 v4, v62, v7, v5
	v_pk_fma_f16 v1, v62, v9, v1
	;; [unrolled: 1-line block ×4, first 2 shown]
	s_wait_loadcnt 0x3
	ds_store_b128 v100, v[119:122]
	s_wait_loadcnt 0x2
	ds_store_b128 v102, v[44:47]
	s_wait_loadcnt 0x1
	ds_store_b128 v103, v[53:56]
	s_wait_loadcnt 0x0
	ds_store_b128 v104, v[40:43]
	v_pk_fma_f16 v115, v64, v6, v4
	v_pk_fma_f16 v116, v64, v2, v1
	;; [unrolled: 1-line block ×4, first 2 shown]
	s_wait_dscnt 0x0
	s_barrier_signal -1
	s_barrier_wait -1
	global_inv scope:SCOPE_SE
	ds_load_2addr_b64 v[0:3], v91 offset1:32
	ds_load_b128 v[56:59], v101 offset:128
	ds_load_b128 v[52:55], v101 offset:144
	;; [unrolled: 1-line block ×4, first 2 shown]
	ds_load_2addr_b64 v[4:7], v91 offset0:64 offset1:96
	ds_load_2addr_b64 v[8:11], v91 offset0:128 offset1:160
	;; [unrolled: 1-line block ×3, first 2 shown]
	ds_load_2addr_b64 v[16:19], v51 offset1:32
	ds_load_2addr_b64 v[20:23], v51 offset0:64 offset1:96
	ds_load_2addr_b64 v[24:27], v51 offset0:128 offset1:160
	;; [unrolled: 1-line block ×3, first 2 shown]
	ds_load_2addr_b64 v[32:35], v60 offset1:32
	ds_load_2addr_b64 v[40:43], v60 offset0:64 offset1:96
	ds_load_2addr_b64 v[48:51], v60 offset0:128 offset1:160
	ds_load_b128 v[119:122], v101 offset:192
	ds_load_b128 v[123:126], v101 offset:208
	ds_load_2addr_b64 v[60:63], v60 offset0:192 offset1:224
	ds_load_2addr_b64 v[64:67], v114 offset1:32
	ds_load_b128 v[127:130], v101 offset:224
	ds_load_b128 v[131:134], v101 offset:240
	ds_load_2addr_b64 v[135:138], v114 offset0:64 offset1:96
	ds_load_2addr_b64 v[139:142], v114 offset0:128 offset1:160
	;; [unrolled: 1-line block ×3, first 2 shown]
	s_wait_dscnt 0x16
	v_lshrrev_b32_e32 v114, 16, v56
	v_and_b32_e32 v56, 0xffff, v56
	v_lshrrev_b32_e32 v147, 16, v57
	v_and_b32_e32 v57, 0xffff, v57
	v_lshrrev_b32_e32 v148, 16, v58
	v_mul_u32_u24_e32 v114, 0x10001, v114
	v_mul_u32_u24_e32 v56, 0x10001, v56
	v_and_b32_e32 v58, 0xffff, v58
	v_mul_u32_u24_e32 v57, 0x10001, v57
	v_mul_u32_u24_e32 v147, 0x10001, v147
	v_lshrrev_b32_e32 v149, 16, v59
	v_pk_fma_f16 v117, v0, v56, v117
	v_pk_fma_f16 v0, v0, v114, v118
	;; [unrolled: 1-line block ×4, first 2 shown]
	v_and_b32_e32 v59, 0xffff, v59
	v_mul_u32_u24_e32 v58, 0x10001, v58
	v_mul_u32_u24_e32 v148, 0x10001, v148
	v_pk_fma_f16 v115, v2, v57, v117
	v_pk_fma_f16 v0, v2, v147, v0
	;; [unrolled: 1-line block ×4, first 2 shown]
	s_wait_dscnt 0x15
	v_lshrrev_b32_e32 v150, 16, v52
	v_and_b32_e32 v52, 0xffff, v52
	v_mul_u32_u24_e32 v59, 0x10001, v59
	v_mul_u32_u24_e32 v149, 0x10001, v149
	s_wait_dscnt 0x12
	v_pk_fma_f16 v56, v4, v58, v115
	v_pk_fma_f16 v0, v4, v148, v0
	v_pk_fma_f16 v2, v5, v58, v2
	v_pk_fma_f16 v1, v5, v148, v1
	v_lshrrev_b32_e32 v151, 16, v53
	v_and_b32_e32 v53, 0xffff, v53
	v_mul_u32_u24_e32 v52, 0x10001, v52
	v_mul_u32_u24_e32 v150, 0x10001, v150
	v_pk_fma_f16 v5, v6, v59, v56
	v_pk_fma_f16 v0, v6, v149, v0
	v_pk_fma_f16 v2, v7, v59, v2
	v_pk_fma_f16 v1, v7, v149, v1
	v_lshrrev_b32_e32 v152, 16, v54
	v_and_b32_e32 v54, 0xffff, v54
	v_mul_u32_u24_e32 v53, 0x10001, v53
	v_mul_u32_u24_e32 v151, 0x10001, v151
	s_wait_dscnt 0x11
	v_pk_fma_f16 v5, v8, v52, v5
	v_pk_fma_f16 v0, v8, v150, v0
	v_pk_fma_f16 v2, v9, v52, v2
	v_pk_fma_f16 v1, v9, v150, v1
	v_lshrrev_b32_e32 v153, 16, v55
	v_and_b32_e32 v55, 0xffff, v55
	v_mul_u32_u24_e32 v54, 0x10001, v54
	v_mul_u32_u24_e32 v152, 0x10001, v152
	v_pk_fma_f16 v5, v10, v53, v5
	v_pk_fma_f16 v0, v10, v151, v0
	v_pk_fma_f16 v2, v11, v53, v2
	v_pk_fma_f16 v1, v11, v151, v1
	;; [unrolled: 17-line block ×6, first 2 shown]
	s_wait_dscnt 0x8
	v_lshrrev_b32_e32 v162, 16, v119
	v_and_b32_e32 v119, 0xffff, v119
	v_mul_u32_u24_e32 v39, 0x10001, v39
	v_mul_u32_u24_e32 v161, 0x10001, v161
	v_pk_fma_f16 v5, v28, v38, v5
	v_pk_fma_f16 v0, v28, v160, v0
	v_pk_fma_f16 v2, v29, v38, v2
	v_pk_fma_f16 v1, v29, v160, v1
	v_lshrrev_b32_e32 v163, 16, v120
	v_and_b32_e32 v120, 0xffff, v120
	v_mul_u32_u24_e32 v119, 0x10001, v119
	v_mul_u32_u24_e32 v162, 0x10001, v162
	v_pk_fma_f16 v5, v30, v39, v5
	v_pk_fma_f16 v0, v30, v161, v0
	v_pk_fma_f16 v2, v31, v39, v2
	v_pk_fma_f16 v1, v31, v161, v1
	v_lshrrev_b32_e32 v164, 16, v121
	v_and_b32_e32 v121, 0xffff, v121
	v_mul_u32_u24_e32 v114, 0x10001, v120
	v_mul_u32_u24_e32 v3, 0x10001, v163
	v_pk_fma_f16 v5, v32, v119, v5
	v_pk_fma_f16 v0, v32, v162, v0
	v_pk_fma_f16 v2, v33, v119, v2
	v_pk_fma_f16 v1, v33, v162, v1
	v_lshrrev_b32_e32 v165, 16, v122
	v_and_b32_e32 v122, 0xffff, v122
	v_mul_u32_u24_e32 v4, 0x10001, v121
	v_mul_u32_u24_e32 v6, 0x10001, v164
	v_pk_fma_f16 v5, v34, v114, v5
	v_pk_fma_f16 v0, v34, v3, v0
	v_pk_fma_f16 v2, v35, v114, v2
	v_pk_fma_f16 v1, v35, v3, v1
	s_wait_dscnt 0x7
	v_lshrrev_b32_e32 v166, 16, v123
	v_and_b32_e32 v123, 0xffff, v123
	v_mul_u32_u24_e32 v7, 0x10001, v122
	v_mul_u32_u24_e32 v8, 0x10001, v165
	v_pk_fma_f16 v5, v40, v4, v5
	v_pk_fma_f16 v0, v40, v6, v0
	v_pk_fma_f16 v2, v41, v4, v2
	v_pk_fma_f16 v1, v41, v6, v1
	v_lshrrev_b32_e32 v167, 16, v124
	v_and_b32_e32 v124, 0xffff, v124
	v_mul_u32_u24_e32 v9, 0x10001, v123
	v_mul_u32_u24_e32 v10, 0x10001, v166
	v_pk_fma_f16 v5, v42, v7, v5
	v_pk_fma_f16 v0, v42, v8, v0
	v_pk_fma_f16 v2, v43, v7, v2
	v_pk_fma_f16 v1, v43, v8, v1
	v_lshrrev_b32_e32 v168, 16, v125
	v_and_b32_e32 v125, 0xffff, v125
	v_mul_u32_u24_e32 v11, 0x10001, v124
	v_mul_u32_u24_e32 v12, 0x10001, v167
	v_pk_fma_f16 v5, v48, v9, v5
	v_pk_fma_f16 v0, v48, v10, v0
	v_pk_fma_f16 v2, v49, v9, v2
	v_pk_fma_f16 v1, v49, v10, v1
	v_lshrrev_b32_e32 v169, 16, v126
	v_and_b32_e32 v126, 0xffff, v126
	v_mul_u32_u24_e32 v13, 0x10001, v125
	v_mul_u32_u24_e32 v14, 0x10001, v168
	v_pk_fma_f16 v5, v50, v11, v5
	v_pk_fma_f16 v0, v50, v12, v0
	v_pk_fma_f16 v2, v51, v11, v2
	v_pk_fma_f16 v1, v51, v12, v1
	;; [unrolled: 33-line block ×3, first 2 shown]
	s_wait_dscnt 0x3
	v_lshrrev_b32_e32 v174, 16, v131
	v_and_b32_e32 v131, 0xffff, v131
	v_mul_u32_u24_e32 v7, 0x10001, v130
	v_mul_u32_u24_e32 v8, 0x10001, v173
	s_wait_dscnt 0x2
	v_pk_fma_f16 v5, v135, v4, v5
	v_pk_fma_f16 v0, v135, v6, v0
	;; [unrolled: 1-line block ×4, first 2 shown]
	s_wait_loadcnt_dscnt 0x0
	s_barrier_signal -1
	s_barrier_wait -1
	global_inv scope:SCOPE_SE
	s_load_b32 s11, s[24:25], 0x4
	v_lshrrev_b32_e32 v175, 16, v132
	v_and_b32_e32 v132, 0xffff, v132
	v_mul_u32_u24_e32 v9, 0x10001, v131
	v_mul_u32_u24_e32 v10, 0x10001, v174
	v_pk_fma_f16 v5, v137, v7, v5
	v_pk_fma_f16 v0, v137, v8, v0
	v_pk_fma_f16 v2, v138, v7, v2
	v_pk_fma_f16 v1, v138, v8, v1
	v_lshrrev_b32_e32 v176, 16, v133
	v_and_b32_e32 v133, 0xffff, v133
	v_mul_u32_u24_e32 v11, 0x10001, v132
	v_mul_u32_u24_e32 v3, 0x10001, v175
	v_pk_fma_f16 v5, v139, v9, v5
	v_pk_fma_f16 v0, v139, v10, v0
	v_pk_fma_f16 v2, v140, v9, v2
	v_pk_fma_f16 v1, v140, v10, v1
	;; [unrolled: 8-line block ×3, first 2 shown]
	v_mul_u32_u24_e32 v7, 0x10001, v134
	v_mul_u32_u24_e32 v3, 0x10001, v177
	v_pk_fma_f16 v5, v143, v4, v5
	v_pk_fma_f16 v0, v143, v6, v0
	;; [unrolled: 1-line block ×4, first 2 shown]
	s_wait_kmcnt 0x0
	s_lshl_b32 s11, s11, 6
	v_pk_fma_f16 v49, v145, v7, v5
	v_pk_fma_f16 v48, v145, v3, v0
	v_pk_fma_f16 v17, v146, v7, v2
	v_pk_fma_f16 v16, v146, v3, v1
	s_wait_alu 0xfffe
	s_add_co_i32 s10, s11, s10
	s_wait_alu 0xfffe
	s_cmp_ge_i32 s10, s28
	s_cbranch_scc1 .LBB74_27
; %bb.26:                               ;   in Loop: Header=BB74_9 Depth=1
	v_dual_mov_b32 v20, v87 :: v_dual_mov_b32 v19, v88
	v_mov_b32_e32 v18, v112
	v_mov_b32_e32 v50, v113
	s_branch .LBB74_9
.LBB74_27:
	v_mov_b32_e32 v4, v92
.LBB74_28:
	v_cmp_lt_i32_e32 vcc_lo, v111, v93
	s_cmp_lg_u64 s[12:13], 0
	s_cselect_b32 s3, -1, 0
	s_cmp_eq_u32 s4, 0
	s_wait_alu 0xfffd
	v_cndmask_b32_e32 v0, v4, v111, vcc_lo
	v_cmp_lt_i32_e32 vcc_lo, v107, v93
	s_cselect_b32 s5, -1, 0
	s_wait_alu 0xfffe
	s_and_b32 s3, s5, s3
	s_wait_alu 0xfffd
	v_cndmask_b32_e32 v2, v4, v107, vcc_lo
	v_cmp_lt_i32_e32 vcc_lo, v108, v93
	s_wait_alu 0xfffd
	s_delay_alu instid0(VALU_DEP_2) | instskip(SKIP_1) | instid1(VALU_DEP_2)
	v_dual_cndmask_b32 v5, v4, v108 :: v_dual_lshlrev_b32 v2, 2, v2
	v_cmp_lt_i32_e32 vcc_lo, v109, v93
	v_lshlrev_b32_e32 v5, 2, v5
	v_lshlrev_b32_e32 v0, 2, v0
	ds_bpermute_b32 v1, v0, v112
	s_wait_dscnt 0x0
	v_add_f32_e32 v1, v112, v1
	ds_bpermute_b32 v0, v0, v113
	ds_bpermute_b32 v3, v2, v1
	s_wait_dscnt 0x1
	v_add_f32_e32 v0, v113, v0
	ds_bpermute_b32 v2, v2, v0
	s_wait_dscnt 0x0
	v_dual_add_f32 v1, v1, v3 :: v_dual_add_f32 v0, v0, v2
	ds_bpermute_b32 v2, v5, v1
	ds_bpermute_b32 v3, v5, v0
	s_wait_alu 0xfffd
	v_cndmask_b32_e32 v5, v4, v109, vcc_lo
	v_cmp_lt_i32_e32 vcc_lo, v110, v93
	s_delay_alu instid0(VALU_DEP_2)
	v_lshlrev_b32_e32 v5, 2, v5
	s_wait_dscnt 0x0
	v_dual_add_f32 v1, v1, v2 :: v_dual_add_f32 v0, v0, v3
	ds_bpermute_b32 v2, v5, v1
	ds_bpermute_b32 v3, v5, v0
	s_wait_dscnt 0x0
	v_dual_add_f32 v1, v1, v2 :: v_dual_add_f32 v2, v0, v3
	s_wait_alu 0xfffd
	v_cndmask_b32_e32 v4, v4, v110, vcc_lo
	s_wait_alu 0xfffe
	s_and_b32 vcc_lo, exec_lo, s3
	s_mov_b32 s3, 0
	s_delay_alu instid0(VALU_DEP_1)
	v_lshlrev_b32_e32 v4, 2, v4
	ds_bpermute_b32 v0, v4, v1
	ds_bpermute_b32 v3, v4, v2
	s_wait_dscnt 0x0
	v_dual_add_f32 v0, v1, v0 :: v_dual_add_f32 v1, v2, v3
	v_add_nc_u32_e32 v2, s33, v90
	s_wait_alu 0xfffe
	s_cbranch_vccnz .LBB74_31
; %bb.29:
	s_delay_alu instid0(VALU_DEP_2)
	v_dual_mov_b32 v4, v1 :: v_dual_add_nc_u32 v5, s33, v90
	v_mov_b32_e32 v3, v0
	s_and_not1_b32 vcc_lo, exec_lo, s3
	s_wait_alu 0xfffe
	s_cbranch_vccz .LBB74_32
; %bb.30:
	v_mov_b32_e32 v2, v5
	s_branch .LBB74_33
.LBB74_31:
                                        ; implicit-def: $vgpr5
                                        ; implicit-def: $vgpr3_vgpr4
.LBB74_32:
	s_delay_alu instid0(VALU_DEP_1) | instskip(SKIP_1) | instid1(VALU_DEP_2)
	v_ashrrev_i32_e32 v3, 31, v2
	v_max_num_f32_e32 v7, v88, v88
	v_lshlrev_b64_e32 v[3:4], 2, v[2:3]
	s_delay_alu instid0(VALU_DEP_1) | instskip(SKIP_1) | instid1(VALU_DEP_2)
	v_add_co_u32 v3, vcc_lo, s12, v3
	s_wait_alu 0xfffd
	v_add_co_ci_u32_e64 v4, null, s13, v4, vcc_lo
	global_load_b64 v[3:4], v[3:4], off
	s_wait_loadcnt 0x0
	v_dual_max_num_f32 v5, v87, v87 :: v_dual_max_num_f32 v8, v4, v4
	v_max_num_f32_e32 v6, v3, v3
	s_delay_alu instid0(VALU_DEP_1) | instskip(NEXT) | instid1(VALU_DEP_1)
	v_dual_max_num_f32 v5, v5, v6 :: v_dual_max_num_f32 v6, v7, v8
	v_dual_sub_f32 v7, v87, v5 :: v_dual_sub_f32 v8, v88, v6
	v_dual_sub_f32 v3, v3, v5 :: v_dual_sub_f32 v4, v4, v6
	s_delay_alu instid0(VALU_DEP_2) | instskip(NEXT) | instid1(VALU_DEP_2)
	v_dual_mov_b32 v88, v6 :: v_dual_mul_f32 v9, 0x3fb8aa3b, v7
	v_dual_mul_f32 v11, 0x3fb8aa3b, v8 :: v_dual_mul_f32 v10, 0x3fb8aa3b, v3
	s_delay_alu instid0(VALU_DEP_3) | instskip(SKIP_1) | instid1(VALU_DEP_4)
	v_mul_f32_e32 v12, 0x3fb8aa3b, v4
	v_cmp_ngt_f32_e32 vcc_lo, 0xc2ce8ed0, v7
	v_fma_f32 v13, 0x3fb8aa3b, v7, -v9
	v_rndne_f32_e32 v14, v9
	v_rndne_f32_e32 v19, v11
	v_fma_f32 v21, 0x3fb8aa3b, v4, -v12
	v_rndne_f32_e32 v22, v12
	v_fma_f32 v15, 0x3fb8aa3b, v3, -v10
	v_fma_f32 v18, 0x3fb8aa3b, v8, -v11
	v_rndne_f32_e32 v20, v10
	v_fmac_f32_e32 v13, 0x32a5705f, v7
	v_sub_f32_e32 v9, v9, v14
	v_dual_sub_f32 v11, v11, v19 :: v_dual_sub_f32 v12, v12, v22
	v_fmac_f32_e32 v21, 0x32a5705f, v4
	v_dual_fmac_f32 v18, 0x32a5705f, v8 :: v_dual_fmac_f32 v15, 0x32a5705f, v3
	v_dual_sub_f32 v10, v10, v20 :: v_dual_mov_b32 v87, v5
	s_delay_alu instid0(VALU_DEP_3) | instskip(SKIP_1) | instid1(VALU_DEP_3)
	v_add_f32_e32 v12, v12, v21
	v_add_f32_e32 v9, v9, v13
	v_dual_add_f32 v11, v11, v18 :: v_dual_add_f32 v10, v10, v15
	v_cvt_i32_f32_e32 v13, v14
	v_cvt_i32_f32_e32 v14, v19
	s_delay_alu instid0(VALU_DEP_4) | instskip(NEXT) | instid1(VALU_DEP_3)
	v_exp_f32_e32 v9, v9
	v_exp_f32_e32 v11, v11
	;; [unrolled: 1-line block ×3, first 2 shown]
	v_cvt_i32_f32_e32 v15, v20
	v_exp_f32_e32 v12, v12
	v_ldexp_f32 v9, v9, v13
	s_delay_alu instid0(TRANS32_DEP_3) | instskip(SKIP_1) | instid1(TRANS32_DEP_2)
	v_ldexp_f32 v11, v11, v14
	v_cvt_i32_f32_e32 v13, v22
	v_ldexp_f32 v10, v10, v15
	s_wait_alu 0xfffd
	v_cndmask_b32_e32 v9, 0, v9, vcc_lo
	v_cmp_ngt_f32_e32 vcc_lo, 0xc2ce8ed0, v8
	s_wait_alu 0xfffd
	v_cndmask_b32_e32 v11, 0, v11, vcc_lo
	v_cmp_nlt_f32_e32 vcc_lo, 0x42b17218, v7
	s_wait_alu 0xfffd
	v_cndmask_b32_e32 v7, 0x7f800000, v9, vcc_lo
	v_cmp_nlt_f32_e32 vcc_lo, 0x42b17218, v8
	v_ldexp_f32 v9, v12, v13
	s_wait_alu 0xfffd
	v_cndmask_b32_e32 v8, 0x7f800000, v11, vcc_lo
	v_cmp_ngt_f32_e32 vcc_lo, 0xc2ce8ed0, v3
	s_delay_alu instid0(VALU_DEP_2)
	v_cvt_f16_f32_e32 v12, v8
	s_wait_alu 0xfffd
	v_cndmask_b32_e32 v10, 0, v10, vcc_lo
	v_cmp_ngt_f32_e32 vcc_lo, 0xc2ce8ed0, v4
	s_wait_alu 0xfffd
	v_cndmask_b32_e32 v9, 0, v9, vcc_lo
	v_cmp_nlt_f32_e32 vcc_lo, 0x42b17218, v3
	s_wait_alu 0xfffd
	v_cndmask_b32_e32 v3, 0x7f800000, v10, vcc_lo
	v_cmp_nlt_f32_e32 vcc_lo, 0x42b17218, v4
	s_wait_alu 0xfffd
	v_cndmask_b32_e32 v4, 0x7f800000, v9, vcc_lo
	s_delay_alu instid0(VALU_DEP_1) | instskip(SKIP_2) | instid1(VALU_DEP_2)
	v_fmac_f32_e32 v4, v1, v8
	v_cvt_f16_f32_e32 v11, v7
	v_fmac_f32_e32 v3, v0, v7
	v_dual_mov_b32 v1, v4 :: v_dual_and_b32 v10, 0xffff, v11
	s_delay_alu instid0(VALU_DEP_2) | instskip(NEXT) | instid1(VALU_DEP_2)
	v_dual_mov_b32 v0, v3 :: v_dual_and_b32 v11, 0xffff, v12
	v_mul_u32_u24_e32 v7, 0x10001, v10
	s_delay_alu instid0(VALU_DEP_2) | instskip(NEXT) | instid1(VALU_DEP_2)
	v_mul_u32_u24_e32 v5, 0x10001, v11
	v_pk_mul_f16 v49, v49, v7
	v_pk_mul_f16 v17, v17, v7
	s_delay_alu instid0(VALU_DEP_3)
	v_pk_mul_f16 v48, v48, v5
	v_pk_mul_f16 v16, v16, v5
.LBB74_33:
	s_load_b32 s1, s[0:1], 0xd4
	v_mov_b32_e32 v7, 1.0
	s_wait_kmcnt 0x0
	s_cmp_lg_u32 s1, 1
	s_cselect_b32 s5, -1, 0
	s_cmp_eq_u32 s1, 1
	s_cselect_b32 s3, -1, 0
	s_wait_alu 0xfffe
	s_and_b32 vcc_lo, exec_lo, s5
	s_wait_alu 0xfffe
	s_cbranch_vccnz .LBB74_35
; %bb.34:
	v_div_scale_f32 v5, null, v0, v0, 1.0
	s_delay_alu instid0(VALU_DEP_1) | instskip(NEXT) | instid1(TRANS32_DEP_1)
	v_rcp_f32_e32 v6, v5
	v_fma_f32 v7, -v5, v6, 1.0
	s_delay_alu instid0(VALU_DEP_1) | instskip(SKIP_1) | instid1(VALU_DEP_1)
	v_fmac_f32_e32 v6, v7, v6
	v_div_scale_f32 v7, vcc_lo, 1.0, v0, 1.0
	v_mul_f32_e32 v8, v7, v6
	s_delay_alu instid0(VALU_DEP_1) | instskip(NEXT) | instid1(VALU_DEP_1)
	v_fma_f32 v9, -v5, v8, v7
	v_fmac_f32_e32 v8, v9, v6
	s_delay_alu instid0(VALU_DEP_1) | instskip(SKIP_1) | instid1(VALU_DEP_1)
	v_fma_f32 v5, -v5, v8, v7
	s_wait_alu 0xfffd
	v_div_fmas_f32 v5, v5, v6, v8
	s_delay_alu instid0(VALU_DEP_1)
	v_div_fixup_f32 v7, v5, v0, 1.0
.LBB74_35:
	v_mad_co_u64_u32 v[5:6], null, s2, s22, v[68:69]
	v_lshrrev_b32_e32 v0, 16, v49
	v_cvt_f32_f16_e32 v10, v17
	v_cmp_eq_u32_e32 vcc_lo, 0, v69
	s_delay_alu instid0(VALU_DEP_3) | instskip(SKIP_3) | instid1(VALU_DEP_2)
	v_cvt_f32_f16_e32 v0, v0
	v_mad_co_u64_u32 v[5:6], null, v5, s23, v[2:3]
	v_lshrrev_b32_e32 v2, 16, v17
	v_mul_f32_e32 v10, v7, v10
	v_cvt_f32_f16_e32 v2, v2
	s_delay_alu instid0(VALU_DEP_4) | instskip(SKIP_2) | instid1(VALU_DEP_4)
	v_mad_co_u64_u32 v[5:6], null, s1, v5, s[4:5]
	v_cvt_f32_f16_e32 v6, v49
	v_mov_b32_e32 v9, 0
	v_mul_f32_e32 v11, v7, v2
	s_delay_alu instid0(VALU_DEP_4) | instskip(NEXT) | instid1(VALU_DEP_1)
	v_lshl_add_u32 v8, v5, 7, v89
	v_lshlrev_b64_e32 v[12:13], 2, v[8:9]
	v_mul_f32_e32 v8, v7, v6
	v_mul_f32_e32 v9, v7, v0
	s_delay_alu instid0(VALU_DEP_3) | instskip(SKIP_1) | instid1(VALU_DEP_4)
	v_add_co_u32 v6, s0, s16, v12
	s_wait_alu 0xf1ff
	v_add_co_ci_u32_e64 v7, null, s17, v13, s0
	s_and_b32 s0, vcc_lo, s5
	global_store_b128 v[6:7], v[8:11], off
	s_wait_alu 0xfffe
	s_and_saveexec_b32 s2, s0
	s_cbranch_execz .LBB74_37
; %bb.36:
	v_ashrrev_i32_e32 v6, 31, v5
	v_mov_b32_e32 v2, v87
	s_delay_alu instid0(VALU_DEP_2) | instskip(NEXT) | instid1(VALU_DEP_1)
	v_lshlrev_b64_e32 v[6:7], 3, v[5:6]
	v_add_co_u32 v6, vcc_lo, s18, v6
	s_wait_alu 0xfffd
	s_delay_alu instid0(VALU_DEP_2)
	v_add_co_ci_u32_e64 v7, null, s19, v7, vcc_lo
	global_store_b64 v[6:7], v[2:3], off
.LBB74_37:
	s_wait_alu 0xfffe
	s_or_b32 exec_lo, exec_lo, s2
	v_mov_b32_e32 v2, 1.0
	s_and_not1_b32 vcc_lo, exec_lo, s3
	s_wait_alu 0xfffe
	s_cbranch_vccnz .LBB74_39
; %bb.38:
	v_div_scale_f32 v0, null, v1, v1, 1.0
	s_delay_alu instid0(VALU_DEP_1) | instskip(NEXT) | instid1(TRANS32_DEP_1)
	v_rcp_f32_e32 v2, v0
	v_fma_f32 v3, -v0, v2, 1.0
	s_delay_alu instid0(VALU_DEP_1) | instskip(SKIP_1) | instid1(VALU_DEP_1)
	v_fmac_f32_e32 v2, v3, v2
	v_div_scale_f32 v3, vcc_lo, 1.0, v1, 1.0
	v_mul_f32_e32 v6, v3, v2
	s_delay_alu instid0(VALU_DEP_1) | instskip(NEXT) | instid1(VALU_DEP_1)
	v_fma_f32 v7, -v0, v6, v3
	v_fmac_f32_e32 v6, v7, v2
	s_delay_alu instid0(VALU_DEP_1) | instskip(SKIP_1) | instid1(VALU_DEP_1)
	v_fma_f32 v0, -v0, v6, v3
	s_wait_alu 0xfffd
	v_div_fmas_f32 v0, v0, v2, v6
	s_delay_alu instid0(VALU_DEP_1)
	v_div_fixup_f32 v2, v0, v1, 1.0
.LBB74_39:
	v_cvt_f32_f16_e32 v7, v48
	v_add_nc_u32_e32 v0, s1, v5
	v_cvt_f32_f16_e32 v8, v16
	v_mov_b32_e32 v6, 0
	v_lshrrev_b32_e32 v1, 16, v48
	v_lshrrev_b32_e32 v3, 16, v16
	v_lshl_add_u32 v5, v0, 7, v89
	s_delay_alu instid0(VALU_DEP_3) | instskip(NEXT) | instid1(VALU_DEP_3)
	v_cvt_f32_f16_e32 v1, v1
	v_cvt_f32_f16_e32 v3, v3
	s_delay_alu instid0(VALU_DEP_3)
	v_lshlrev_b64_e32 v[9:10], 2, v[5:6]
	v_mul_f32_e32 v5, v2, v7
	v_mul_f32_e32 v7, v2, v8
	v_mul_f32_e32 v6, v2, v1
	v_mul_f32_e32 v8, v2, v3
	v_add_co_u32 v1, vcc_lo, s16, v9
	s_wait_alu 0xfffd
	v_add_co_ci_u32_e64 v2, null, s17, v10, vcc_lo
	global_store_b128 v[1:2], v[5:8], off
	s_and_saveexec_b32 s1, s0
	s_cbranch_execz .LBB74_41
; %bb.40:
	v_ashrrev_i32_e32 v1, 31, v0
	v_mov_b32_e32 v3, v88
	s_delay_alu instid0(VALU_DEP_2) | instskip(NEXT) | instid1(VALU_DEP_1)
	v_lshlrev_b64_e32 v[0:1], 3, v[0:1]
	v_add_co_u32 v0, vcc_lo, s18, v0
	s_wait_alu 0xfffd
	s_delay_alu instid0(VALU_DEP_2)
	v_add_co_ci_u32_e64 v1, null, s19, v1, vcc_lo
	global_store_b64 v[0:1], v[3:4], off
.LBB74_41:
	s_nop 0
	s_sendmsg sendmsg(MSG_DEALLOC_VGPRS)
	s_endpgm
	.section	.rodata,"a",@progbits
	.p2align	6, 0x0
	.amdhsa_kernel _ZL15flash_attn_tileILi128ELi128ELi1ELi8ELb1EEvPKcS1_S1_S1_S1_PKiPfP15HIP_vector_typeIfLj2EEffffjfiS5_IjLj3EEiiiiiiiiiiiliiliiiiil
		.amdhsa_group_segment_fixed_size 12288
		.amdhsa_private_segment_fixed_size 0
		.amdhsa_kernarg_size 464
		.amdhsa_user_sgpr_count 2
		.amdhsa_user_sgpr_dispatch_ptr 0
		.amdhsa_user_sgpr_queue_ptr 0
		.amdhsa_user_sgpr_kernarg_segment_ptr 1
		.amdhsa_user_sgpr_dispatch_id 0
		.amdhsa_user_sgpr_private_segment_size 0
		.amdhsa_wavefront_size32 1
		.amdhsa_uses_dynamic_stack 0
		.amdhsa_enable_private_segment 0
		.amdhsa_system_sgpr_workgroup_id_x 1
		.amdhsa_system_sgpr_workgroup_id_y 1
		.amdhsa_system_sgpr_workgroup_id_z 1
		.amdhsa_system_sgpr_workgroup_info 0
		.amdhsa_system_vgpr_workitem_id 1
		.amdhsa_next_free_vgpr 192
		.amdhsa_next_free_sgpr 42
		.amdhsa_reserve_vcc 1
		.amdhsa_float_round_mode_32 0
		.amdhsa_float_round_mode_16_64 0
		.amdhsa_float_denorm_mode_32 3
		.amdhsa_float_denorm_mode_16_64 3
		.amdhsa_fp16_overflow 0
		.amdhsa_workgroup_processor_mode 1
		.amdhsa_memory_ordered 1
		.amdhsa_forward_progress 1
		.amdhsa_inst_pref_size 94
		.amdhsa_round_robin_scheduling 0
		.amdhsa_exception_fp_ieee_invalid_op 0
		.amdhsa_exception_fp_denorm_src 0
		.amdhsa_exception_fp_ieee_div_zero 0
		.amdhsa_exception_fp_ieee_overflow 0
		.amdhsa_exception_fp_ieee_underflow 0
		.amdhsa_exception_fp_ieee_inexact 0
		.amdhsa_exception_int_div_zero 0
	.end_amdhsa_kernel
	.section	.text._ZL15flash_attn_tileILi128ELi128ELi1ELi8ELb1EEvPKcS1_S1_S1_S1_PKiPfP15HIP_vector_typeIfLj2EEffffjfiS5_IjLj3EEiiiiiiiiiiiliiliiiiil,"axG",@progbits,_ZL15flash_attn_tileILi128ELi128ELi1ELi8ELb1EEvPKcS1_S1_S1_S1_PKiPfP15HIP_vector_typeIfLj2EEffffjfiS5_IjLj3EEiiiiiiiiiiiliiliiiiil,comdat
.Lfunc_end74:
	.size	_ZL15flash_attn_tileILi128ELi128ELi1ELi8ELb1EEvPKcS1_S1_S1_S1_PKiPfP15HIP_vector_typeIfLj2EEffffjfiS5_IjLj3EEiiiiiiiiiiiliiliiiiil, .Lfunc_end74-_ZL15flash_attn_tileILi128ELi128ELi1ELi8ELb1EEvPKcS1_S1_S1_S1_PKiPfP15HIP_vector_typeIfLj2EEffffjfiS5_IjLj3EEiiiiiiiiiiiliiliiiiil
                                        ; -- End function
	.set _ZL15flash_attn_tileILi128ELi128ELi1ELi8ELb1EEvPKcS1_S1_S1_S1_PKiPfP15HIP_vector_typeIfLj2EEffffjfiS5_IjLj3EEiiiiiiiiiiiliiliiiiil.num_vgpr, 192
	.set _ZL15flash_attn_tileILi128ELi128ELi1ELi8ELb1EEvPKcS1_S1_S1_S1_PKiPfP15HIP_vector_typeIfLj2EEffffjfiS5_IjLj3EEiiiiiiiiiiiliiliiiiil.num_agpr, 0
	.set _ZL15flash_attn_tileILi128ELi128ELi1ELi8ELb1EEvPKcS1_S1_S1_S1_PKiPfP15HIP_vector_typeIfLj2EEffffjfiS5_IjLj3EEiiiiiiiiiiiliiliiiiil.numbered_sgpr, 42
	.set _ZL15flash_attn_tileILi128ELi128ELi1ELi8ELb1EEvPKcS1_S1_S1_S1_PKiPfP15HIP_vector_typeIfLj2EEffffjfiS5_IjLj3EEiiiiiiiiiiiliiliiiiil.num_named_barrier, 0
	.set _ZL15flash_attn_tileILi128ELi128ELi1ELi8ELb1EEvPKcS1_S1_S1_S1_PKiPfP15HIP_vector_typeIfLj2EEffffjfiS5_IjLj3EEiiiiiiiiiiiliiliiiiil.private_seg_size, 0
	.set _ZL15flash_attn_tileILi128ELi128ELi1ELi8ELb1EEvPKcS1_S1_S1_S1_PKiPfP15HIP_vector_typeIfLj2EEffffjfiS5_IjLj3EEiiiiiiiiiiiliiliiiiil.uses_vcc, 1
	.set _ZL15flash_attn_tileILi128ELi128ELi1ELi8ELb1EEvPKcS1_S1_S1_S1_PKiPfP15HIP_vector_typeIfLj2EEffffjfiS5_IjLj3EEiiiiiiiiiiiliiliiiiil.uses_flat_scratch, 0
	.set _ZL15flash_attn_tileILi128ELi128ELi1ELi8ELb1EEvPKcS1_S1_S1_S1_PKiPfP15HIP_vector_typeIfLj2EEffffjfiS5_IjLj3EEiiiiiiiiiiiliiliiiiil.has_dyn_sized_stack, 0
	.set _ZL15flash_attn_tileILi128ELi128ELi1ELi8ELb1EEvPKcS1_S1_S1_S1_PKiPfP15HIP_vector_typeIfLj2EEffffjfiS5_IjLj3EEiiiiiiiiiiiliiliiiiil.has_recursion, 0
	.set _ZL15flash_attn_tileILi128ELi128ELi1ELi8ELb1EEvPKcS1_S1_S1_S1_PKiPfP15HIP_vector_typeIfLj2EEffffjfiS5_IjLj3EEiiiiiiiiiiiliiliiiiil.has_indirect_call, 0
	.section	.AMDGPU.csdata,"",@progbits
; Kernel info:
; codeLenInByte = 12028
; TotalNumSgprs: 44
; NumVgprs: 192
; ScratchSize: 0
; MemoryBound: 0
; FloatMode: 240
; IeeeMode: 1
; LDSByteSize: 12288 bytes/workgroup (compile time only)
; SGPRBlocks: 0
; VGPRBlocks: 23
; NumSGPRsForWavesPerEU: 44
; NumVGPRsForWavesPerEU: 192
; Occupancy: 8
; WaveLimiterHint : 1
; COMPUTE_PGM_RSRC2:SCRATCH_EN: 0
; COMPUTE_PGM_RSRC2:USER_SGPR: 2
; COMPUTE_PGM_RSRC2:TRAP_HANDLER: 0
; COMPUTE_PGM_RSRC2:TGID_X_EN: 1
; COMPUTE_PGM_RSRC2:TGID_Y_EN: 1
; COMPUTE_PGM_RSRC2:TGID_Z_EN: 1
; COMPUTE_PGM_RSRC2:TIDIG_COMP_CNT: 1
	.section	.text._ZL15flash_attn_tileILi128ELi128ELi16ELi4ELb1EEvPKcS1_S1_S1_S1_PKiPfP15HIP_vector_typeIfLj2EEffffjfiS5_IjLj3EEiiiiiiiiiiiliiliiiiil,"axG",@progbits,_ZL15flash_attn_tileILi128ELi128ELi16ELi4ELb1EEvPKcS1_S1_S1_S1_PKiPfP15HIP_vector_typeIfLj2EEffffjfiS5_IjLj3EEiiiiiiiiiiiliiliiiiil,comdat
	.globl	_ZL15flash_attn_tileILi128ELi128ELi16ELi4ELb1EEvPKcS1_S1_S1_S1_PKiPfP15HIP_vector_typeIfLj2EEffffjfiS5_IjLj3EEiiiiiiiiiiiliiliiiiil ; -- Begin function _ZL15flash_attn_tileILi128ELi128ELi16ELi4ELb1EEvPKcS1_S1_S1_S1_PKiPfP15HIP_vector_typeIfLj2EEffffjfiS5_IjLj3EEiiiiiiiiiiiliiliiiiil
	.p2align	8
	.type	_ZL15flash_attn_tileILi128ELi128ELi16ELi4ELb1EEvPKcS1_S1_S1_S1_PKiPfP15HIP_vector_typeIfLj2EEffffjfiS5_IjLj3EEiiiiiiiiiiiliiliiiiil,@function
_ZL15flash_attn_tileILi128ELi128ELi16ELi4ELb1EEvPKcS1_S1_S1_S1_PKiPfP15HIP_vector_typeIfLj2EEffffjfiS5_IjLj3EEiiiiiiiiiiiliiliiiiil: ; @_ZL15flash_attn_tileILi128ELi128ELi16ELi4ELb1EEvPKcS1_S1_S1_S1_PKiPfP15HIP_vector_typeIfLj2EEffffjfiS5_IjLj3EEiiiiiiiiiiiliiliiiiil
; %bb.0:
	s_clause 0x1
	s_load_b128 s[20:23], s[0:1], 0x5c
	s_load_b64 s[30:31], s[0:1], 0x80
	s_lshr_b32 s5, ttmp7, 16
	s_load_b64 s[38:39], s[0:1], 0xb8
	s_mov_b32 s37, 0
	s_mov_b64 s[34:35], 0
	s_wait_kmcnt 0x0
	s_ashr_i32 s2, s23, 31
	s_delay_alu instid0(SALU_CYCLE_1) | instskip(NEXT) | instid1(SALU_CYCLE_1)
	s_lshr_b32 s2, s2, 30
	s_add_co_i32 s2, s23, s2
	s_delay_alu instid0(SALU_CYCLE_1) | instskip(NEXT) | instid1(SALU_CYCLE_1)
	s_ashr_i32 s2, s2, 2
	s_cvt_f32_u32 s3, s2
	s_sub_co_i32 s4, 0, s2
	s_delay_alu instid0(SALU_CYCLE_2) | instskip(NEXT) | instid1(TRANS32_DEP_1)
	v_rcp_iflag_f32_e32 v1, s3
	v_readfirstlane_b32 s3, v1
	s_mul_f32 s3, s3, 0x4f7ffffe
	s_wait_alu 0xfffe
	s_delay_alu instid0(SALU_CYCLE_2) | instskip(SKIP_1) | instid1(SALU_CYCLE_2)
	s_cvt_u32_f32 s3, s3
	s_wait_alu 0xfffe
	s_mul_i32 s4, s4, s3
	s_delay_alu instid0(SALU_CYCLE_1) | instskip(NEXT) | instid1(SALU_CYCLE_1)
	s_mul_hi_u32 s4, s3, s4
	s_add_co_i32 s3, s3, s4
	s_wait_alu 0xfffe
	s_mul_hi_u32 s3, s5, s3
	s_wait_alu 0xfffe
	s_mul_i32 s4, s3, s2
	s_add_co_i32 s6, s3, 1
	s_sub_co_i32 s4, s5, s4
	s_delay_alu instid0(SALU_CYCLE_1)
	s_sub_co_i32 s7, s4, s2
	s_cmp_ge_u32 s4, s2
	s_cselect_b32 s3, s6, s3
	s_cselect_b32 s4, s7, s4
	s_wait_alu 0xfffe
	s_add_co_i32 s6, s3, 1
	s_cmp_ge_u32 s4, s2
	s_cselect_b32 s28, s6, s3
	s_abs_i32 s3, s31
	s_abs_i32 s7, s23
	s_wait_alu 0xfffe
	s_cvt_f32_u32 s2, s3
	s_sub_co_i32 s4, 0, s3
	s_lshl_b32 s5, s5, 2
	s_mul_i32 s6, s28, s23
	s_wait_alu 0xfffe
	v_rcp_iflag_f32_e32 v1, s2
	s_delay_alu instid0(TRANS32_DEP_1) | instskip(SKIP_2) | instid1(SALU_CYCLE_2)
	v_readfirstlane_b32 s2, v1
	s_mul_f32 s2, s2, 0x4f7ffffe
	s_wait_alu 0xfffe
	s_cvt_u32_f32 s2, s2
	s_wait_alu 0xfffe
	s_delay_alu instid0(SALU_CYCLE_2) | instskip(NEXT) | instid1(SALU_CYCLE_1)
	s_mul_i32 s4, s4, s2
	s_mul_hi_u32 s4, s2, s4
	s_delay_alu instid0(SALU_CYCLE_1)
	s_add_co_i32 s4, s2, s4
	s_sub_co_i32 s2, s5, s6
	s_mul_hi_u32 s4, s7, s4
	s_xor_b32 s5, s23, s31
	s_mul_i32 s6, s4, s3
	s_ashr_i32 s24, s5, 31
	s_sub_co_i32 s5, s7, s6
	s_add_co_i32 s6, s4, 1
	s_sub_co_i32 s7, s5, s3
	s_cmp_ge_u32 s5, s3
	s_cselect_b32 s4, s6, s4
	s_cselect_b32 s5, s7, s5
	s_add_co_i32 s6, s4, 1
	s_cmp_ge_u32 s5, s3
	s_cselect_b32 s3, s6, s4
	s_load_b512 s[4:19], s[0:1], 0x0
	s_xor_b32 s3, s3, s24
	s_wait_alu 0xfffe
	s_sub_co_i32 s40, s3, s24
	s_delay_alu instid0(SALU_CYCLE_1) | instskip(NEXT) | instid1(SALU_CYCLE_1)
	s_abs_i32 s33, s40
	s_cvt_f32_u32 s3, s33
	s_wait_alu 0xfffe
	s_delay_alu instid0(SALU_CYCLE_2) | instskip(SKIP_2) | instid1(TRANS32_DEP_1)
	v_rcp_iflag_f32_e32 v1, s3
	s_wait_kmcnt 0x0
	s_cmp_eq_u64 s[10:11], 0
	v_readfirstlane_b32 s3, v1
	s_cbranch_scc1 .LBB75_2
; %bb.1:
	s_abs_i32 s26, s38
	s_delay_alu instid0(SALU_CYCLE_1) | instskip(NEXT) | instid1(SALU_CYCLE_3)
	s_cvt_f32_u32 s24, s26
	v_rcp_iflag_f32_e32 v1, s24
	s_delay_alu instid0(TRANS32_DEP_1) | instskip(SKIP_2) | instid1(SALU_CYCLE_2)
	v_readfirstlane_b32 s24, v1
	s_mul_f32 s24, s24, 0x4f7ffffe
	s_wait_alu 0xfffe
	s_cvt_u32_f32 s27, s24
	s_sub_co_i32 s24, 0, s26
	s_wait_alu 0xfffe
	s_delay_alu instid0(SALU_CYCLE_1) | instskip(SKIP_4) | instid1(SALU_CYCLE_1)
	s_mul_i32 s24, s24, s27
	s_wait_alu 0xfffe
	s_mul_hi_u32 s29, s27, s24
	s_load_b64 s[24:25], s[0:1], 0xc8
	s_add_co_i32 s27, s27, s29
	s_mul_hi_u32 s27, s28, s27
	s_delay_alu instid0(SALU_CYCLE_1) | instskip(NEXT) | instid1(SALU_CYCLE_1)
	s_mul_i32 s27, s27, s26
	s_sub_co_i32 s27, s28, s27
	s_delay_alu instid0(SALU_CYCLE_1) | instskip(SKIP_2) | instid1(SALU_CYCLE_1)
	s_sub_co_i32 s29, s27, s26
	s_cmp_ge_u32 s27, s26
	s_cselect_b32 s27, s29, s27
	s_sub_co_i32 s29, s27, s26
	s_cmp_ge_u32 s27, s26
	s_cselect_b32 s26, s29, s27
	s_delay_alu instid0(SALU_CYCLE_1)
	s_ashr_i32 s27, s26, 31
	s_wait_kmcnt 0x0
	s_mul_u64 s[24:25], s[24:25], s[26:27]
	s_wait_alu 0xfffe
	s_add_nc_u64 s[34:35], s[10:11], s[24:25]
.LBB75_2:
	v_bfe_u32 v1, v0, 10, 10
	s_lshl_b32 s31, ttmp9, 4
	s_load_b96 s[24:26], s[0:1], 0x70
	v_and_b32_e32 v35, 0x3ff, v0
	s_delay_alu instid0(VALU_DEP_2) | instskip(NEXT) | instid1(VALU_DEP_2)
	v_lshlrev_b32_e32 v3, 3, v1
	v_lshlrev_b32_e32 v0, 4, v35
	s_delay_alu instid0(VALU_DEP_2) | instskip(SKIP_3) | instid1(VALU_DEP_4)
	v_or_b32_e32 v53, 6, v3
	v_or_b32_e32 v33, 4, v3
	;; [unrolled: 1-line block ×4, first 2 shown]
	v_lshrrev_b32_e32 v28, 2, v53
	s_delay_alu instid0(VALU_DEP_4) | instskip(NEXT) | instid1(VALU_DEP_4)
	v_lshrrev_b32_e32 v32, 2, v33
	v_lshrrev_b32_e32 v30, 2, v52
	s_delay_alu instid0(VALU_DEP_4) | instskip(NEXT) | instid1(VALU_DEP_4)
	v_lshrrev_b32_e32 v26, 2, v54
	v_add_nc_u32_e32 v29, s31, v28
	s_wait_kmcnt 0x0
	s_ashr_i32 s45, s24, 31
	s_mov_b32 s44, s24
	v_add_nc_u32_e32 v31, s31, v30
	v_mul_hi_u32 v7, v29, s20
	s_lshr_b64 s[46:47], s[44:45], 2
	s_lshr_b32 s29, s45, 2
	s_mul_i32 s10, s28, s26
	s_mul_i32 s26, s2, s25
	s_ashr_i32 s11, s10, 31
	s_ashr_i32 s43, s25, 31
	s_mov_b32 s42, s25
	v_add_nc_u32_e32 v7, v29, v7
	s_ashr_i32 s27, s26, 31
	s_add_nc_u64 s[4:5], s[4:5], s[10:11]
	s_lshr_b64 s[48:49], s[42:43], 2
	s_and_b32 s42, s25, -4
	v_lshrrev_b32_e32 v7, s21, v7
	s_add_nc_u64 s[4:5], s[4:5], s[26:27]
	s_lshl_b64 s[10:11], s[48:49], 3
	s_add_nc_u64 s[26:27], s[4:5], s[42:43]
	v_add_nc_u32_e32 v27, s31, v26
	v_mul_lo_u32 v7, v7, s22
	s_add_nc_u64 s[10:11], s[4:5], s[10:11]
	s_mul_u64 s[24:25], s[48:49], 12
	s_cmp_eq_u64 s[14:15], 0
	v_mul_hi_u32 v14, v27, s20
	s_wait_alu 0xfffe
	s_add_nc_u64 s[24:25], s[4:5], s[24:25]
	s_delay_alu instid0(VALU_DEP_2) | instskip(NEXT) | instid1(VALU_DEP_2)
	v_sub_nc_u32_e32 v38, v29, v7
	v_add_nc_u32_e32 v14, v27, v14
	s_delay_alu instid0(VALU_DEP_2) | instskip(SKIP_1) | instid1(VALU_DEP_1)
	v_mad_co_u64_u32 v[36:37], null, s46, v38, 0
	v_add_nc_u32_e32 v34, s31, v32
	v_mul_hi_u32 v5, v34, s20
	s_delay_alu instid0(VALU_DEP_1) | instskip(NEXT) | instid1(VALU_DEP_1)
	v_add_nc_u32_e32 v6, v34, v5
	v_lshrrev_b32_e32 v6, s21, v6
	s_delay_alu instid0(VALU_DEP_1) | instskip(NEXT) | instid1(VALU_DEP_1)
	v_mul_lo_u32 v6, v6, s22
	v_sub_nc_u32_e32 v11, v34, v6
	s_delay_alu instid0(VALU_DEP_1) | instskip(SKIP_1) | instid1(VALU_DEP_1)
	v_mad_co_u64_u32 v[20:21], null, s46, v11, 0
	v_lshlrev_b32_e32 v24, 1, v1
	v_add_nc_u32_e32 v25, s31, v24
	s_delay_alu instid0(VALU_DEP_1) | instskip(NEXT) | instid1(VALU_DEP_1)
	v_mul_hi_u32 v2, v25, s20
	v_add_nc_u32_e32 v2, v25, v2
	s_delay_alu instid0(VALU_DEP_1) | instskip(NEXT) | instid1(VALU_DEP_1)
	v_lshrrev_b32_e32 v2, s21, v2
	v_mul_lo_u32 v2, v2, s22
	s_delay_alu instid0(VALU_DEP_1) | instskip(NEXT) | instid1(VALU_DEP_1)
	v_sub_nc_u32_e32 v2, v25, v2
	v_mad_co_u64_u32 v[3:4], null, s46, v2, 0
	s_delay_alu instid0(VALU_DEP_1) | instskip(SKIP_1) | instid1(VALU_DEP_2)
	v_mad_co_u64_u32 v[4:5], null, s29, v2, v[4:5]
	v_mul_hi_u32 v5, v31, s20
	v_lshlrev_b64_e32 v[3:4], 2, v[3:4]
	s_delay_alu instid0(VALU_DEP_2) | instskip(NEXT) | instid1(VALU_DEP_1)
	v_add_nc_u32_e32 v5, v31, v5
	v_lshrrev_b32_e32 v10, s21, v5
	s_delay_alu instid0(VALU_DEP_3) | instskip(NEXT) | instid1(VALU_DEP_1)
	v_add_co_u32 v5, vcc_lo, s4, v3
	v_add_co_ci_u32_e64 v6, null, s5, v4, vcc_lo
	s_delay_alu instid0(VALU_DEP_3)
	v_mul_lo_u32 v10, v10, s22
	v_add_co_u32 v8, vcc_lo, s26, v3
	s_wait_alu 0xfffd
	v_add_co_ci_u32_e64 v9, null, s27, v4, vcc_lo
	v_add_co_u32 v12, vcc_lo, s10, v3
	s_wait_alu 0xfffd
	v_add_co_ci_u32_e64 v13, null, s11, v4, vcc_lo
	v_add_co_u32 v5, vcc_lo, v5, v0
	v_sub_nc_u32_e32 v10, v31, v10
	s_wait_alu 0xfffd
	v_add_co_ci_u32_e64 v6, null, 0, v6, vcc_lo
	v_add_co_u32 v8, vcc_lo, v8, v0
	s_wait_alu 0xfffd
	v_add_co_ci_u32_e64 v9, null, 0, v9, vcc_lo
	v_add_co_u32 v12, vcc_lo, v12, v0
	s_wait_alu 0xfffd
	v_add_co_ci_u32_e64 v13, null, 0, v13, vcc_lo
	s_wait_alu 0xfffe
	v_add_co_u32 v15, vcc_lo, s24, v3
	v_mov_b32_e32 v3, v21
	v_mad_co_u64_u32 v[22:23], null, s46, v10, 0
	s_wait_alu 0xfffd
	v_add_co_ci_u32_e64 v17, null, s25, v4, vcc_lo
	s_delay_alu instid0(VALU_DEP_3) | instskip(SKIP_1) | instid1(VALU_DEP_4)
	v_mad_co_u64_u32 v[3:4], null, s29, v11, v[3:4]
	v_lshrrev_b32_e32 v11, s21, v14
	v_mov_b32_e32 v4, v23
	s_delay_alu instid0(VALU_DEP_2) | instskip(NEXT) | instid1(VALU_DEP_4)
	v_mul_lo_u32 v23, v11, s22
	v_mov_b32_e32 v21, v3
	s_delay_alu instid0(VALU_DEP_3) | instskip(NEXT) | instid1(VALU_DEP_2)
	v_mad_co_u64_u32 v[3:4], null, s29, v10, v[4:5]
	v_lshlrev_b64_e32 v[20:21], 2, v[20:21]
	s_delay_alu instid0(VALU_DEP_4) | instskip(NEXT) | instid1(VALU_DEP_3)
	v_sub_nc_u32_e32 v40, v27, v23
	v_mov_b32_e32 v23, v3
	v_add_co_u32 v16, vcc_lo, v15, v0
	s_wait_alu 0xfffd
	v_add_co_ci_u32_e64 v17, null, 0, v17, vcc_lo
	s_clause 0x3
	global_load_b128 v[4:7], v[5:6], off
	global_load_b128 v[8:11], v[8:9], off
	;; [unrolled: 1-line block ×4, first 2 shown]
	v_mad_co_u64_u32 v[44:45], null, s46, v40, 0
	v_mov_b32_e32 v3, v37
	v_add_co_u32 v37, vcc_lo, s4, v20
	s_wait_alu 0xfffd
	v_add_co_ci_u32_e64 v39, null, s5, v21, vcc_lo
	v_lshlrev_b64_e32 v[20:21], 2, v[22:23]
	s_load_b32 s4, s[0:1], 0x40
	s_wait_loadcnt 0x3
	v_mad_co_u64_u32 v[22:23], null, s29, v38, v[3:4]
	v_mov_b32_e32 v3, v45
	v_add_co_u32 v38, vcc_lo, v37, v0
	s_wait_alu 0xfffd
	v_add_co_ci_u32_e64 v39, null, 0, v39, vcc_lo
	s_delay_alu instid0(VALU_DEP_3) | instskip(SKIP_4) | instid1(VALU_DEP_3)
	v_mad_co_u64_u32 v[40:41], null, s29, v40, v[3:4]
	v_add_co_u32 v3, vcc_lo, s26, v20
	s_wait_alu 0xfffd
	v_add_co_ci_u32_e64 v21, null, s27, v21, vcc_lo
	v_mov_b32_e32 v37, v22
	v_add_co_u32 v20, vcc_lo, v3, v0
	v_mov_b32_e32 v45, v40
	s_wait_alu 0xfffd
	v_add_co_ci_u32_e64 v21, null, 0, v21, vcc_lo
	v_lshlrev_b64_e32 v[22:23], 2, v[36:37]
	s_clause 0x1
	global_load_b128 v[36:39], v[38:39], off
	global_load_b128 v[40:43], v[20:21], off
	v_lshlrev_b64_e32 v[20:21], 2, v[44:45]
	s_wait_kmcnt 0x0
	v_fma_mixlo_f16 v4, s4, v4, 0
	v_fma_mixlo_f16 v5, s4, v5, 0
	v_add_co_u32 v3, vcc_lo, s10, v22
	s_wait_alu 0xfffd
	v_add_co_ci_u32_e64 v22, null, s11, v23, vcc_lo
	v_add_co_u32 v23, vcc_lo, s24, v20
	s_wait_alu 0xfffd
	v_add_co_ci_u32_e64 v44, null, s25, v21, vcc_lo
	;; [unrolled: 3-line block ×4, first 2 shown]
	s_clause 0x1
	global_load_b128 v[44:47], v[20:21], off
	global_load_b128 v[48:51], v[22:23], off
	v_fma_mixlo_f16 v6, s4, v6, 0
	v_fma_mixlo_f16 v7, s4, v7, 0
	s_wait_loadcnt 0x6
	v_fma_mixlo_f16 v8, s4, v8, 0
	v_fma_mixlo_f16 v9, s4, v9, 0
	s_wait_loadcnt 0x5
	v_fma_mixlo_f16 v12, s4, v12, 0
	v_fma_mixlo_f16 v13, s4, v13, 0
	;; [unrolled: 1-line block ×4, first 2 shown]
	s_wait_loadcnt 0x4
	v_fma_mixlo_f16 v16, s4, v16, 0
	v_fma_mixlo_f16 v17, s4, v17, 0
	;; [unrolled: 1-line block ×4, first 2 shown]
	v_lshlrev_b32_e32 v5, 16, v5
	v_and_b32_e32 v4, 0xffff, v4
	v_lshlrev_b32_e32 v7, 16, v7
	v_and_b32_e32 v6, 0xffff, v6
	;; [unrolled: 2-line block ×4, first 2 shown]
	v_fma_mixlo_f16 v18, s4, v18, 0
	v_fma_mixlo_f16 v19, s4, v19, 0
	v_lshlrev_b32_e32 v11, 16, v11
	v_and_b32_e32 v10, 0xffff, v10
	v_lshlrev_b32_e32 v17, 16, v17
	v_and_b32_e32 v16, 0xffff, v16
	;; [unrolled: 2-line block ×3, first 2 shown]
	v_lshlrev_b32_e32 v3, 3, v35
	v_lshlrev_b32_e32 v20, 11, v1
	v_or_b32_e32 v4, v5, v4
	v_or3_b32 v5, v7, v6, 0
	v_or_b32_e32 v6, v9, v8
	v_or_b32_e32 v8, v13, v12
	v_lshlrev_b32_e32 v19, 16, v19
	v_and_b32_e32 v18, 0xffff, v18
	v_or3_b32 v7, v11, v10, 0
	v_or_b32_e32 v10, v17, v16
	v_or3_b32 v9, v15, v14, 0
	v_add_nc_u32_e32 v21, v3, v20
	v_or3_b32 v4, 0, 0, v4
	v_or3_b32 v6, 0, 0, v6
	v_or3_b32 v11, v19, v18, 0
	v_or3_b32 v8, 0, 0, v8
	v_or3_b32 v10, 0, 0, v10
	v_lshl_add_u32 v22, v33, 8, v3
	ds_store_2addr_b64 v21, v[4:5], v[6:7] offset1:32
	v_lshl_add_u32 v23, v52, 8, v3
	v_lshl_add_u32 v33, v53, 8, v3
	;; [unrolled: 1-line block ×3, first 2 shown]
	s_wait_loadcnt 0x3
	v_fma_mixlo_f16 v12, s4, v36, 0
	v_fma_mixlo_f16 v13, s4, v37, 0
	s_wait_loadcnt 0x2
	v_fma_mixlo_f16 v16, s4, v40, 0
	v_fma_mixlo_f16 v17, s4, v41, 0
	;; [unrolled: 1-line block ×4, first 2 shown]
	v_lshlrev_b32_e32 v13, 16, v13
	v_and_b32_e32 v12, 0xffff, v12
	v_fma_mixlo_f16 v18, s4, v42, 0
	v_fma_mixlo_f16 v19, s4, v43, 0
	v_lshlrev_b32_e32 v17, 16, v17
	v_and_b32_e32 v16, 0xffff, v16
	v_lshlrev_b32_e32 v15, 16, v15
	v_and_b32_e32 v14, 0xffff, v14
	v_or_b32_e32 v4, v13, v12
	v_lshlrev_b32_e32 v19, 16, v19
	v_and_b32_e32 v18, 0xffff, v18
	v_or_b32_e32 v6, v17, v16
	v_or3_b32 v5, v15, v14, 0
	v_or3_b32 v4, 0, 0, v4
	s_delay_alu instid0(VALU_DEP_4)
	v_or3_b32 v7, v19, v18, 0
	s_wait_loadcnt 0x1
	v_fma_mixlo_f16 v36, s4, v44, 0
	v_fma_mixlo_f16 v37, s4, v45, 0
	s_wait_loadcnt 0x0
	v_fma_mixlo_f16 v40, s4, v48, 0
	v_fma_mixlo_f16 v41, s4, v49, 0
	;; [unrolled: 1-line block ×4, first 2 shown]
	v_lshlrev_b32_e32 v37, 16, v37
	v_and_b32_e32 v36, 0xffff, v36
	v_fma_mixlo_f16 v42, s4, v50, 0
	v_fma_mixlo_f16 v43, s4, v51, 0
	v_lshlrev_b32_e32 v41, 16, v41
	v_and_b32_e32 v40, 0xffff, v40
	v_lshlrev_b32_e32 v39, 16, v39
	v_and_b32_e32 v38, 0xffff, v38
	v_or_b32_e32 v12, v37, v36
	v_lshlrev_b32_e32 v43, 16, v43
	v_and_b32_e32 v42, 0xffff, v42
	v_or_b32_e32 v14, v41, v40
	v_or3_b32 v6, 0, 0, v6
	v_or3_b32 v13, v39, v38, 0
	;; [unrolled: 1-line block ×5, first 2 shown]
	ds_store_2addr_b64 v21, v[8:9], v[10:11] offset0:64 offset1:96
	ds_store_b64 v22, v[4:5]
	ds_store_b64 v23, v[6:7]
	;; [unrolled: 1-line block ×4, first 2 shown]
	s_wait_dscnt 0x0
	s_barrier_signal -1
	s_barrier_wait -1
	global_inv scope:SCOPE_SE
	s_cbranch_scc1 .LBB75_4
; %bb.3:
	s_load_b32 s4, s[0:1], 0xd0
	s_mov_b32 s5, 0
	s_wait_kmcnt 0x0
	s_mul_i32 s4, s4, s28
	s_wait_alu 0xfffe
	s_add_co_i32 s4, s4, ttmp9
	s_wait_alu 0xfffe
	s_lshl_b64 s[4:5], s[4:5], 2
	s_wait_alu 0xfffe
	s_add_nc_u64 s[4:5], s[14:15], s[4:5]
	s_load_b32 s30, s[4:5], 0x0
.LBB75_4:
	s_and_b32 s4, ttmp7, 0xffff
	v_mbcnt_lo_u32_b32 v22, -1, 0
	s_wait_alu 0xfffe
	s_lshl_b32 s10, s4, 6
	s_wait_kmcnt 0x0
	s_wait_alu 0xfffe
	s_cmp_lt_i32 s10, s30
	s_cbranch_scc1 .LBB75_7
; %bb.5:
	v_mbcnt_lo_u32_b32 v8, -1, 0
	v_mov_b32_e32 v21, 32
	s_delay_alu instid0(VALU_DEP_2)
	v_xor_b32_e32 v77, 16, v8
	v_xor_b32_e32 v75, 8, v8
	;; [unrolled: 1-line block ×5, first 2 shown]
	v_lshlrev_b32_e32 v33, 2, v35
	s_mov_b32 s29, 0
	s_cbranch_execz .LBB75_8
; %bb.6:
	v_dual_mov_b32 v61, 0 :: v_dual_mov_b32 v6, 0xfeffffff
	v_dual_mov_b32 v85, 0 :: v_dual_mov_b32 v4, 0xfeffffff
	v_dual_mov_b32 v7, 0xfeffffff :: v_dual_mov_b32 v2, 0xfeffffff
	v_dual_mov_b32 v5, 0xfeffffff :: v_dual_mov_b32 v0, 0xfeffffff
	v_dual_mov_b32 v3, 0xfeffffff :: v_dual_mov_b32 v86, 0
	v_dual_mov_b32 v1, 0xfeffffff :: v_dual_mov_b32 v84, 0
	v_dual_mov_b32 v83, 0 :: v_dual_mov_b32 v82, 0
	v_dual_mov_b32 v81, 0 :: v_dual_mov_b32 v80, 0
	v_dual_mov_b32 v79, 0 :: v_dual_mov_b32 v62, 0
	v_dual_mov_b32 v59, 0 :: v_dual_mov_b32 v60, 0
	v_dual_mov_b32 v58, 0 :: v_dual_mov_b32 v57, 0
	v_dual_mov_b32 v55, 0 :: v_dual_mov_b32 v56, 0
	v_dual_mov_b32 v53, 0 :: v_dual_mov_b32 v54, 0
	v_dual_mov_b32 v51, 0 :: v_dual_mov_b32 v52, 0
	v_dual_mov_b32 v49, 0 :: v_dual_mov_b32 v50, 0
	v_dual_mov_b32 v48, 0 :: v_dual_mov_b32 v47, 0
	s_branch .LBB75_76
.LBB75_7:
                                        ; implicit-def: $vgpr8
                                        ; implicit-def: $vgpr21
                                        ; implicit-def: $vgpr77
                                        ; implicit-def: $vgpr75
                                        ; implicit-def: $vgpr74
                                        ; implicit-def: $vgpr73
                                        ; implicit-def: $vgpr71
	v_lshlrev_b32_e32 v33, 2, v35
	s_mov_b32 s29, 0
.LBB75_8:
	v_add3_u32 v7, s31, v24, 1
	s_clause 0x1
	s_load_b128 s[24:27], s[0:1], 0x98
	s_load_b64 s[42:43], s[0:1], 0x8c
	s_mul_f32 s3, s3, 0x4f7ffffe
	v_lshrrev_b32_e32 v4, 3, v35
	v_dual_mov_b32 v47, 0 :: v_dual_and_b32 v14, 28, v33
	v_mul_hi_u32 v5, s20, v7
	s_wait_alu 0xfffe
	s_cvt_u32_f32 s5, s3
	s_sub_co_i32 s11, 0, s33
	v_lshrrev_b32_e32 v9, 4, v35
	v_lshl_add_u32 v6, v1, 2, v4
	s_wait_alu 0xfffe
	s_mul_i32 s11, s11, s5
	v_dual_mov_b32 v21, 32 :: v_dual_lshlrev_b32 v8, 2, v14
	v_dual_mov_b32 v76, 0xfeffffff :: v_dual_add_nc_u32 v5, v7, v5
	s_wait_alu 0xfffe
	s_mul_hi_u32 s11, s5, s11
	s_load_b32 s3, s[0:1], 0x54
	s_abs_i32 s36, s2
	v_lshrrev_b32_e32 v5, s21, v5
	s_mov_b32 s15, s37
	s_add_co_i32 s14, s5, s11
	s_ashr_i32 s5, s40, 31
	s_load_b64 s[40:41], s[0:1], 0xa8
	v_mul_lo_u32 v11, v5, s22
	v_dual_mov_b32 v48, 0 :: v_dual_add_nc_u32 v9, v9, v24
	s_mul_u64 s[14:15], s[36:37], s[14:15]
	s_wait_kmcnt 0x0
	s_ashr_i32 s14, s26, 2
	s_ashr_i32 s26, s42, 2
	v_mad_u32_u24 v10, 0x90, v6, v8
	v_dual_mov_b32 v49, 0 :: v_dual_and_b32 v18, 60, v33
	s_mul_i32 s37, s15, s33
	s_wait_alu 0xfffe
	v_mul_lo_u32 v4, s26, v6
	v_mul_lo_u32 v8, s14, v9
	s_ashr_i32 s38, s2, 31
	s_sub_co_i32 s36, s36, s37
	s_ashr_i32 s11, s39, 1
	s_xor_b32 s5, s38, s5
	s_add_co_i32 s38, s15, 1
	s_sub_co_i32 s37, s36, s33
	v_dual_mov_b32 v50, 0 :: v_dual_add_nc_u32 v23, 0x4000, v10
	v_dual_mov_b32 v51, 0 :: v_dual_lshlrev_b32 v12, 2, v18
	v_dual_mov_b32 v53, 0 :: v_dual_add_nc_u32 v36, 0x5200, v10
	v_sub_nc_u32_e32 v10, v7, v11
	s_cmp_ge_u32 s36, s33
	v_lshl_add_u32 v6, s26, 5, v4
	s_cselect_b32 s15, s38, s15
	s_cselect_b32 s36, s37, s36
	s_wait_alu 0xfffe
	s_add_co_i32 s37, s15, 1
	v_lshl_or_b32 v11, v9, 8, v12
	v_mul_lo_u32 v39, v10, s11
	v_lshl_add_u32 v10, s14, 4, v8
	s_cmp_ge_u32 s36, s33
	v_ashrrev_i32_e32 v5, 31, v4
	s_cselect_b32 s15, s37, s15
	v_ashrrev_i32_e32 v7, 31, v6
	s_wait_alu 0xfffe
	s_xor_b32 s15, s15, s5
	v_dual_mov_b32 v52, 0 :: v_dual_add_nc_u32 v41, 0x4000, v11
	v_ashrrev_i32_e32 v9, 31, v8
	v_dual_mov_b32 v55, 0 :: v_dual_add_nc_u32 v42, 0x5000, v11
	v_ashrrev_i32_e32 v11, 31, v10
	v_lshl_add_u32 v40, v1, 10, 0x6400
	s_mul_u64 s[24:25], s[24:25], s[28:29]
	s_mul_u64 s[36:37], s[40:41], s[28:29]
	s_wait_alu 0xfffe
	s_sub_co_i32 s5, s15, s5
	v_mul_lo_u32 v38, v2, s11
	s_add_nc_u64 s[6:7], s[6:7], s[24:25]
	s_wait_alu 0xfffe
	s_mul_i32 s24, s5, s43
	s_add_nc_u64 s[8:9], s[8:9], s[36:37]
	s_mul_i32 s36, s5, s27
	s_movk_i32 s5, 0x4000
	v_lshlrev_b64_e32 v[12:13], 2, v[4:5]
	v_dual_mov_b32 v57, 0 :: v_dual_lshlrev_b32 v44, 2, v14
	v_lshlrev_b64_e32 v[14:15], 2, v[6:7]
	v_lshlrev_b64_e32 v[16:17], 2, v[8:9]
	v_dual_mov_b32 v59, 0 :: v_dual_lshlrev_b32 v46, 2, v18
	v_lshlrev_b64_e32 v[18:19], 2, v[10:11]
	s_wait_alu 0xfffe
	v_mad_u32_u24 v37, 0x90, v35, s5
	v_or_b32_e32 v43, 0x4000, v3
	v_dual_mov_b32 v54, 0 :: v_dual_add_nc_u32 v45, v40, v0
	v_dual_mov_b32 v56, 0 :: v_dual_mov_b32 v61, 0
	v_dual_mov_b32 v58, 0 :: v_dual_mov_b32 v69, 0xfeffffff
	;; [unrolled: 1-line block ×8, first 2 shown]
	v_mov_b32_e32 v68, 0
	v_mov_b32_e32 v66, 0
	;; [unrolled: 1-line block ×4, first 2 shown]
	s_ashr_i32 s25, s24, 31
	s_ashr_i32 s37, s36, 31
	s_wait_alu 0xfffe
	s_add_nc_u64 s[6:7], s[6:7], s[24:25]
	s_add_nc_u64 s[8:9], s[8:9], s[36:37]
	s_ashr_i32 s27, s26, 31
	s_ashr_i32 s15, s14, 31
	s_add_nc_u64 s[20:21], s[0:1], 0xd0
	s_mov_b32 s5, 0xbbbac73d
.LBB75_9:                               ; =>This Inner Loop Header: Depth=1
	s_ashr_i32 s11, s10, 31
	v_dual_mov_b32 v71, 0 :: v_dual_mov_b32 v84, 0
	s_wait_alu 0xfffe
	s_mul_u64 s[24:25], s[10:11], s[26:27]
	v_dual_mov_b32 v87, 0 :: v_dual_mov_b32 v80, 0
	s_wait_alu 0xfffe
	s_lshl_b64 s[24:25], s[24:25], 2
	v_dual_mov_b32 v85, 0 :: v_dual_mov_b32 v6, 0
	s_wait_alu 0xfffe
	s_add_nc_u64 s[24:25], s[6:7], s[24:25]
	v_dual_mov_b32 v81, 0 :: v_dual_mov_b32 v4, 0
	s_wait_alu 0xfffe
	v_add_co_u32 v0, vcc_lo, s24, v12
	s_wait_alu 0xfffd
	v_add_co_ci_u32_e64 v1, null, s25, v13, vcc_lo
	v_add_co_u32 v2, vcc_lo, s24, v14
	s_wait_alu 0xfffd
	v_add_co_ci_u32_e64 v3, null, s25, v15, vcc_lo
	;; [unrolled: 3-line block ×4, first 2 shown]
	s_clause 0x1
	global_load_b128 v[88:91], v[0:1], off
	global_load_b128 v[92:95], v[2:3], off
	v_mov_b32_e32 v73, 0
	v_dual_mov_b32 v83, 0 :: v_dual_mov_b32 v82, 0
	v_mov_b32_e32 v79, 0
	v_mov_b32_e32 v5, 0
	s_wait_loadcnt 0x1
	ds_store_b128 v23, v[88:91]
	s_wait_loadcnt 0x0
	ds_store_b128 v36, v[92:95]
	s_wait_dscnt 0x0
	s_barrier_signal -1
	s_barrier_wait -1
	global_inv scope:SCOPE_SE
	ds_load_b128 v[90:93], v37
	ds_load_b128 v[94:97], v20
	ds_load_b128 v[98:101], v20 offset:256
	ds_load_b128 v[102:105], v20 offset:512
	;; [unrolled: 1-line block ×8, first 2 shown]
	v_mov_b32_e32 v88, 0
	s_wait_dscnt 0x8
	;;#ASMSTART
	v_dot2_f32_f16 v71, v90, v94, v71
	;;#ASMEND
	;;#ASMSTART
	v_dot2_f32_f16 v71, v91, v95, v71
	;;#ASMEND
	;;#ASMSTART
	v_dot2_f32_f16 v71, v92, v96, v71
	;;#ASMEND
	;;#ASMSTART
	v_dot2_f32_f16 v71, v93, v97, v71
	;;#ASMEND
	s_wait_dscnt 0x7
	;;#ASMSTART
	v_dot2_f32_f16 v87, v90, v98, v87
	;;#ASMEND
	;;#ASMSTART
	v_dot2_f32_f16 v87, v91, v99, v87
	;;#ASMEND
	;;#ASMSTART
	v_dot2_f32_f16 v87, v92, v100, v87
	;;#ASMEND
	;;#ASMSTART
	v_dot2_f32_f16 v87, v93, v101, v87
	;;#ASMEND
	;; [unrolled: 13-line block ×8, first 2 shown]
	;;#ASMSTART
	v_dot2_f32_f16 v73, v110, v94, v73
	;;#ASMEND
	;;#ASMSTART
	v_dot2_f32_f16 v73, v111, v95, v73
	;;#ASMEND
	v_dual_mov_b32 v89, 0 :: v_dual_mov_b32 v86, 0
	;;#ASMSTART
	v_dot2_f32_f16 v73, v112, v96, v73
	;;#ASMEND
	;;#ASMSTART
	v_dot2_f32_f16 v73, v113, v97, v73
	;;#ASMEND
	;;#ASMSTART
	v_dot2_f32_f16 v89, v110, v98, v89
	;;#ASMEND
	;;#ASMSTART
	v_dot2_f32_f16 v89, v111, v99, v89
	;;#ASMEND
	;;#ASMSTART
	v_dot2_f32_f16 v89, v112, v100, v89
	;;#ASMEND
	;;#ASMSTART
	v_dot2_f32_f16 v89, v113, v101, v89
	;;#ASMEND
	;;#ASMSTART
	v_dot2_f32_f16 v88, v110, v102, v88
	;;#ASMEND
	;;#ASMSTART
	v_dot2_f32_f16 v88, v111, v103, v88
	;;#ASMEND
	;;#ASMSTART
	v_dot2_f32_f16 v88, v112, v104, v88
	;;#ASMEND
	;;#ASMSTART
	v_dot2_f32_f16 v88, v113, v105, v88
	;;#ASMEND
	;;#ASMSTART
	v_dot2_f32_f16 v86, v110, v106, v86
	;;#ASMEND
	;;#ASMSTART
	v_dot2_f32_f16 v86, v111, v107, v86
	;;#ASMEND
	;;#ASMSTART
	v_dot2_f32_f16 v86, v112, v108, v86
	;;#ASMEND
	;;#ASMSTART
	v_dot2_f32_f16 v86, v113, v109, v86
	;;#ASMEND
	;;#ASMSTART
	v_dot2_f32_f16 v83, v110, v114, v83
	;;#ASMEND
	;;#ASMSTART
	v_dot2_f32_f16 v83, v111, v115, v83
	;;#ASMEND
	;;#ASMSTART
	v_dot2_f32_f16 v83, v112, v116, v83
	;;#ASMEND
	;;#ASMSTART
	v_dot2_f32_f16 v83, v113, v117, v83
	;;#ASMEND
	;;#ASMSTART
	v_dot2_f32_f16 v82, v110, v118, v82
	;;#ASMEND
	;;#ASMSTART
	v_dot2_f32_f16 v82, v111, v119, v82
	;;#ASMEND
	;;#ASMSTART
	v_dot2_f32_f16 v82, v112, v120, v82
	;;#ASMEND
	;;#ASMSTART
	v_dot2_f32_f16 v82, v113, v121, v82
	;;#ASMEND
	;;#ASMSTART
	v_dot2_f32_f16 v79, v110, v122, v79
	;;#ASMEND
	;;#ASMSTART
	v_dot2_f32_f16 v79, v111, v123, v79
	;;#ASMEND
	;;#ASMSTART
	v_dot2_f32_f16 v79, v112, v124, v79
	;;#ASMEND
	;;#ASMSTART
	v_dot2_f32_f16 v79, v113, v125, v79
	;;#ASMEND
	;;#ASMSTART
	v_dot2_f32_f16 v5, v110, v126, v5
	;;#ASMEND
	;;#ASMSTART
	v_dot2_f32_f16 v5, v111, v127, v5
	;;#ASMEND
	;;#ASMSTART
	v_dot2_f32_f16 v5, v112, v128, v5
	;;#ASMEND
	;;#ASMSTART
	v_dot2_f32_f16 v5, v113, v129, v5
	;;#ASMEND
	ds_load_b128 v[90:93], v37 offset:16
	ds_load_b128 v[94:97], v20 offset:16
	;; [unrolled: 1-line block ×10, first 2 shown]
	s_wait_dscnt 0x8
	;;#ASMSTART
	v_dot2_f32_f16 v71, v90, v94, v71
	;;#ASMEND
	;;#ASMSTART
	v_dot2_f32_f16 v71, v91, v95, v71
	;;#ASMEND
	;;#ASMSTART
	v_dot2_f32_f16 v71, v92, v96, v71
	;;#ASMEND
	;;#ASMSTART
	v_dot2_f32_f16 v71, v93, v97, v71
	;;#ASMEND
	s_wait_dscnt 0x7
	;;#ASMSTART
	v_dot2_f32_f16 v87, v90, v98, v87
	;;#ASMEND
	;;#ASMSTART
	v_dot2_f32_f16 v87, v91, v99, v87
	;;#ASMEND
	;;#ASMSTART
	v_dot2_f32_f16 v87, v92, v100, v87
	;;#ASMEND
	;;#ASMSTART
	v_dot2_f32_f16 v87, v93, v101, v87
	;;#ASMEND
	s_wait_dscnt 0x6
	;;#ASMSTART
	v_dot2_f32_f16 v85, v90, v102, v85
	;;#ASMEND
	;;#ASMSTART
	v_dot2_f32_f16 v85, v91, v103, v85
	;;#ASMEND
	;;#ASMSTART
	v_dot2_f32_f16 v85, v92, v104, v85
	;;#ASMEND
	;;#ASMSTART
	v_dot2_f32_f16 v85, v93, v105, v85
	;;#ASMEND
	s_wait_dscnt 0x5
	;;#ASMSTART
	v_dot2_f32_f16 v84, v90, v106, v84
	;;#ASMEND
	;;#ASMSTART
	v_dot2_f32_f16 v84, v91, v107, v84
	;;#ASMEND
	;;#ASMSTART
	v_dot2_f32_f16 v84, v92, v108, v84
	;;#ASMEND
	;;#ASMSTART
	v_dot2_f32_f16 v84, v93, v109, v84
	;;#ASMEND
	s_wait_dscnt 0x3
	;;#ASMSTART
	v_dot2_f32_f16 v81, v90, v114, v81
	;;#ASMEND
	;;#ASMSTART
	v_dot2_f32_f16 v81, v91, v115, v81
	;;#ASMEND
	;;#ASMSTART
	v_dot2_f32_f16 v81, v92, v116, v81
	;;#ASMEND
	;;#ASMSTART
	v_dot2_f32_f16 v81, v93, v117, v81
	;;#ASMEND
	s_wait_dscnt 0x2
	;;#ASMSTART
	v_dot2_f32_f16 v80, v90, v118, v80
	;;#ASMEND
	;;#ASMSTART
	v_dot2_f32_f16 v80, v91, v119, v80
	;;#ASMEND
	;;#ASMSTART
	v_dot2_f32_f16 v80, v92, v120, v80
	;;#ASMEND
	;;#ASMSTART
	v_dot2_f32_f16 v80, v93, v121, v80
	;;#ASMEND
	s_wait_dscnt 0x1
	;;#ASMSTART
	v_dot2_f32_f16 v6, v90, v122, v6
	;;#ASMEND
	;;#ASMSTART
	v_dot2_f32_f16 v6, v91, v123, v6
	;;#ASMEND
	;;#ASMSTART
	v_dot2_f32_f16 v6, v92, v124, v6
	;;#ASMEND
	;;#ASMSTART
	v_dot2_f32_f16 v6, v93, v125, v6
	;;#ASMEND
	s_wait_dscnt 0x0
	;;#ASMSTART
	v_dot2_f32_f16 v4, v90, v126, v4
	;;#ASMEND
	;;#ASMSTART
	v_dot2_f32_f16 v4, v91, v127, v4
	;;#ASMEND
	;;#ASMSTART
	v_dot2_f32_f16 v4, v92, v128, v4
	;;#ASMEND
	;;#ASMSTART
	v_dot2_f32_f16 v4, v93, v129, v4
	;;#ASMEND
	;;#ASMSTART
	v_dot2_f32_f16 v73, v110, v94, v73
	;;#ASMEND
	;;#ASMSTART
	v_dot2_f32_f16 v73, v111, v95, v73
	;;#ASMEND
	;;#ASMSTART
	v_dot2_f32_f16 v73, v112, v96, v73
	;;#ASMEND
	;;#ASMSTART
	v_dot2_f32_f16 v73, v113, v97, v73
	;;#ASMEND
	;;#ASMSTART
	v_dot2_f32_f16 v89, v110, v98, v89
	;;#ASMEND
	;;#ASMSTART
	v_dot2_f32_f16 v89, v111, v99, v89
	;;#ASMEND
	;;#ASMSTART
	v_dot2_f32_f16 v89, v112, v100, v89
	;;#ASMEND
	;;#ASMSTART
	v_dot2_f32_f16 v89, v113, v101, v89
	;;#ASMEND
	;;#ASMSTART
	v_dot2_f32_f16 v88, v110, v102, v88
	;;#ASMEND
	;;#ASMSTART
	v_dot2_f32_f16 v88, v111, v103, v88
	;;#ASMEND
	;;#ASMSTART
	v_dot2_f32_f16 v88, v112, v104, v88
	;;#ASMEND
	;;#ASMSTART
	v_dot2_f32_f16 v88, v113, v105, v88
	;;#ASMEND
	;;#ASMSTART
	v_dot2_f32_f16 v86, v110, v106, v86
	;;#ASMEND
	;;#ASMSTART
	v_dot2_f32_f16 v86, v111, v107, v86
	;;#ASMEND
	;;#ASMSTART
	v_dot2_f32_f16 v86, v112, v108, v86
	;;#ASMEND
	;;#ASMSTART
	v_dot2_f32_f16 v86, v113, v109, v86
	;;#ASMEND
	;;#ASMSTART
	v_dot2_f32_f16 v83, v110, v114, v83
	;;#ASMEND
	;;#ASMSTART
	v_dot2_f32_f16 v83, v111, v115, v83
	;;#ASMEND
	;;#ASMSTART
	v_dot2_f32_f16 v83, v112, v116, v83
	;;#ASMEND
	;;#ASMSTART
	v_dot2_f32_f16 v83, v113, v117, v83
	;;#ASMEND
	;;#ASMSTART
	v_dot2_f32_f16 v82, v110, v118, v82
	;;#ASMEND
	;;#ASMSTART
	v_dot2_f32_f16 v82, v111, v119, v82
	;;#ASMEND
	;;#ASMSTART
	v_dot2_f32_f16 v82, v112, v120, v82
	;;#ASMEND
	;;#ASMSTART
	v_dot2_f32_f16 v82, v113, v121, v82
	;;#ASMEND
	;;#ASMSTART
	v_dot2_f32_f16 v79, v110, v122, v79
	;;#ASMEND
	;;#ASMSTART
	v_dot2_f32_f16 v79, v111, v123, v79
	;;#ASMEND
	;;#ASMSTART
	v_dot2_f32_f16 v79, v112, v124, v79
	;;#ASMEND
	;;#ASMSTART
	v_dot2_f32_f16 v79, v113, v125, v79
	;;#ASMEND
	;;#ASMSTART
	v_dot2_f32_f16 v5, v110, v126, v5
	;;#ASMEND
	;;#ASMSTART
	v_dot2_f32_f16 v5, v111, v127, v5
	;;#ASMEND
	;;#ASMSTART
	v_dot2_f32_f16 v5, v112, v128, v5
	;;#ASMEND
	;;#ASMSTART
	v_dot2_f32_f16 v5, v113, v129, v5
	;;#ASMEND
	ds_load_b128 v[90:93], v37 offset:32
	ds_load_b128 v[94:97], v20 offset:32
	;; [unrolled: 1-line block ×10, first 2 shown]
	s_wait_dscnt 0x8
	;;#ASMSTART
	v_dot2_f32_f16 v71, v90, v94, v71
	;;#ASMEND
	;;#ASMSTART
	v_dot2_f32_f16 v71, v91, v95, v71
	;;#ASMEND
	;;#ASMSTART
	v_dot2_f32_f16 v71, v92, v96, v71
	;;#ASMEND
	;;#ASMSTART
	v_dot2_f32_f16 v71, v93, v97, v71
	;;#ASMEND
	s_wait_dscnt 0x7
	;;#ASMSTART
	v_dot2_f32_f16 v87, v90, v98, v87
	;;#ASMEND
	;;#ASMSTART
	v_dot2_f32_f16 v87, v91, v99, v87
	;;#ASMEND
	;;#ASMSTART
	v_dot2_f32_f16 v87, v92, v100, v87
	;;#ASMEND
	;;#ASMSTART
	v_dot2_f32_f16 v87, v93, v101, v87
	;;#ASMEND
	;; [unrolled: 13-line block ×8, first 2 shown]
	;;#ASMSTART
	v_dot2_f32_f16 v73, v110, v94, v73
	;;#ASMEND
	;;#ASMSTART
	v_dot2_f32_f16 v73, v111, v95, v73
	;;#ASMEND
	;; [unrolled: 3-line block ×32, first 2 shown]
	ds_load_b128 v[90:93], v37 offset:48
	ds_load_b128 v[94:97], v20 offset:48
	ds_load_b128 v[98:101], v20 offset:304
	ds_load_b128 v[102:105], v20 offset:560
	ds_load_b128 v[106:109], v20 offset:816
	ds_load_b128 v[110:113], v37 offset:4656
	ds_load_b128 v[114:117], v20 offset:1072
	ds_load_b128 v[118:121], v20 offset:1328
	ds_load_b128 v[122:125], v20 offset:1584
	ds_load_b128 v[126:129], v20 offset:1840
	s_wait_dscnt 0x8
	;;#ASMSTART
	v_dot2_f32_f16 v71, v90, v94, v71
	;;#ASMEND
	;;#ASMSTART
	v_dot2_f32_f16 v71, v91, v95, v71
	;;#ASMEND
	;;#ASMSTART
	v_dot2_f32_f16 v71, v92, v96, v71
	;;#ASMEND
	;;#ASMSTART
	v_dot2_f32_f16 v71, v93, v97, v71
	;;#ASMEND
	s_wait_dscnt 0x7
	;;#ASMSTART
	v_dot2_f32_f16 v87, v90, v98, v87
	;;#ASMEND
	;;#ASMSTART
	v_dot2_f32_f16 v87, v91, v99, v87
	;;#ASMEND
	;;#ASMSTART
	v_dot2_f32_f16 v87, v92, v100, v87
	;;#ASMEND
	;;#ASMSTART
	v_dot2_f32_f16 v87, v93, v101, v87
	;;#ASMEND
	;; [unrolled: 13-line block ×8, first 2 shown]
	;;#ASMSTART
	v_dot2_f32_f16 v73, v110, v94, v73
	;;#ASMEND
	;;#ASMSTART
	v_dot2_f32_f16 v73, v111, v95, v73
	;;#ASMEND
	;; [unrolled: 3-line block ×32, first 2 shown]
	ds_load_b128 v[90:93], v37 offset:64
	ds_load_b128 v[94:97], v20 offset:64
	;; [unrolled: 1-line block ×10, first 2 shown]
	s_wait_dscnt 0x8
	;;#ASMSTART
	v_dot2_f32_f16 v71, v90, v94, v71
	;;#ASMEND
	;;#ASMSTART
	v_dot2_f32_f16 v71, v91, v95, v71
	;;#ASMEND
	;;#ASMSTART
	v_dot2_f32_f16 v71, v92, v96, v71
	;;#ASMEND
	;;#ASMSTART
	v_dot2_f32_f16 v71, v93, v97, v71
	;;#ASMEND
	s_wait_dscnt 0x7
	;;#ASMSTART
	v_dot2_f32_f16 v87, v90, v98, v87
	;;#ASMEND
	;;#ASMSTART
	v_dot2_f32_f16 v87, v91, v99, v87
	;;#ASMEND
	;;#ASMSTART
	v_dot2_f32_f16 v87, v92, v100, v87
	;;#ASMEND
	;;#ASMSTART
	v_dot2_f32_f16 v87, v93, v101, v87
	;;#ASMEND
	;; [unrolled: 13-line block ×8, first 2 shown]
	;;#ASMSTART
	v_dot2_f32_f16 v73, v110, v94, v73
	;;#ASMEND
	;;#ASMSTART
	v_dot2_f32_f16 v73, v111, v95, v73
	;;#ASMEND
	;; [unrolled: 3-line block ×32, first 2 shown]
	ds_load_b128 v[90:93], v37 offset:80
	ds_load_b128 v[94:97], v20 offset:80
	;; [unrolled: 1-line block ×10, first 2 shown]
	s_wait_dscnt 0x8
	;;#ASMSTART
	v_dot2_f32_f16 v71, v90, v94, v71
	;;#ASMEND
	;;#ASMSTART
	v_dot2_f32_f16 v71, v91, v95, v71
	;;#ASMEND
	;;#ASMSTART
	v_dot2_f32_f16 v71, v92, v96, v71
	;;#ASMEND
	;;#ASMSTART
	v_dot2_f32_f16 v71, v93, v97, v71
	;;#ASMEND
	s_wait_dscnt 0x7
	;;#ASMSTART
	v_dot2_f32_f16 v87, v90, v98, v87
	;;#ASMEND
	;;#ASMSTART
	v_dot2_f32_f16 v87, v91, v99, v87
	;;#ASMEND
	;;#ASMSTART
	v_dot2_f32_f16 v87, v92, v100, v87
	;;#ASMEND
	;;#ASMSTART
	v_dot2_f32_f16 v87, v93, v101, v87
	;;#ASMEND
	;; [unrolled: 13-line block ×8, first 2 shown]
	;;#ASMSTART
	v_dot2_f32_f16 v73, v110, v94, v73
	;;#ASMEND
	;;#ASMSTART
	v_dot2_f32_f16 v73, v111, v95, v73
	;;#ASMEND
	;;#ASMSTART
	v_dot2_f32_f16 v73, v112, v96, v73
	;;#ASMEND
	;;#ASMSTART
	v_dot2_f32_f16 v73, v113, v97, v73
	;;#ASMEND
	;;#ASMSTART
	v_dot2_f32_f16 v89, v110, v98, v89
	;;#ASMEND
	;;#ASMSTART
	v_dot2_f32_f16 v89, v111, v99, v89
	;;#ASMEND
	;;#ASMSTART
	v_dot2_f32_f16 v89, v112, v100, v89
	;;#ASMEND
	;;#ASMSTART
	v_dot2_f32_f16 v89, v113, v101, v89
	;;#ASMEND
	;;#ASMSTART
	v_dot2_f32_f16 v88, v110, v102, v88
	;;#ASMEND
	;;#ASMSTART
	v_dot2_f32_f16 v88, v111, v103, v88
	;;#ASMEND
	;;#ASMSTART
	v_dot2_f32_f16 v88, v112, v104, v88
	;;#ASMEND
	;;#ASMSTART
	v_dot2_f32_f16 v88, v113, v105, v88
	;;#ASMEND
	;;#ASMSTART
	v_dot2_f32_f16 v86, v110, v106, v86
	;;#ASMEND
	;;#ASMSTART
	v_dot2_f32_f16 v86, v111, v107, v86
	;;#ASMEND
	;;#ASMSTART
	v_dot2_f32_f16 v86, v112, v108, v86
	;;#ASMEND
	;;#ASMSTART
	v_dot2_f32_f16 v86, v113, v109, v86
	;;#ASMEND
	;;#ASMSTART
	v_dot2_f32_f16 v83, v110, v114, v83
	;;#ASMEND
	;;#ASMSTART
	v_dot2_f32_f16 v83, v111, v115, v83
	;;#ASMEND
	;;#ASMSTART
	v_dot2_f32_f16 v83, v112, v116, v83
	;;#ASMEND
	;;#ASMSTART
	v_dot2_f32_f16 v83, v113, v117, v83
	;;#ASMEND
	;;#ASMSTART
	v_dot2_f32_f16 v82, v110, v118, v82
	;;#ASMEND
	;;#ASMSTART
	v_dot2_f32_f16 v82, v111, v119, v82
	;;#ASMEND
	;;#ASMSTART
	v_dot2_f32_f16 v82, v112, v120, v82
	;;#ASMEND
	;;#ASMSTART
	v_dot2_f32_f16 v82, v113, v121, v82
	;;#ASMEND
	;;#ASMSTART
	v_dot2_f32_f16 v79, v110, v122, v79
	;;#ASMEND
	;;#ASMSTART
	v_dot2_f32_f16 v79, v111, v123, v79
	;;#ASMEND
	;;#ASMSTART
	v_dot2_f32_f16 v79, v112, v124, v79
	;;#ASMEND
	;;#ASMSTART
	v_dot2_f32_f16 v79, v113, v125, v79
	;;#ASMEND
	;;#ASMSTART
	v_dot2_f32_f16 v5, v110, v126, v5
	;;#ASMEND
	;;#ASMSTART
	v_dot2_f32_f16 v5, v111, v127, v5
	;;#ASMEND
	;;#ASMSTART
	v_dot2_f32_f16 v5, v112, v128, v5
	;;#ASMEND
	;;#ASMSTART
	v_dot2_f32_f16 v5, v113, v129, v5
	;;#ASMEND
	ds_load_b128 v[90:93], v37 offset:96
	ds_load_b128 v[94:97], v20 offset:96
	;; [unrolled: 1-line block ×10, first 2 shown]
	s_wait_dscnt 0x8
	;;#ASMSTART
	v_dot2_f32_f16 v71, v90, v94, v71
	;;#ASMEND
	;;#ASMSTART
	v_dot2_f32_f16 v71, v91, v95, v71
	;;#ASMEND
	;;#ASMSTART
	v_dot2_f32_f16 v71, v92, v96, v71
	;;#ASMEND
	;;#ASMSTART
	v_dot2_f32_f16 v71, v93, v97, v71
	;;#ASMEND
	s_wait_dscnt 0x7
	;;#ASMSTART
	v_dot2_f32_f16 v87, v90, v98, v87
	;;#ASMEND
	;;#ASMSTART
	v_dot2_f32_f16 v87, v91, v99, v87
	;;#ASMEND
	;;#ASMSTART
	v_dot2_f32_f16 v87, v92, v100, v87
	;;#ASMEND
	;;#ASMSTART
	v_dot2_f32_f16 v87, v93, v101, v87
	;;#ASMEND
	;; [unrolled: 13-line block ×8, first 2 shown]
	;;#ASMSTART
	v_dot2_f32_f16 v73, v110, v94, v73
	;;#ASMEND
	;;#ASMSTART
	v_dot2_f32_f16 v73, v111, v95, v73
	;;#ASMEND
	;; [unrolled: 3-line block ×32, first 2 shown]
	ds_load_b128 v[90:93], v37 offset:112
	ds_load_b128 v[94:97], v20 offset:112
	;; [unrolled: 1-line block ×10, first 2 shown]
	s_wait_dscnt 0x8
	;;#ASMSTART
	v_dot2_f32_f16 v71, v90, v94, v71
	;;#ASMEND
	;;#ASMSTART
	v_dot2_f32_f16 v71, v91, v95, v71
	;;#ASMEND
	;;#ASMSTART
	v_dot2_f32_f16 v71, v92, v96, v71
	;;#ASMEND
	;;#ASMSTART
	v_dot2_f32_f16 v71, v93, v97, v71
	;;#ASMEND
	s_wait_dscnt 0x7
	;;#ASMSTART
	v_dot2_f32_f16 v87, v90, v98, v87
	;;#ASMEND
	;;#ASMSTART
	v_dot2_f32_f16 v87, v91, v99, v87
	;;#ASMEND
	;;#ASMSTART
	v_dot2_f32_f16 v87, v92, v100, v87
	;;#ASMEND
	;;#ASMSTART
	v_dot2_f32_f16 v87, v93, v101, v87
	;;#ASMEND
	;; [unrolled: 13-line block ×8, first 2 shown]
	;;#ASMSTART
	v_dot2_f32_f16 v73, v110, v94, v73
	;;#ASMEND
	;;#ASMSTART
	v_dot2_f32_f16 v73, v111, v95, v73
	;;#ASMEND
	;;#ASMSTART
	v_dot2_f32_f16 v73, v112, v96, v73
	;;#ASMEND
	;;#ASMSTART
	v_dot2_f32_f16 v73, v113, v97, v73
	;;#ASMEND
	;;#ASMSTART
	v_dot2_f32_f16 v89, v110, v98, v89
	;;#ASMEND
	;;#ASMSTART
	v_dot2_f32_f16 v89, v111, v99, v89
	;;#ASMEND
	;;#ASMSTART
	v_dot2_f32_f16 v89, v112, v100, v89
	;;#ASMEND
	;;#ASMSTART
	v_dot2_f32_f16 v89, v113, v101, v89
	;;#ASMEND
	;;#ASMSTART
	v_dot2_f32_f16 v88, v110, v102, v88
	;;#ASMEND
	;;#ASMSTART
	v_dot2_f32_f16 v88, v111, v103, v88
	;;#ASMEND
	;;#ASMSTART
	v_dot2_f32_f16 v88, v112, v104, v88
	;;#ASMEND
	;;#ASMSTART
	v_dot2_f32_f16 v88, v113, v105, v88
	;;#ASMEND
	;;#ASMSTART
	v_dot2_f32_f16 v86, v110, v106, v86
	;;#ASMEND
	;;#ASMSTART
	v_dot2_f32_f16 v86, v111, v107, v86
	;;#ASMEND
	;;#ASMSTART
	v_dot2_f32_f16 v86, v112, v108, v86
	;;#ASMEND
	;;#ASMSTART
	v_dot2_f32_f16 v86, v113, v109, v86
	;;#ASMEND
	;;#ASMSTART
	v_dot2_f32_f16 v83, v110, v114, v83
	;;#ASMEND
	;;#ASMSTART
	v_dot2_f32_f16 v83, v111, v115, v83
	;;#ASMEND
	;;#ASMSTART
	v_dot2_f32_f16 v83, v112, v116, v83
	;;#ASMEND
	;;#ASMSTART
	v_dot2_f32_f16 v83, v113, v117, v83
	;;#ASMEND
	;;#ASMSTART
	v_dot2_f32_f16 v82, v110, v118, v82
	;;#ASMEND
	;;#ASMSTART
	v_dot2_f32_f16 v82, v111, v119, v82
	;;#ASMEND
	;;#ASMSTART
	v_dot2_f32_f16 v82, v112, v120, v82
	;;#ASMEND
	;;#ASMSTART
	v_dot2_f32_f16 v82, v113, v121, v82
	;;#ASMEND
	;;#ASMSTART
	v_dot2_f32_f16 v79, v110, v122, v79
	;;#ASMEND
	;;#ASMSTART
	v_dot2_f32_f16 v79, v111, v123, v79
	;;#ASMEND
	;;#ASMSTART
	v_dot2_f32_f16 v79, v112, v124, v79
	;;#ASMEND
	;;#ASMSTART
	v_dot2_f32_f16 v79, v113, v125, v79
	;;#ASMEND
	;;#ASMSTART
	v_dot2_f32_f16 v5, v110, v126, v5
	;;#ASMEND
	;;#ASMSTART
	v_dot2_f32_f16 v5, v111, v127, v5
	;;#ASMEND
	;;#ASMSTART
	v_dot2_f32_f16 v5, v112, v128, v5
	;;#ASMEND
	;;#ASMSTART
	v_dot2_f32_f16 v5, v113, v129, v5
	;;#ASMEND
	s_wait_loadcnt 0x0
	s_barrier_signal -1
	s_barrier_wait -1
	global_inv scope:SCOPE_SE
	s_clause 0x1
	global_load_b128 v[90:93], v[0:1], off offset:128
	global_load_b128 v[0:3], v[2:3], off offset:128
	s_wait_loadcnt 0x1
	ds_store_b128 v23, v[90:93]
	s_wait_loadcnt 0x0
	ds_store_b128 v36, v[0:3]
	s_wait_dscnt 0x0
	s_barrier_signal -1
	s_barrier_wait -1
	global_inv scope:SCOPE_SE
	ds_load_b128 v[0:3], v37
	ds_load_b128 v[90:93], v20 offset:128
	ds_load_b128 v[94:97], v20 offset:384
	;; [unrolled: 1-line block ×9, first 2 shown]
	s_wait_dscnt 0x8
	;;#ASMSTART
	v_dot2_f32_f16 v71, v0, v90, v71
	;;#ASMEND
	;;#ASMSTART
	v_dot2_f32_f16 v71, v1, v91, v71
	;;#ASMEND
	;;#ASMSTART
	v_dot2_f32_f16 v71, v2, v92, v71
	;;#ASMEND
	;;#ASMSTART
	v_dot2_f32_f16 v71, v3, v93, v71
	;;#ASMEND
	s_wait_dscnt 0x7
	;;#ASMSTART
	v_dot2_f32_f16 v87, v0, v94, v87
	;;#ASMEND
	;;#ASMSTART
	v_dot2_f32_f16 v87, v1, v95, v87
	;;#ASMEND
	;;#ASMSTART
	v_dot2_f32_f16 v87, v2, v96, v87
	;;#ASMEND
	;;#ASMSTART
	v_dot2_f32_f16 v87, v3, v97, v87
	;;#ASMEND
	;; [unrolled: 13-line block ×8, first 2 shown]
	;;#ASMSTART
	v_dot2_f32_f16 v73, v106, v90, v73
	;;#ASMEND
	;;#ASMSTART
	v_dot2_f32_f16 v73, v107, v91, v73
	;;#ASMEND
	;; [unrolled: 3-line block ×32, first 2 shown]
	ds_load_b128 v[0:3], v37 offset:16
	ds_load_b128 v[90:93], v20 offset:144
	;; [unrolled: 1-line block ×10, first 2 shown]
	s_wait_dscnt 0x8
	;;#ASMSTART
	v_dot2_f32_f16 v71, v0, v90, v71
	;;#ASMEND
	;;#ASMSTART
	v_dot2_f32_f16 v71, v1, v91, v71
	;;#ASMEND
	;;#ASMSTART
	v_dot2_f32_f16 v71, v2, v92, v71
	;;#ASMEND
	;;#ASMSTART
	v_dot2_f32_f16 v71, v3, v93, v71
	;;#ASMEND
	s_wait_dscnt 0x7
	;;#ASMSTART
	v_dot2_f32_f16 v87, v0, v94, v87
	;;#ASMEND
	;;#ASMSTART
	v_dot2_f32_f16 v87, v1, v95, v87
	;;#ASMEND
	;;#ASMSTART
	v_dot2_f32_f16 v87, v2, v96, v87
	;;#ASMEND
	;;#ASMSTART
	v_dot2_f32_f16 v87, v3, v97, v87
	;;#ASMEND
	;; [unrolled: 13-line block ×8, first 2 shown]
	;;#ASMSTART
	v_dot2_f32_f16 v73, v106, v90, v73
	;;#ASMEND
	;;#ASMSTART
	v_dot2_f32_f16 v73, v107, v91, v73
	;;#ASMEND
	;; [unrolled: 3-line block ×32, first 2 shown]
	ds_load_b128 v[0:3], v37 offset:32
	ds_load_b128 v[90:93], v20 offset:160
	;; [unrolled: 1-line block ×10, first 2 shown]
	s_wait_dscnt 0x8
	;;#ASMSTART
	v_dot2_f32_f16 v71, v0, v90, v71
	;;#ASMEND
	;;#ASMSTART
	v_dot2_f32_f16 v71, v1, v91, v71
	;;#ASMEND
	;;#ASMSTART
	v_dot2_f32_f16 v71, v2, v92, v71
	;;#ASMEND
	;;#ASMSTART
	v_dot2_f32_f16 v71, v3, v93, v71
	;;#ASMEND
	s_wait_dscnt 0x7
	;;#ASMSTART
	v_dot2_f32_f16 v87, v0, v94, v87
	;;#ASMEND
	;;#ASMSTART
	v_dot2_f32_f16 v87, v1, v95, v87
	;;#ASMEND
	;;#ASMSTART
	v_dot2_f32_f16 v87, v2, v96, v87
	;;#ASMEND
	;;#ASMSTART
	v_dot2_f32_f16 v87, v3, v97, v87
	;;#ASMEND
	;; [unrolled: 13-line block ×8, first 2 shown]
	;;#ASMSTART
	v_dot2_f32_f16 v73, v106, v90, v73
	;;#ASMEND
	;;#ASMSTART
	v_dot2_f32_f16 v73, v107, v91, v73
	;;#ASMEND
	;; [unrolled: 3-line block ×32, first 2 shown]
	ds_load_b128 v[0:3], v37 offset:48
	ds_load_b128 v[90:93], v20 offset:176
	;; [unrolled: 1-line block ×10, first 2 shown]
	s_wait_dscnt 0x8
	;;#ASMSTART
	v_dot2_f32_f16 v71, v0, v90, v71
	;;#ASMEND
	;;#ASMSTART
	v_dot2_f32_f16 v71, v1, v91, v71
	;;#ASMEND
	;;#ASMSTART
	v_dot2_f32_f16 v71, v2, v92, v71
	;;#ASMEND
	;;#ASMSTART
	v_dot2_f32_f16 v71, v3, v93, v71
	;;#ASMEND
	s_wait_dscnt 0x7
	;;#ASMSTART
	v_dot2_f32_f16 v87, v0, v94, v87
	;;#ASMEND
	;;#ASMSTART
	v_dot2_f32_f16 v87, v1, v95, v87
	;;#ASMEND
	;;#ASMSTART
	v_dot2_f32_f16 v87, v2, v96, v87
	;;#ASMEND
	;;#ASMSTART
	v_dot2_f32_f16 v87, v3, v97, v87
	;;#ASMEND
	;; [unrolled: 13-line block ×8, first 2 shown]
	;;#ASMSTART
	v_dot2_f32_f16 v73, v106, v90, v73
	;;#ASMEND
	;;#ASMSTART
	v_dot2_f32_f16 v73, v107, v91, v73
	;;#ASMEND
	;;#ASMSTART
	v_dot2_f32_f16 v73, v108, v92, v73
	;;#ASMEND
	;;#ASMSTART
	v_dot2_f32_f16 v73, v109, v93, v73
	;;#ASMEND
	;;#ASMSTART
	v_dot2_f32_f16 v89, v106, v94, v89
	;;#ASMEND
	;;#ASMSTART
	v_dot2_f32_f16 v89, v107, v95, v89
	;;#ASMEND
	;;#ASMSTART
	v_dot2_f32_f16 v89, v108, v96, v89
	;;#ASMEND
	;;#ASMSTART
	v_dot2_f32_f16 v89, v109, v97, v89
	;;#ASMEND
	;;#ASMSTART
	v_dot2_f32_f16 v88, v106, v98, v88
	;;#ASMEND
	;;#ASMSTART
	v_dot2_f32_f16 v88, v107, v99, v88
	;;#ASMEND
	;;#ASMSTART
	v_dot2_f32_f16 v88, v108, v100, v88
	;;#ASMEND
	;;#ASMSTART
	v_dot2_f32_f16 v88, v109, v101, v88
	;;#ASMEND
	;;#ASMSTART
	v_dot2_f32_f16 v86, v106, v102, v86
	;;#ASMEND
	;;#ASMSTART
	v_dot2_f32_f16 v86, v107, v103, v86
	;;#ASMEND
	;;#ASMSTART
	v_dot2_f32_f16 v86, v108, v104, v86
	;;#ASMEND
	;;#ASMSTART
	v_dot2_f32_f16 v86, v109, v105, v86
	;;#ASMEND
	;;#ASMSTART
	v_dot2_f32_f16 v83, v106, v110, v83
	;;#ASMEND
	;;#ASMSTART
	v_dot2_f32_f16 v83, v107, v111, v83
	;;#ASMEND
	;;#ASMSTART
	v_dot2_f32_f16 v83, v108, v112, v83
	;;#ASMEND
	;;#ASMSTART
	v_dot2_f32_f16 v83, v109, v113, v83
	;;#ASMEND
	;;#ASMSTART
	v_dot2_f32_f16 v82, v106, v114, v82
	;;#ASMEND
	;;#ASMSTART
	v_dot2_f32_f16 v82, v107, v115, v82
	;;#ASMEND
	;;#ASMSTART
	v_dot2_f32_f16 v82, v108, v116, v82
	;;#ASMEND
	;;#ASMSTART
	v_dot2_f32_f16 v82, v109, v117, v82
	;;#ASMEND
	;;#ASMSTART
	v_dot2_f32_f16 v79, v106, v118, v79
	;;#ASMEND
	;;#ASMSTART
	v_dot2_f32_f16 v79, v107, v119, v79
	;;#ASMEND
	;;#ASMSTART
	v_dot2_f32_f16 v79, v108, v120, v79
	;;#ASMEND
	;;#ASMSTART
	v_dot2_f32_f16 v79, v109, v121, v79
	;;#ASMEND
	;;#ASMSTART
	v_dot2_f32_f16 v5, v106, v122, v5
	;;#ASMEND
	;;#ASMSTART
	v_dot2_f32_f16 v5, v107, v123, v5
	;;#ASMEND
	;;#ASMSTART
	v_dot2_f32_f16 v5, v108, v124, v5
	;;#ASMEND
	;;#ASMSTART
	v_dot2_f32_f16 v5, v109, v125, v5
	;;#ASMEND
	ds_load_b128 v[0:3], v37 offset:64
	ds_load_b128 v[90:93], v20 offset:192
	;; [unrolled: 1-line block ×10, first 2 shown]
	s_wait_dscnt 0x8
	;;#ASMSTART
	v_dot2_f32_f16 v71, v0, v90, v71
	;;#ASMEND
	;;#ASMSTART
	v_dot2_f32_f16 v71, v1, v91, v71
	;;#ASMEND
	;;#ASMSTART
	v_dot2_f32_f16 v71, v2, v92, v71
	;;#ASMEND
	;;#ASMSTART
	v_dot2_f32_f16 v71, v3, v93, v71
	;;#ASMEND
	s_wait_dscnt 0x7
	;;#ASMSTART
	v_dot2_f32_f16 v87, v0, v94, v87
	;;#ASMEND
	;;#ASMSTART
	v_dot2_f32_f16 v87, v1, v95, v87
	;;#ASMEND
	;;#ASMSTART
	v_dot2_f32_f16 v87, v2, v96, v87
	;;#ASMEND
	;;#ASMSTART
	v_dot2_f32_f16 v87, v3, v97, v87
	;;#ASMEND
	;; [unrolled: 13-line block ×8, first 2 shown]
	;;#ASMSTART
	v_dot2_f32_f16 v73, v106, v90, v73
	;;#ASMEND
	;;#ASMSTART
	v_dot2_f32_f16 v73, v107, v91, v73
	;;#ASMEND
	;; [unrolled: 3-line block ×32, first 2 shown]
	ds_load_b128 v[0:3], v37 offset:80
	ds_load_b128 v[90:93], v20 offset:208
	;; [unrolled: 1-line block ×10, first 2 shown]
	s_wait_dscnt 0x8
	;;#ASMSTART
	v_dot2_f32_f16 v71, v0, v90, v71
	;;#ASMEND
	;;#ASMSTART
	v_dot2_f32_f16 v71, v1, v91, v71
	;;#ASMEND
	;;#ASMSTART
	v_dot2_f32_f16 v71, v2, v92, v71
	;;#ASMEND
	;;#ASMSTART
	v_dot2_f32_f16 v71, v3, v93, v71
	;;#ASMEND
	s_wait_dscnt 0x7
	;;#ASMSTART
	v_dot2_f32_f16 v87, v0, v94, v87
	;;#ASMEND
	;;#ASMSTART
	v_dot2_f32_f16 v87, v1, v95, v87
	;;#ASMEND
	;;#ASMSTART
	v_dot2_f32_f16 v87, v2, v96, v87
	;;#ASMEND
	;;#ASMSTART
	v_dot2_f32_f16 v87, v3, v97, v87
	;;#ASMEND
	;; [unrolled: 13-line block ×8, first 2 shown]
	;;#ASMSTART
	v_dot2_f32_f16 v73, v106, v90, v73
	;;#ASMEND
	;;#ASMSTART
	v_dot2_f32_f16 v73, v107, v91, v73
	;;#ASMEND
	;; [unrolled: 3-line block ×32, first 2 shown]
	ds_load_b128 v[0:3], v37 offset:96
	ds_load_b128 v[90:93], v20 offset:224
	;; [unrolled: 1-line block ×10, first 2 shown]
	s_wait_dscnt 0x8
	;;#ASMSTART
	v_dot2_f32_f16 v71, v0, v90, v71
	;;#ASMEND
	;;#ASMSTART
	v_dot2_f32_f16 v71, v1, v91, v71
	;;#ASMEND
	;;#ASMSTART
	v_dot2_f32_f16 v71, v2, v92, v71
	;;#ASMEND
	;;#ASMSTART
	v_dot2_f32_f16 v71, v3, v93, v71
	;;#ASMEND
	s_wait_dscnt 0x7
	;;#ASMSTART
	v_dot2_f32_f16 v87, v0, v94, v87
	;;#ASMEND
	;;#ASMSTART
	v_dot2_f32_f16 v87, v1, v95, v87
	;;#ASMEND
	;;#ASMSTART
	v_dot2_f32_f16 v87, v2, v96, v87
	;;#ASMEND
	;;#ASMSTART
	v_dot2_f32_f16 v87, v3, v97, v87
	;;#ASMEND
	;; [unrolled: 13-line block ×8, first 2 shown]
	;;#ASMSTART
	v_dot2_f32_f16 v73, v106, v90, v73
	;;#ASMEND
	;;#ASMSTART
	v_dot2_f32_f16 v73, v107, v91, v73
	;;#ASMEND
	;; [unrolled: 3-line block ×32, first 2 shown]
	ds_load_b128 v[0:3], v37 offset:112
	ds_load_b128 v[90:93], v20 offset:240
	;; [unrolled: 1-line block ×10, first 2 shown]
	s_wait_dscnt 0x8
	;;#ASMSTART
	v_dot2_f32_f16 v71, v0, v90, v71
	;;#ASMEND
	;;#ASMSTART
	v_dot2_f32_f16 v71, v1, v91, v71
	;;#ASMEND
	;;#ASMSTART
	v_dot2_f32_f16 v71, v2, v92, v71
	;;#ASMEND
	;;#ASMSTART
	v_dot2_f32_f16 v71, v3, v93, v71
	;;#ASMEND
	s_wait_dscnt 0x7
	;;#ASMSTART
	v_dot2_f32_f16 v87, v0, v94, v87
	;;#ASMEND
	;;#ASMSTART
	v_dot2_f32_f16 v87, v1, v95, v87
	;;#ASMEND
	;;#ASMSTART
	v_dot2_f32_f16 v87, v2, v96, v87
	;;#ASMEND
	;;#ASMSTART
	v_dot2_f32_f16 v87, v3, v97, v87
	;;#ASMEND
	;; [unrolled: 13-line block ×8, first 2 shown]
	;;#ASMSTART
	v_dot2_f32_f16 v73, v106, v90, v73
	;;#ASMEND
	;;#ASMSTART
	v_dot2_f32_f16 v73, v107, v91, v73
	;;#ASMEND
	;; [unrolled: 3-line block ×25, first 2 shown]
	v_cmp_ngt_f32_e64 s24, 0x3f200000, |v71|
	;;#ASMSTART
	v_dot2_f32_f16 v79, v107, v119, v79
	;;#ASMEND
	;;#ASMSTART
	v_dot2_f32_f16 v79, v108, v120, v79
	;;#ASMEND
	;; [unrolled: 3-line block ×7, first 2 shown]
                                        ; implicit-def: $vgpr2
	s_and_saveexec_b32 s25, s24
	s_wait_alu 0xfffe
	s_xor_b32 s24, exec_lo, s25
	s_cbranch_execz .LBB75_11
; %bb.10:                               ;   in Loop: Header=BB75_9 Depth=1
	v_add_f32_e64 v0, |v71|, |v71|
	s_delay_alu instid0(VALU_DEP_1) | instskip(SKIP_1) | instid1(VALU_DEP_2)
	v_mul_f32_e32 v1, 0x3fb8aa3b, v0
	v_cmp_ngt_f32_e32 vcc_lo, 0xc2ce8ed0, v0
	v_rndne_f32_e32 v2, v1
	v_fma_f32 v3, 0x3fb8aa3b, v0, -v1
	s_delay_alu instid0(VALU_DEP_2) | instskip(NEXT) | instid1(VALU_DEP_2)
	v_sub_f32_e32 v1, v1, v2
	v_fmac_f32_e32 v3, 0x32a5705f, v0
	v_cvt_i32_f32_e32 v2, v2
	s_delay_alu instid0(VALU_DEP_2) | instskip(NEXT) | instid1(VALU_DEP_1)
	v_add_f32_e32 v1, v1, v3
	v_exp_f32_e32 v1, v1
	s_delay_alu instid0(TRANS32_DEP_1) | instskip(SKIP_1) | instid1(VALU_DEP_1)
	v_ldexp_f32 v1, v1, v2
	s_wait_alu 0xfffd
	v_cndmask_b32_e32 v1, 0, v1, vcc_lo
	v_cmp_nlt_f32_e32 vcc_lo, 0x42b17218, v0
	s_wait_alu 0xfffd
	s_delay_alu instid0(VALU_DEP_2) | instskip(NEXT) | instid1(VALU_DEP_1)
	v_cndmask_b32_e32 v0, 0x7f800000, v1, vcc_lo
	v_add_f32_e32 v0, 1.0, v0
	s_delay_alu instid0(VALU_DEP_1) | instskip(NEXT) | instid1(TRANS32_DEP_1)
	v_rcp_f32_e32 v0, v0
	v_fma_f32 v2, v0, -2.0, 1.0
.LBB75_11:                              ;   in Loop: Header=BB75_9 Depth=1
	s_wait_alu 0xfffe
	s_and_not1_saveexec_b32 s24, s24
	s_cbranch_execz .LBB75_13
; %bb.12:                               ;   in Loop: Header=BB75_9 Depth=1
	v_mul_f32_e32 v0, v71, v71
	s_delay_alu instid0(VALU_DEP_1) | instskip(NEXT) | instid1(VALU_DEP_1)
	v_fmaak_f32 v1, s5, v0, 0x3ca908c9
	v_fmaak_f32 v1, v0, v1, 0xbd5c1c4e
	s_delay_alu instid0(VALU_DEP_1) | instskip(NEXT) | instid1(VALU_DEP_1)
	v_fmaak_f32 v1, v0, v1, 0x3e088382
	v_fmaak_f32 v1, v0, v1, 0xbeaaaa99
	s_delay_alu instid0(VALU_DEP_1) | instskip(NEXT) | instid1(VALU_DEP_1)
	v_mul_f32_e64 v1, |v71|, v1
	v_fma_f32 v2, v0, v1, |v71|
.LBB75_13:                              ;   in Loop: Header=BB75_9 Depth=1
	s_wait_alu 0xfffe
	s_or_b32 exec_lo, exec_lo, s24
	v_add_nc_u32_e32 v98, s10, v35
	v_cmp_ngt_f32_e64 s24, 0x3f200000, |v73|
                                        ; implicit-def: $vgpr3
	s_delay_alu instid0(VALU_DEP_2) | instskip(NEXT) | instid1(VALU_DEP_1)
	v_add_nc_u32_e32 v0, v98, v38
	v_ashrrev_i32_e32 v1, 31, v0
	s_delay_alu instid0(VALU_DEP_1) | instskip(NEXT) | instid1(VALU_DEP_1)
	v_lshlrev_b64_e32 v[0:1], 1, v[0:1]
	v_add_co_u32 v0, vcc_lo, s34, v0
	s_wait_alu 0xfffd
	s_delay_alu instid0(VALU_DEP_2)
	v_add_co_ci_u32_e64 v1, null, s35, v1, vcc_lo
	global_load_u16 v92, v[0:1], off
	s_and_saveexec_b32 s25, s24
	s_wait_alu 0xfffe
	s_xor_b32 s24, exec_lo, s25
	s_cbranch_execz .LBB75_15
; %bb.14:                               ;   in Loop: Header=BB75_9 Depth=1
	v_add_f32_e64 v3, |v73|, |v73|
	s_delay_alu instid0(VALU_DEP_1) | instskip(SKIP_1) | instid1(VALU_DEP_2)
	v_mul_f32_e32 v74, 0x3fb8aa3b, v3
	v_cmp_ngt_f32_e32 vcc_lo, 0xc2ce8ed0, v3
	v_rndne_f32_e32 v75, v74
	v_fma_f32 v77, 0x3fb8aa3b, v3, -v74
	s_delay_alu instid0(VALU_DEP_2) | instskip(NEXT) | instid1(VALU_DEP_2)
	v_sub_f32_e32 v74, v74, v75
	v_fmac_f32_e32 v77, 0x32a5705f, v3
	v_cvt_i32_f32_e32 v75, v75
	s_delay_alu instid0(VALU_DEP_2) | instskip(NEXT) | instid1(VALU_DEP_1)
	v_add_f32_e32 v74, v74, v77
	v_exp_f32_e32 v74, v74
	s_delay_alu instid0(TRANS32_DEP_1) | instskip(SKIP_1) | instid1(VALU_DEP_1)
	v_ldexp_f32 v74, v74, v75
	s_wait_alu 0xfffd
	v_cndmask_b32_e32 v74, 0, v74, vcc_lo
	v_cmp_nlt_f32_e32 vcc_lo, 0x42b17218, v3
	s_wait_alu 0xfffd
	s_delay_alu instid0(VALU_DEP_2) | instskip(NEXT) | instid1(VALU_DEP_1)
	v_cndmask_b32_e32 v3, 0x7f800000, v74, vcc_lo
	v_add_f32_e32 v3, 1.0, v3
	s_delay_alu instid0(VALU_DEP_1) | instskip(NEXT) | instid1(TRANS32_DEP_1)
	v_rcp_f32_e32 v3, v3
	v_fma_f32 v3, v3, -2.0, 1.0
.LBB75_15:                              ;   in Loop: Header=BB75_9 Depth=1
	s_wait_alu 0xfffe
	s_and_not1_saveexec_b32 s24, s24
	s_cbranch_execz .LBB75_17
; %bb.16:                               ;   in Loop: Header=BB75_9 Depth=1
	v_mul_f32_e32 v3, v73, v73
	s_delay_alu instid0(VALU_DEP_1) | instskip(NEXT) | instid1(VALU_DEP_1)
	v_fmaak_f32 v74, s5, v3, 0x3ca908c9
	v_fmaak_f32 v74, v3, v74, 0xbd5c1c4e
	s_delay_alu instid0(VALU_DEP_1) | instskip(NEXT) | instid1(VALU_DEP_1)
	v_fmaak_f32 v74, v3, v74, 0x3e088382
	v_fmaak_f32 v74, v3, v74, 0xbeaaaa99
	s_delay_alu instid0(VALU_DEP_1) | instskip(NEXT) | instid1(VALU_DEP_1)
	v_mul_f32_e64 v74, |v73|, v74
	v_fma_f32 v3, v3, v74, |v73|
.LBB75_17:                              ;   in Loop: Header=BB75_9 Depth=1
	s_wait_alu 0xfffe
	s_or_b32 exec_lo, exec_lo, s24
	global_load_u16 v0, v[0:1], off offset:64
	v_bfi_b32 v1, 0x7fffffff, v2, v71
	v_bfi_b32 v2, 0x7fffffff, v3, v73
	v_xor_b32_e32 v77, 16, v22
	v_xor_b32_e32 v75, 8, v22
	;; [unrolled: 1-line block ×3, first 2 shown]
	s_wait_loadcnt 0x1
	v_fma_mix_f32 v95, s3, v1, v92 op_sel_hi:[0,0,1]
	v_xor_b32_e32 v73, 2, v22
	v_cmp_gt_i32_e32 vcc_lo, 32, v77
	v_cmp_ngt_f32_e64 s24, 0x3f200000, |v87|
	s_delay_alu instid0(VALU_DEP_4)
	v_add_f32_e32 v1, 0x40051340, v95
	s_wait_loadcnt 0x0
	v_fma_mix_f32 v96, s3, v2, v0 op_sel_hi:[0,0,1]
	s_wait_alu 0xfffd
	v_cndmask_b32_e32 v2, v22, v77, vcc_lo
	v_cmp_gt_i32_e32 vcc_lo, 32, v75
	s_delay_alu instid0(VALU_DEP_2) | instskip(SKIP_3) | instid1(VALU_DEP_3)
	v_dual_add_f32 v3, 0x40051340, v96 :: v_dual_lshlrev_b32 v2, 2, v2
	s_wait_alu 0xfffd
	v_cndmask_b32_e32 v71, v22, v75, vcc_lo
	v_cmp_gt_i32_e32 vcc_lo, 32, v74
	v_max3_num_f32 v1, v76, v1, v3
	s_delay_alu instid0(VALU_DEP_3)
	v_lshlrev_b32_e32 v97, 2, v71
	s_wait_alu 0xfffd
	v_cndmask_b32_e32 v71, v22, v74, vcc_lo
	v_cmp_gt_i32_e32 vcc_lo, 32, v73
	ds_bpermute_b32 v3, v2, v1
	s_wait_alu 0xfffd
	v_dual_cndmask_b32 v71, v22, v73 :: v_dual_lshlrev_b32 v94, 2, v71
	s_delay_alu instid0(VALU_DEP_1) | instskip(SKIP_1) | instid1(VALU_DEP_1)
	v_lshlrev_b32_e32 v91, 2, v71
	v_xor_b32_e32 v71, 1, v22
	v_cmp_gt_i32_e32 vcc_lo, 32, v71
	s_wait_alu 0xfffd
	v_cndmask_b32_e32 v90, v22, v71, vcc_lo
	s_wait_dscnt 0x0
	s_delay_alu instid0(VALU_DEP_1) | instskip(NEXT) | instid1(VALU_DEP_1)
	v_dual_max_num_f32 v3, v3, v3 :: v_dual_lshlrev_b32 v90, 2, v90
	v_max_num_f32_e32 v1, v1, v3
	ds_bpermute_b32 v3, v97, v1
	s_wait_dscnt 0x0
	v_max_num_f32_e32 v3, v3, v3
	s_delay_alu instid0(VALU_DEP_1) | instskip(SKIP_3) | instid1(VALU_DEP_1)
	v_max_num_f32_e32 v1, v1, v3
	ds_bpermute_b32 v3, v94, v1
	s_wait_dscnt 0x0
	v_max_num_f32_e32 v3, v3, v3
	v_max_num_f32_e32 v1, v1, v3
	ds_bpermute_b32 v3, v91, v1
	s_wait_dscnt 0x0
	v_max_num_f32_e32 v3, v3, v3
	s_delay_alu instid0(VALU_DEP_1)
	v_max_num_f32_e32 v3, v1, v3
                                        ; implicit-def: $vgpr1
	ds_bpermute_b32 v103, v90, v3
	s_and_saveexec_b32 s25, s24
	s_wait_alu 0xfffe
	s_xor_b32 s24, exec_lo, s25
	s_cbranch_execz .LBB75_19
; %bb.18:                               ;   in Loop: Header=BB75_9 Depth=1
	v_add_f32_e64 v1, |v87|, |v87|
	s_delay_alu instid0(VALU_DEP_1) | instskip(SKIP_1) | instid1(VALU_DEP_2)
	v_mul_f32_e32 v93, 0x3fb8aa3b, v1
	v_cmp_ngt_f32_e32 vcc_lo, 0xc2ce8ed0, v1
	v_rndne_f32_e32 v99, v93
	v_fma_f32 v100, 0x3fb8aa3b, v1, -v93
	s_delay_alu instid0(VALU_DEP_1) | instskip(SKIP_1) | instid1(VALU_DEP_2)
	v_dual_sub_f32 v93, v93, v99 :: v_dual_fmac_f32 v100, 0x32a5705f, v1
	v_cvt_i32_f32_e32 v99, v99
	v_add_f32_e32 v93, v93, v100
	s_delay_alu instid0(VALU_DEP_1) | instskip(NEXT) | instid1(TRANS32_DEP_1)
	v_exp_f32_e32 v93, v93
	v_ldexp_f32 v93, v93, v99
	s_wait_alu 0xfffd
	s_delay_alu instid0(VALU_DEP_1) | instskip(SKIP_2) | instid1(VALU_DEP_2)
	v_cndmask_b32_e32 v93, 0, v93, vcc_lo
	v_cmp_nlt_f32_e32 vcc_lo, 0x42b17218, v1
	s_wait_alu 0xfffd
	v_cndmask_b32_e32 v1, 0x7f800000, v93, vcc_lo
	s_delay_alu instid0(VALU_DEP_1) | instskip(NEXT) | instid1(VALU_DEP_1)
	v_add_f32_e32 v1, 1.0, v1
	v_rcp_f32_e32 v1, v1
	s_delay_alu instid0(TRANS32_DEP_1)
	v_fma_f32 v1, v1, -2.0, 1.0
.LBB75_19:                              ;   in Loop: Header=BB75_9 Depth=1
	s_wait_alu 0xfffe
	s_and_not1_saveexec_b32 s24, s24
	s_cbranch_execz .LBB75_21
; %bb.20:                               ;   in Loop: Header=BB75_9 Depth=1
	v_mul_f32_e32 v1, v87, v87
	s_delay_alu instid0(VALU_DEP_1) | instskip(NEXT) | instid1(VALU_DEP_1)
	v_fmaak_f32 v93, s5, v1, 0x3ca908c9
	v_fmaak_f32 v93, v1, v93, 0xbd5c1c4e
	s_delay_alu instid0(VALU_DEP_1) | instskip(NEXT) | instid1(VALU_DEP_1)
	v_fmaak_f32 v93, v1, v93, 0x3e088382
	v_fmaak_f32 v93, v1, v93, 0xbeaaaa99
	s_delay_alu instid0(VALU_DEP_1) | instskip(NEXT) | instid1(VALU_DEP_1)
	v_mul_f32_e64 v93, |v87|, v93
	v_fma_f32 v1, v1, v93, |v87|
.LBB75_21:                              ;   in Loop: Header=BB75_9 Depth=1
	s_wait_alu 0xfffe
	s_or_b32 exec_lo, exec_lo, s24
	v_cmp_ngt_f32_e64 s24, 0x3f200000, |v89|
                                        ; implicit-def: $vgpr99
	s_and_saveexec_b32 s25, s24
	s_wait_alu 0xfffe
	s_xor_b32 s24, exec_lo, s25
	s_cbranch_execz .LBB75_23
; %bb.22:                               ;   in Loop: Header=BB75_9 Depth=1
	v_add_f32_e64 v93, |v89|, |v89|
	s_delay_alu instid0(VALU_DEP_1) | instskip(SKIP_1) | instid1(VALU_DEP_2)
	v_mul_f32_e32 v99, 0x3fb8aa3b, v93
	v_cmp_ngt_f32_e32 vcc_lo, 0xc2ce8ed0, v93
	v_rndne_f32_e32 v100, v99
	v_fma_f32 v101, 0x3fb8aa3b, v93, -v99
	s_delay_alu instid0(VALU_DEP_2) | instskip(NEXT) | instid1(VALU_DEP_2)
	v_sub_f32_e32 v99, v99, v100
	v_fmac_f32_e32 v101, 0x32a5705f, v93
	v_cvt_i32_f32_e32 v100, v100
	s_delay_alu instid0(VALU_DEP_2) | instskip(NEXT) | instid1(VALU_DEP_1)
	v_add_f32_e32 v99, v99, v101
	v_exp_f32_e32 v99, v99
	s_delay_alu instid0(TRANS32_DEP_1) | instskip(SKIP_1) | instid1(VALU_DEP_1)
	v_ldexp_f32 v99, v99, v100
	s_wait_alu 0xfffd
	v_cndmask_b32_e32 v99, 0, v99, vcc_lo
	v_cmp_nlt_f32_e32 vcc_lo, 0x42b17218, v93
	s_wait_alu 0xfffd
	s_delay_alu instid0(VALU_DEP_2) | instskip(NEXT) | instid1(VALU_DEP_1)
	v_cndmask_b32_e32 v93, 0x7f800000, v99, vcc_lo
	v_add_f32_e32 v93, 1.0, v93
	s_delay_alu instid0(VALU_DEP_1) | instskip(NEXT) | instid1(TRANS32_DEP_1)
	v_rcp_f32_e32 v93, v93
	v_fma_f32 v99, v93, -2.0, 1.0
.LBB75_23:                              ;   in Loop: Header=BB75_9 Depth=1
	s_wait_alu 0xfffe
	s_and_not1_saveexec_b32 s24, s24
	s_cbranch_execz .LBB75_25
; %bb.24:                               ;   in Loop: Header=BB75_9 Depth=1
	v_mul_f32_e32 v93, v89, v89
	s_delay_alu instid0(VALU_DEP_1) | instskip(NEXT) | instid1(VALU_DEP_1)
	v_fmaak_f32 v99, s5, v93, 0x3ca908c9
	v_fmaak_f32 v99, v93, v99, 0xbd5c1c4e
	s_delay_alu instid0(VALU_DEP_1) | instskip(NEXT) | instid1(VALU_DEP_1)
	v_fmaak_f32 v99, v93, v99, 0x3e088382
	v_fmaak_f32 v99, v93, v99, 0xbeaaaa99
	s_delay_alu instid0(VALU_DEP_1) | instskip(NEXT) | instid1(VALU_DEP_1)
	v_mul_f32_e64 v99, |v89|, v99
	v_fma_f32 v99, v93, v99, |v89|
.LBB75_25:                              ;   in Loop: Header=BB75_9 Depth=1
	s_wait_alu 0xfffe
	s_or_b32 exec_lo, exec_lo, s24
	v_cvt_f32_f16_e32 v93, v92
	v_cvt_f32_f16_e32 v92, v0
	v_bfi_b32 v0, 0x7fffffff, v1, v87
	v_bfi_b32 v1, 0x7fffffff, v99, v89
	v_cmp_ngt_f32_e64 s24, 0x3f200000, |v85|
	s_delay_alu instid0(VALU_DEP_3) | instskip(NEXT) | instid1(VALU_DEP_3)
	v_fma_f32 v87, s3, v0, v93
	v_fma_f32 v89, s3, v1, v92
	s_delay_alu instid0(VALU_DEP_1) | instskip(NEXT) | instid1(VALU_DEP_1)
	v_dual_add_f32 v0, 0x40051340, v87 :: v_dual_add_f32 v1, 0x40051340, v89
	v_max3_num_f32 v0, v78, v0, v1
	ds_bpermute_b32 v1, v2, v0
	s_wait_dscnt 0x0
	v_max_num_f32_e32 v1, v1, v1
	s_delay_alu instid0(VALU_DEP_1) | instskip(SKIP_3) | instid1(VALU_DEP_1)
	v_max_num_f32_e32 v0, v0, v1
	ds_bpermute_b32 v1, v97, v0
	s_wait_dscnt 0x0
	v_max_num_f32_e32 v1, v1, v1
	v_max_num_f32_e32 v0, v0, v1
	ds_bpermute_b32 v1, v94, v0
	s_wait_dscnt 0x0
	v_max_num_f32_e32 v1, v1, v1
	s_delay_alu instid0(VALU_DEP_1) | instskip(SKIP_3) | instid1(VALU_DEP_1)
	v_max_num_f32_e32 v0, v0, v1
	ds_bpermute_b32 v1, v91, v0
	s_wait_dscnt 0x0
	v_max_num_f32_e32 v1, v1, v1
	v_max_num_f32_e32 v104, v0, v1
                                        ; implicit-def: $vgpr0
	ds_bpermute_b32 v105, v90, v104
	s_and_saveexec_b32 s25, s24
	s_wait_alu 0xfffe
	s_xor_b32 s24, exec_lo, s25
	s_cbranch_execz .LBB75_27
; %bb.26:                               ;   in Loop: Header=BB75_9 Depth=1
	v_add_f32_e64 v0, |v85|, |v85|
	s_delay_alu instid0(VALU_DEP_1) | instskip(SKIP_1) | instid1(VALU_DEP_2)
	v_mul_f32_e32 v1, 0x3fb8aa3b, v0
	v_cmp_ngt_f32_e32 vcc_lo, 0xc2ce8ed0, v0
	v_rndne_f32_e32 v99, v1
	v_fma_f32 v100, 0x3fb8aa3b, v0, -v1
	s_delay_alu instid0(VALU_DEP_1) | instskip(SKIP_1) | instid1(VALU_DEP_2)
	v_dual_sub_f32 v1, v1, v99 :: v_dual_fmac_f32 v100, 0x32a5705f, v0
	v_cvt_i32_f32_e32 v99, v99
	v_add_f32_e32 v1, v1, v100
	s_delay_alu instid0(VALU_DEP_1) | instskip(NEXT) | instid1(TRANS32_DEP_1)
	v_exp_f32_e32 v1, v1
	v_ldexp_f32 v1, v1, v99
	s_wait_alu 0xfffd
	s_delay_alu instid0(VALU_DEP_1) | instskip(SKIP_2) | instid1(VALU_DEP_2)
	v_cndmask_b32_e32 v1, 0, v1, vcc_lo
	v_cmp_nlt_f32_e32 vcc_lo, 0x42b17218, v0
	s_wait_alu 0xfffd
	v_cndmask_b32_e32 v0, 0x7f800000, v1, vcc_lo
	s_delay_alu instid0(VALU_DEP_1) | instskip(NEXT) | instid1(VALU_DEP_1)
	v_add_f32_e32 v0, 1.0, v0
	v_rcp_f32_e32 v0, v0
	s_delay_alu instid0(TRANS32_DEP_1)
	v_fma_f32 v0, v0, -2.0, 1.0
.LBB75_27:                              ;   in Loop: Header=BB75_9 Depth=1
	s_wait_alu 0xfffe
	s_and_not1_saveexec_b32 s24, s24
	s_cbranch_execz .LBB75_29
; %bb.28:                               ;   in Loop: Header=BB75_9 Depth=1
	v_mul_f32_e32 v0, v85, v85
	s_delay_alu instid0(VALU_DEP_1) | instskip(NEXT) | instid1(VALU_DEP_1)
	v_fmaak_f32 v1, s5, v0, 0x3ca908c9
	v_fmaak_f32 v1, v0, v1, 0xbd5c1c4e
	s_delay_alu instid0(VALU_DEP_1) | instskip(NEXT) | instid1(VALU_DEP_1)
	v_fmaak_f32 v1, v0, v1, 0x3e088382
	v_fmaak_f32 v1, v0, v1, 0xbeaaaa99
	s_delay_alu instid0(VALU_DEP_1) | instskip(NEXT) | instid1(VALU_DEP_1)
	v_mul_f32_e64 v1, |v85|, v1
	v_fma_f32 v0, v0, v1, |v85|
.LBB75_29:                              ;   in Loop: Header=BB75_9 Depth=1
	s_wait_alu 0xfffe
	s_or_b32 exec_lo, exec_lo, s24
	v_cmp_ngt_f32_e64 s24, 0x3f200000, |v88|
                                        ; implicit-def: $vgpr1
	s_and_saveexec_b32 s25, s24
	s_wait_alu 0xfffe
	s_xor_b32 s24, exec_lo, s25
	s_cbranch_execz .LBB75_31
; %bb.30:                               ;   in Loop: Header=BB75_9 Depth=1
	v_add_f32_e64 v1, |v88|, |v88|
	s_delay_alu instid0(VALU_DEP_1) | instskip(SKIP_1) | instid1(VALU_DEP_2)
	v_mul_f32_e32 v99, 0x3fb8aa3b, v1
	v_cmp_ngt_f32_e32 vcc_lo, 0xc2ce8ed0, v1
	v_rndne_f32_e32 v100, v99
	v_fma_f32 v101, 0x3fb8aa3b, v1, -v99
	s_delay_alu instid0(VALU_DEP_2) | instskip(NEXT) | instid1(VALU_DEP_2)
	v_sub_f32_e32 v99, v99, v100
	v_fmac_f32_e32 v101, 0x32a5705f, v1
	v_cvt_i32_f32_e32 v100, v100
	s_delay_alu instid0(VALU_DEP_2) | instskip(NEXT) | instid1(VALU_DEP_1)
	v_add_f32_e32 v99, v99, v101
	v_exp_f32_e32 v99, v99
	s_delay_alu instid0(TRANS32_DEP_1) | instskip(SKIP_1) | instid1(VALU_DEP_1)
	v_ldexp_f32 v99, v99, v100
	s_wait_alu 0xfffd
	v_cndmask_b32_e32 v99, 0, v99, vcc_lo
	v_cmp_nlt_f32_e32 vcc_lo, 0x42b17218, v1
	s_wait_alu 0xfffd
	s_delay_alu instid0(VALU_DEP_2) | instskip(NEXT) | instid1(VALU_DEP_1)
	v_cndmask_b32_e32 v1, 0x7f800000, v99, vcc_lo
	v_add_f32_e32 v1, 1.0, v1
	s_delay_alu instid0(VALU_DEP_1) | instskip(NEXT) | instid1(TRANS32_DEP_1)
	v_rcp_f32_e32 v1, v1
	v_fma_f32 v1, v1, -2.0, 1.0
.LBB75_31:                              ;   in Loop: Header=BB75_9 Depth=1
	s_wait_alu 0xfffe
	s_and_not1_saveexec_b32 s24, s24
	s_cbranch_execz .LBB75_33
; %bb.32:                               ;   in Loop: Header=BB75_9 Depth=1
	v_mul_f32_e32 v1, v88, v88
	s_delay_alu instid0(VALU_DEP_1) | instskip(NEXT) | instid1(VALU_DEP_1)
	v_fmaak_f32 v99, s5, v1, 0x3ca908c9
	v_fmaak_f32 v99, v1, v99, 0xbd5c1c4e
	s_delay_alu instid0(VALU_DEP_1) | instskip(NEXT) | instid1(VALU_DEP_1)
	v_fmaak_f32 v99, v1, v99, 0x3e088382
	v_fmaak_f32 v99, v1, v99, 0xbeaaaa99
	s_delay_alu instid0(VALU_DEP_1) | instskip(NEXT) | instid1(VALU_DEP_1)
	v_mul_f32_e64 v99, |v88|, v99
	v_fma_f32 v1, v1, v99, |v88|
.LBB75_33:                              ;   in Loop: Header=BB75_9 Depth=1
	s_wait_alu 0xfffe
	s_or_b32 exec_lo, exec_lo, s24
	v_bfi_b32 v0, 0x7fffffff, v0, v85
	s_delay_alu instid0(VALU_DEP_2) | instskip(SKIP_1) | instid1(VALU_DEP_3)
	v_bfi_b32 v1, 0x7fffffff, v1, v88
	v_cmp_ngt_f32_e64 s24, 0x3f200000, |v84|
	v_fma_f32 v85, s3, v0, v93
	s_delay_alu instid0(VALU_DEP_3) | instskip(NEXT) | instid1(VALU_DEP_1)
	v_fma_f32 v88, s3, v1, v92
	v_dual_add_f32 v0, 0x40051340, v85 :: v_dual_add_f32 v1, 0x40051340, v88
	s_delay_alu instid0(VALU_DEP_1) | instskip(SKIP_3) | instid1(VALU_DEP_1)
	v_max3_num_f32 v0, v70, v0, v1
	ds_bpermute_b32 v1, v2, v0
	s_wait_dscnt 0x0
	v_max_num_f32_e32 v1, v1, v1
	v_max_num_f32_e32 v0, v0, v1
	ds_bpermute_b32 v1, v97, v0
	s_wait_dscnt 0x0
	v_max_num_f32_e32 v1, v1, v1
	s_delay_alu instid0(VALU_DEP_1) | instskip(SKIP_3) | instid1(VALU_DEP_1)
	v_max_num_f32_e32 v0, v0, v1
	ds_bpermute_b32 v1, v94, v0
	s_wait_dscnt 0x0
	v_max_num_f32_e32 v1, v1, v1
	v_max_num_f32_e32 v0, v0, v1
	ds_bpermute_b32 v1, v91, v0
	s_wait_dscnt 0x0
	v_max_num_f32_e32 v1, v1, v1
	s_delay_alu instid0(VALU_DEP_1)
	v_max_num_f32_e32 v106, v0, v1
                                        ; implicit-def: $vgpr0
	ds_bpermute_b32 v107, v90, v106
	s_and_saveexec_b32 s25, s24
	s_wait_alu 0xfffe
	s_xor_b32 s24, exec_lo, s25
	s_cbranch_execz .LBB75_35
; %bb.34:                               ;   in Loop: Header=BB75_9 Depth=1
	v_add_f32_e64 v0, |v84|, |v84|
	s_delay_alu instid0(VALU_DEP_1) | instskip(SKIP_1) | instid1(VALU_DEP_2)
	v_mul_f32_e32 v1, 0x3fb8aa3b, v0
	v_cmp_ngt_f32_e32 vcc_lo, 0xc2ce8ed0, v0
	v_rndne_f32_e32 v99, v1
	v_fma_f32 v100, 0x3fb8aa3b, v0, -v1
	s_delay_alu instid0(VALU_DEP_1) | instskip(SKIP_1) | instid1(VALU_DEP_2)
	v_dual_sub_f32 v1, v1, v99 :: v_dual_fmac_f32 v100, 0x32a5705f, v0
	v_cvt_i32_f32_e32 v99, v99
	v_add_f32_e32 v1, v1, v100
	s_delay_alu instid0(VALU_DEP_1) | instskip(NEXT) | instid1(TRANS32_DEP_1)
	v_exp_f32_e32 v1, v1
	v_ldexp_f32 v1, v1, v99
	s_wait_alu 0xfffd
	s_delay_alu instid0(VALU_DEP_1) | instskip(SKIP_2) | instid1(VALU_DEP_2)
	v_cndmask_b32_e32 v1, 0, v1, vcc_lo
	v_cmp_nlt_f32_e32 vcc_lo, 0x42b17218, v0
	s_wait_alu 0xfffd
	v_cndmask_b32_e32 v0, 0x7f800000, v1, vcc_lo
	s_delay_alu instid0(VALU_DEP_1) | instskip(NEXT) | instid1(VALU_DEP_1)
	v_add_f32_e32 v0, 1.0, v0
	v_rcp_f32_e32 v0, v0
	s_delay_alu instid0(TRANS32_DEP_1)
	v_fma_f32 v0, v0, -2.0, 1.0
.LBB75_35:                              ;   in Loop: Header=BB75_9 Depth=1
	s_wait_alu 0xfffe
	s_and_not1_saveexec_b32 s24, s24
	s_cbranch_execz .LBB75_37
; %bb.36:                               ;   in Loop: Header=BB75_9 Depth=1
	v_mul_f32_e32 v0, v84, v84
	s_delay_alu instid0(VALU_DEP_1) | instskip(NEXT) | instid1(VALU_DEP_1)
	v_fmaak_f32 v1, s5, v0, 0x3ca908c9
	v_fmaak_f32 v1, v0, v1, 0xbd5c1c4e
	s_delay_alu instid0(VALU_DEP_1) | instskip(NEXT) | instid1(VALU_DEP_1)
	v_fmaak_f32 v1, v0, v1, 0x3e088382
	v_fmaak_f32 v1, v0, v1, 0xbeaaaa99
	s_delay_alu instid0(VALU_DEP_1) | instskip(NEXT) | instid1(VALU_DEP_1)
	v_mul_f32_e64 v1, |v84|, v1
	v_fma_f32 v0, v0, v1, |v84|
.LBB75_37:                              ;   in Loop: Header=BB75_9 Depth=1
	s_wait_alu 0xfffe
	s_or_b32 exec_lo, exec_lo, s24
	v_cmp_ngt_f32_e64 s24, 0x3f200000, |v86|
                                        ; implicit-def: $vgpr1
	s_and_saveexec_b32 s25, s24
	s_wait_alu 0xfffe
	s_xor_b32 s24, exec_lo, s25
	s_cbranch_execz .LBB75_39
; %bb.38:                               ;   in Loop: Header=BB75_9 Depth=1
	v_add_f32_e64 v1, |v86|, |v86|
	s_delay_alu instid0(VALU_DEP_1) | instskip(SKIP_1) | instid1(VALU_DEP_2)
	v_mul_f32_e32 v99, 0x3fb8aa3b, v1
	v_cmp_ngt_f32_e32 vcc_lo, 0xc2ce8ed0, v1
	v_rndne_f32_e32 v100, v99
	v_fma_f32 v101, 0x3fb8aa3b, v1, -v99
	s_delay_alu instid0(VALU_DEP_2) | instskip(NEXT) | instid1(VALU_DEP_2)
	v_sub_f32_e32 v99, v99, v100
	v_fmac_f32_e32 v101, 0x32a5705f, v1
	v_cvt_i32_f32_e32 v100, v100
	s_delay_alu instid0(VALU_DEP_2) | instskip(NEXT) | instid1(VALU_DEP_1)
	v_add_f32_e32 v99, v99, v101
	v_exp_f32_e32 v99, v99
	s_delay_alu instid0(TRANS32_DEP_1) | instskip(SKIP_1) | instid1(VALU_DEP_1)
	v_ldexp_f32 v99, v99, v100
	s_wait_alu 0xfffd
	v_cndmask_b32_e32 v99, 0, v99, vcc_lo
	v_cmp_nlt_f32_e32 vcc_lo, 0x42b17218, v1
	s_wait_alu 0xfffd
	s_delay_alu instid0(VALU_DEP_2) | instskip(NEXT) | instid1(VALU_DEP_1)
	v_cndmask_b32_e32 v1, 0x7f800000, v99, vcc_lo
	v_add_f32_e32 v1, 1.0, v1
	s_delay_alu instid0(VALU_DEP_1) | instskip(NEXT) | instid1(TRANS32_DEP_1)
	v_rcp_f32_e32 v1, v1
	v_fma_f32 v1, v1, -2.0, 1.0
.LBB75_39:                              ;   in Loop: Header=BB75_9 Depth=1
	s_wait_alu 0xfffe
	s_and_not1_saveexec_b32 s24, s24
	s_cbranch_execz .LBB75_41
; %bb.40:                               ;   in Loop: Header=BB75_9 Depth=1
	v_mul_f32_e32 v1, v86, v86
	s_delay_alu instid0(VALU_DEP_1) | instskip(NEXT) | instid1(VALU_DEP_1)
	v_fmaak_f32 v99, s5, v1, 0x3ca908c9
	v_fmaak_f32 v99, v1, v99, 0xbd5c1c4e
	s_delay_alu instid0(VALU_DEP_1) | instskip(NEXT) | instid1(VALU_DEP_1)
	v_fmaak_f32 v99, v1, v99, 0x3e088382
	v_fmaak_f32 v99, v1, v99, 0xbeaaaa99
	s_delay_alu instid0(VALU_DEP_1) | instskip(NEXT) | instid1(VALU_DEP_1)
	v_mul_f32_e64 v99, |v86|, v99
	v_fma_f32 v1, v1, v99, |v86|
.LBB75_41:                              ;   in Loop: Header=BB75_9 Depth=1
	s_wait_alu 0xfffe
	s_or_b32 exec_lo, exec_lo, s24
	v_bfi_b32 v0, 0x7fffffff, v0, v84
	s_delay_alu instid0(VALU_DEP_2) | instskip(SKIP_1) | instid1(VALU_DEP_2)
	v_bfi_b32 v1, 0x7fffffff, v1, v86
	v_cmp_ngt_f32_e64 s24, 0x3f200000, |v81|
                                        ; implicit-def: $vgpr84
	v_dual_fmac_f32 v93, s3, v0 :: v_dual_fmac_f32 v92, s3, v1
	s_delay_alu instid0(VALU_DEP_1) | instskip(NEXT) | instid1(VALU_DEP_1)
	v_dual_add_f32 v0, 0x40051340, v93 :: v_dual_add_f32 v1, 0x40051340, v92
	v_max3_num_f32 v0, v69, v0, v1
	ds_bpermute_b32 v1, v2, v0
	s_wait_dscnt 0x0
	v_max_num_f32_e32 v1, v1, v1
	s_delay_alu instid0(VALU_DEP_1) | instskip(SKIP_3) | instid1(VALU_DEP_1)
	v_max_num_f32_e32 v0, v0, v1
	ds_bpermute_b32 v1, v97, v0
	s_wait_dscnt 0x0
	v_max_num_f32_e32 v1, v1, v1
	v_max_num_f32_e32 v0, v0, v1
	ds_bpermute_b32 v1, v94, v0
	s_wait_dscnt 0x0
	v_max_num_f32_e32 v1, v1, v1
	s_delay_alu instid0(VALU_DEP_1) | instskip(SKIP_3) | instid1(VALU_DEP_1)
	v_max_num_f32_e32 v0, v0, v1
	ds_bpermute_b32 v1, v91, v0
	s_wait_dscnt 0x0
	v_max_num_f32_e32 v1, v1, v1
	v_max_num_f32_e32 v108, v0, v1
	ds_bpermute_b32 v109, v90, v108
	s_and_saveexec_b32 s25, s24
	s_wait_alu 0xfffe
	s_xor_b32 s24, exec_lo, s25
	s_cbranch_execz .LBB75_43
; %bb.42:                               ;   in Loop: Header=BB75_9 Depth=1
	v_add_f32_e64 v0, |v81|, |v81|
	s_delay_alu instid0(VALU_DEP_1) | instskip(SKIP_1) | instid1(VALU_DEP_2)
	v_mul_f32_e32 v1, 0x3fb8aa3b, v0
	v_cmp_ngt_f32_e32 vcc_lo, 0xc2ce8ed0, v0
	v_rndne_f32_e32 v84, v1
	v_fma_f32 v86, 0x3fb8aa3b, v0, -v1
	s_delay_alu instid0(VALU_DEP_2) | instskip(NEXT) | instid1(VALU_DEP_2)
	v_sub_f32_e32 v1, v1, v84
	v_fmac_f32_e32 v86, 0x32a5705f, v0
	v_cvt_i32_f32_e32 v84, v84
	s_delay_alu instid0(VALU_DEP_2) | instskip(NEXT) | instid1(VALU_DEP_1)
	v_add_f32_e32 v1, v1, v86
	v_exp_f32_e32 v1, v1
	s_delay_alu instid0(TRANS32_DEP_1) | instskip(SKIP_1) | instid1(VALU_DEP_1)
	v_ldexp_f32 v1, v1, v84
	s_wait_alu 0xfffd
	v_cndmask_b32_e32 v1, 0, v1, vcc_lo
	v_cmp_nlt_f32_e32 vcc_lo, 0x42b17218, v0
	s_wait_alu 0xfffd
	s_delay_alu instid0(VALU_DEP_2) | instskip(NEXT) | instid1(VALU_DEP_1)
	v_cndmask_b32_e32 v0, 0x7f800000, v1, vcc_lo
	v_add_f32_e32 v0, 1.0, v0
	s_delay_alu instid0(VALU_DEP_1) | instskip(NEXT) | instid1(TRANS32_DEP_1)
	v_rcp_f32_e32 v0, v0
	v_fma_f32 v84, v0, -2.0, 1.0
.LBB75_43:                              ;   in Loop: Header=BB75_9 Depth=1
	s_wait_alu 0xfffe
	s_and_not1_saveexec_b32 s24, s24
	s_cbranch_execz .LBB75_45
; %bb.44:                               ;   in Loop: Header=BB75_9 Depth=1
	v_mul_f32_e32 v0, v81, v81
	s_delay_alu instid0(VALU_DEP_1) | instskip(NEXT) | instid1(VALU_DEP_1)
	v_fmaak_f32 v1, s5, v0, 0x3ca908c9
	v_fmaak_f32 v1, v0, v1, 0xbd5c1c4e
	s_delay_alu instid0(VALU_DEP_1) | instskip(NEXT) | instid1(VALU_DEP_1)
	v_fmaak_f32 v1, v0, v1, 0x3e088382
	v_fmaak_f32 v1, v0, v1, 0xbeaaaa99
	s_delay_alu instid0(VALU_DEP_1) | instskip(NEXT) | instid1(VALU_DEP_1)
	v_mul_f32_e64 v1, |v81|, v1
	v_fma_f32 v84, v0, v1, |v81|
.LBB75_45:                              ;   in Loop: Header=BB75_9 Depth=1
	s_wait_alu 0xfffe
	s_or_b32 exec_lo, exec_lo, s24
	v_add_nc_u32_e32 v0, v98, v39
	v_cmp_ngt_f32_e64 s24, 0x3f200000, |v83|
                                        ; implicit-def: $vgpr98
	s_delay_alu instid0(VALU_DEP_2) | instskip(NEXT) | instid1(VALU_DEP_1)
	v_ashrrev_i32_e32 v1, 31, v0
	v_lshlrev_b64_e32 v[0:1], 1, v[0:1]
	s_delay_alu instid0(VALU_DEP_1) | instskip(SKIP_1) | instid1(VALU_DEP_2)
	v_add_co_u32 v0, vcc_lo, s34, v0
	s_wait_alu 0xfffd
	v_add_co_ci_u32_e64 v1, null, s35, v1, vcc_lo
	global_load_u16 v86, v[0:1], off
	s_and_saveexec_b32 s25, s24
	s_wait_alu 0xfffe
	s_xor_b32 s24, exec_lo, s25
	s_cbranch_execz .LBB75_47
; %bb.46:                               ;   in Loop: Header=BB75_9 Depth=1
	v_add_f32_e64 v98, |v83|, |v83|
	s_delay_alu instid0(VALU_DEP_1) | instskip(SKIP_1) | instid1(VALU_DEP_2)
	v_mul_f32_e32 v99, 0x3fb8aa3b, v98
	v_cmp_ngt_f32_e32 vcc_lo, 0xc2ce8ed0, v98
	v_rndne_f32_e32 v100, v99
	v_fma_f32 v101, 0x3fb8aa3b, v98, -v99
	s_delay_alu instid0(VALU_DEP_2) | instskip(NEXT) | instid1(VALU_DEP_2)
	v_sub_f32_e32 v99, v99, v100
	v_fmac_f32_e32 v101, 0x32a5705f, v98
	v_cvt_i32_f32_e32 v100, v100
	s_delay_alu instid0(VALU_DEP_2) | instskip(NEXT) | instid1(VALU_DEP_1)
	v_add_f32_e32 v99, v99, v101
	v_exp_f32_e32 v99, v99
	s_delay_alu instid0(TRANS32_DEP_1) | instskip(SKIP_1) | instid1(VALU_DEP_1)
	v_ldexp_f32 v99, v99, v100
	s_wait_alu 0xfffd
	v_cndmask_b32_e32 v99, 0, v99, vcc_lo
	v_cmp_nlt_f32_e32 vcc_lo, 0x42b17218, v98
	s_wait_alu 0xfffd
	s_delay_alu instid0(VALU_DEP_2) | instskip(NEXT) | instid1(VALU_DEP_1)
	v_cndmask_b32_e32 v98, 0x7f800000, v99, vcc_lo
	v_add_f32_e32 v98, 1.0, v98
	s_delay_alu instid0(VALU_DEP_1) | instskip(NEXT) | instid1(TRANS32_DEP_1)
	v_rcp_f32_e32 v98, v98
	v_fma_f32 v98, v98, -2.0, 1.0
.LBB75_47:                              ;   in Loop: Header=BB75_9 Depth=1
	s_wait_alu 0xfffe
	s_and_not1_saveexec_b32 s24, s24
	s_cbranch_execz .LBB75_49
; %bb.48:                               ;   in Loop: Header=BB75_9 Depth=1
	v_mul_f32_e32 v98, v83, v83
	s_delay_alu instid0(VALU_DEP_1) | instskip(NEXT) | instid1(VALU_DEP_1)
	v_fmaak_f32 v99, s5, v98, 0x3ca908c9
	v_fmaak_f32 v99, v98, v99, 0xbd5c1c4e
	s_delay_alu instid0(VALU_DEP_1) | instskip(NEXT) | instid1(VALU_DEP_1)
	v_fmaak_f32 v99, v98, v99, 0x3e088382
	v_fmaak_f32 v99, v98, v99, 0xbeaaaa99
	s_delay_alu instid0(VALU_DEP_1) | instskip(NEXT) | instid1(VALU_DEP_1)
	v_mul_f32_e64 v99, |v83|, v99
	v_fma_f32 v98, v98, v99, |v83|
.LBB75_49:                              ;   in Loop: Header=BB75_9 Depth=1
	s_wait_alu 0xfffe
	s_or_b32 exec_lo, exec_lo, s24
	global_load_u16 v99, v[0:1], off offset:64
	v_bfi_b32 v0, 0x7fffffff, v84, v81
	v_bfi_b32 v1, 0x7fffffff, v98, v83
	v_cmp_ngt_f32_e64 s24, 0x3f200000, |v80|
                                        ; implicit-def: $vgpr81
	s_wait_loadcnt 0x1
	s_delay_alu instid0(VALU_DEP_3) | instskip(SKIP_2) | instid1(VALU_DEP_1)
	v_fma_mix_f32 v84, s3, v0, v86 op_sel_hi:[0,0,1]
	s_wait_loadcnt 0x0
	v_fma_mix_f32 v83, s3, v1, v99 op_sel_hi:[0,0,1]
	v_dual_add_f32 v0, 0x40051340, v84 :: v_dual_add_f32 v1, 0x40051340, v83
	s_delay_alu instid0(VALU_DEP_1) | instskip(SKIP_3) | instid1(VALU_DEP_1)
	v_max3_num_f32 v0, v67, v0, v1
	ds_bpermute_b32 v1, v2, v0
	s_wait_dscnt 0x0
	v_max_num_f32_e32 v1, v1, v1
	v_max_num_f32_e32 v0, v0, v1
	ds_bpermute_b32 v1, v97, v0
	s_wait_dscnt 0x0
	v_max_num_f32_e32 v1, v1, v1
	s_delay_alu instid0(VALU_DEP_1) | instskip(SKIP_3) | instid1(VALU_DEP_1)
	v_max_num_f32_e32 v0, v0, v1
	ds_bpermute_b32 v1, v94, v0
	s_wait_dscnt 0x0
	v_max_num_f32_e32 v1, v1, v1
	v_max_num_f32_e32 v0, v0, v1
	ds_bpermute_b32 v1, v91, v0
	s_wait_dscnt 0x0
	v_max_num_f32_e32 v1, v1, v1
	s_delay_alu instid0(VALU_DEP_1)
	v_max_num_f32_e32 v0, v0, v1
	ds_bpermute_b32 v1, v90, v0
	s_and_saveexec_b32 s25, s24
	s_wait_alu 0xfffe
	s_xor_b32 s24, exec_lo, s25
	s_cbranch_execz .LBB75_51
; %bb.50:                               ;   in Loop: Header=BB75_9 Depth=1
	v_add_f32_e64 v81, |v80|, |v80|
	s_delay_alu instid0(VALU_DEP_1) | instskip(SKIP_1) | instid1(VALU_DEP_2)
	v_mul_f32_e32 v98, 0x3fb8aa3b, v81
	v_cmp_ngt_f32_e32 vcc_lo, 0xc2ce8ed0, v81
	v_rndne_f32_e32 v100, v98
	v_fma_f32 v101, 0x3fb8aa3b, v81, -v98
	s_delay_alu instid0(VALU_DEP_1) | instskip(SKIP_1) | instid1(VALU_DEP_2)
	v_dual_sub_f32 v98, v98, v100 :: v_dual_fmac_f32 v101, 0x32a5705f, v81
	v_cvt_i32_f32_e32 v100, v100
	v_add_f32_e32 v98, v98, v101
	s_delay_alu instid0(VALU_DEP_1) | instskip(NEXT) | instid1(TRANS32_DEP_1)
	v_exp_f32_e32 v98, v98
	v_ldexp_f32 v98, v98, v100
	s_wait_alu 0xfffd
	s_delay_alu instid0(VALU_DEP_1) | instskip(SKIP_2) | instid1(VALU_DEP_2)
	v_cndmask_b32_e32 v98, 0, v98, vcc_lo
	v_cmp_nlt_f32_e32 vcc_lo, 0x42b17218, v81
	s_wait_alu 0xfffd
	v_cndmask_b32_e32 v81, 0x7f800000, v98, vcc_lo
	s_delay_alu instid0(VALU_DEP_1) | instskip(NEXT) | instid1(VALU_DEP_1)
	v_add_f32_e32 v81, 1.0, v81
	v_rcp_f32_e32 v81, v81
	s_delay_alu instid0(TRANS32_DEP_1)
	v_fma_f32 v81, v81, -2.0, 1.0
.LBB75_51:                              ;   in Loop: Header=BB75_9 Depth=1
	s_wait_alu 0xfffe
	s_and_not1_saveexec_b32 s24, s24
	s_cbranch_execz .LBB75_53
; %bb.52:                               ;   in Loop: Header=BB75_9 Depth=1
	v_mul_f32_e32 v81, v80, v80
	s_delay_alu instid0(VALU_DEP_1) | instskip(NEXT) | instid1(VALU_DEP_1)
	v_fmaak_f32 v98, s5, v81, 0x3ca908c9
	v_fmaak_f32 v98, v81, v98, 0xbd5c1c4e
	s_delay_alu instid0(VALU_DEP_1) | instskip(NEXT) | instid1(VALU_DEP_1)
	v_fmaak_f32 v98, v81, v98, 0x3e088382
	v_fmaak_f32 v98, v81, v98, 0xbeaaaa99
	s_delay_alu instid0(VALU_DEP_1) | instskip(NEXT) | instid1(VALU_DEP_1)
	v_mul_f32_e64 v98, |v80|, v98
	v_fma_f32 v81, v81, v98, |v80|
.LBB75_53:                              ;   in Loop: Header=BB75_9 Depth=1
	s_wait_alu 0xfffe
	s_or_b32 exec_lo, exec_lo, s24
	v_cmp_ngt_f32_e64 s24, 0x3f200000, |v82|
                                        ; implicit-def: $vgpr100
	s_and_saveexec_b32 s25, s24
	s_wait_alu 0xfffe
	s_xor_b32 s24, exec_lo, s25
	s_cbranch_execz .LBB75_55
; %bb.54:                               ;   in Loop: Header=BB75_9 Depth=1
	v_add_f32_e64 v98, |v82|, |v82|
	s_delay_alu instid0(VALU_DEP_1) | instskip(SKIP_1) | instid1(VALU_DEP_2)
	v_mul_f32_e32 v100, 0x3fb8aa3b, v98
	v_cmp_ngt_f32_e32 vcc_lo, 0xc2ce8ed0, v98
	v_rndne_f32_e32 v101, v100
	v_fma_f32 v102, 0x3fb8aa3b, v98, -v100
	s_delay_alu instid0(VALU_DEP_2) | instskip(NEXT) | instid1(VALU_DEP_2)
	v_sub_f32_e32 v100, v100, v101
	v_fmac_f32_e32 v102, 0x32a5705f, v98
	v_cvt_i32_f32_e32 v101, v101
	s_delay_alu instid0(VALU_DEP_2) | instskip(NEXT) | instid1(VALU_DEP_1)
	v_add_f32_e32 v100, v100, v102
	v_exp_f32_e32 v100, v100
	s_delay_alu instid0(TRANS32_DEP_1) | instskip(SKIP_1) | instid1(VALU_DEP_1)
	v_ldexp_f32 v100, v100, v101
	s_wait_alu 0xfffd
	v_cndmask_b32_e32 v100, 0, v100, vcc_lo
	v_cmp_nlt_f32_e32 vcc_lo, 0x42b17218, v98
	s_wait_alu 0xfffd
	s_delay_alu instid0(VALU_DEP_2) | instskip(NEXT) | instid1(VALU_DEP_1)
	v_cndmask_b32_e32 v98, 0x7f800000, v100, vcc_lo
	v_add_f32_e32 v98, 1.0, v98
	s_delay_alu instid0(VALU_DEP_1) | instskip(NEXT) | instid1(TRANS32_DEP_1)
	v_rcp_f32_e32 v98, v98
	v_fma_f32 v100, v98, -2.0, 1.0
.LBB75_55:                              ;   in Loop: Header=BB75_9 Depth=1
	s_wait_alu 0xfffe
	s_and_not1_saveexec_b32 s24, s24
	s_cbranch_execz .LBB75_57
; %bb.56:                               ;   in Loop: Header=BB75_9 Depth=1
	v_mul_f32_e32 v98, v82, v82
	s_delay_alu instid0(VALU_DEP_1) | instskip(NEXT) | instid1(VALU_DEP_1)
	v_fmaak_f32 v100, s5, v98, 0x3ca908c9
	v_fmaak_f32 v100, v98, v100, 0xbd5c1c4e
	s_delay_alu instid0(VALU_DEP_1) | instskip(NEXT) | instid1(VALU_DEP_1)
	v_fmaak_f32 v100, v98, v100, 0x3e088382
	v_fmaak_f32 v100, v98, v100, 0xbeaaaa99
	s_delay_alu instid0(VALU_DEP_1) | instskip(NEXT) | instid1(VALU_DEP_1)
	v_mul_f32_e64 v100, |v82|, v100
	v_fma_f32 v100, v98, v100, |v82|
.LBB75_57:                              ;   in Loop: Header=BB75_9 Depth=1
	s_wait_alu 0xfffe
	s_or_b32 exec_lo, exec_lo, s24
	v_cvt_f32_f16_e32 v98, v86
	v_cvt_f32_f16_e32 v86, v99
	v_bfi_b32 v80, 0x7fffffff, v81, v80
	v_bfi_b32 v81, 0x7fffffff, v100, v82
	v_cmp_ngt_f32_e64 s24, 0x3f200000, |v6|
                                        ; implicit-def: $vgpr82
	s_delay_alu instid0(VALU_DEP_3) | instskip(NEXT) | instid1(VALU_DEP_3)
	v_fma_f32 v100, s3, v80, v98
	v_fma_f32 v99, s3, v81, v86
	s_delay_alu instid0(VALU_DEP_1) | instskip(NEXT) | instid1(VALU_DEP_1)
	v_dual_add_f32 v80, 0x40051340, v100 :: v_dual_add_f32 v81, 0x40051340, v99
	v_max3_num_f32 v80, v64, v80, v81
	ds_bpermute_b32 v81, v2, v80
	s_wait_dscnt 0x0
	v_max_num_f32_e32 v81, v81, v81
	s_delay_alu instid0(VALU_DEP_1) | instskip(SKIP_3) | instid1(VALU_DEP_1)
	v_max_num_f32_e32 v80, v80, v81
	ds_bpermute_b32 v81, v97, v80
	s_wait_dscnt 0x0
	v_max_num_f32_e32 v81, v81, v81
	v_max_num_f32_e32 v80, v80, v81
	ds_bpermute_b32 v81, v94, v80
	s_wait_dscnt 0x0
	v_max_num_f32_e32 v81, v81, v81
	s_delay_alu instid0(VALU_DEP_1) | instskip(SKIP_3) | instid1(VALU_DEP_1)
	v_max_num_f32_e32 v80, v80, v81
	ds_bpermute_b32 v81, v91, v80
	s_wait_dscnt 0x0
	v_max_num_f32_e32 v81, v81, v81
	v_max_num_f32_e32 v80, v80, v81
	ds_bpermute_b32 v81, v90, v80
	s_and_saveexec_b32 s25, s24
	s_wait_alu 0xfffe
	s_xor_b32 s24, exec_lo, s25
	s_cbranch_execz .LBB75_59
; %bb.58:                               ;   in Loop: Header=BB75_9 Depth=1
	v_add_f32_e64 v82, |v6|, |v6|
	s_delay_alu instid0(VALU_DEP_1) | instskip(SKIP_1) | instid1(VALU_DEP_2)
	v_mul_f32_e32 v101, 0x3fb8aa3b, v82
	v_cmp_ngt_f32_e32 vcc_lo, 0xc2ce8ed0, v82
	v_rndne_f32_e32 v102, v101
	v_fma_f32 v110, 0x3fb8aa3b, v82, -v101
	s_delay_alu instid0(VALU_DEP_2) | instskip(NEXT) | instid1(VALU_DEP_2)
	v_sub_f32_e32 v101, v101, v102
	v_fmac_f32_e32 v110, 0x32a5705f, v82
	v_cvt_i32_f32_e32 v102, v102
	s_delay_alu instid0(VALU_DEP_2) | instskip(NEXT) | instid1(VALU_DEP_1)
	v_add_f32_e32 v101, v101, v110
	v_exp_f32_e32 v101, v101
	s_delay_alu instid0(TRANS32_DEP_1) | instskip(SKIP_1) | instid1(VALU_DEP_1)
	v_ldexp_f32 v101, v101, v102
	s_wait_alu 0xfffd
	v_cndmask_b32_e32 v101, 0, v101, vcc_lo
	v_cmp_nlt_f32_e32 vcc_lo, 0x42b17218, v82
	s_wait_alu 0xfffd
	s_delay_alu instid0(VALU_DEP_2) | instskip(NEXT) | instid1(VALU_DEP_1)
	v_cndmask_b32_e32 v82, 0x7f800000, v101, vcc_lo
	v_add_f32_e32 v82, 1.0, v82
	s_delay_alu instid0(VALU_DEP_1) | instskip(NEXT) | instid1(TRANS32_DEP_1)
	v_rcp_f32_e32 v82, v82
	v_fma_f32 v82, v82, -2.0, 1.0
.LBB75_59:                              ;   in Loop: Header=BB75_9 Depth=1
	s_wait_alu 0xfffe
	s_and_not1_saveexec_b32 s24, s24
	s_cbranch_execz .LBB75_61
; %bb.60:                               ;   in Loop: Header=BB75_9 Depth=1
	v_mul_f32_e32 v82, v6, v6
	s_delay_alu instid0(VALU_DEP_1) | instskip(NEXT) | instid1(VALU_DEP_1)
	v_fmaak_f32 v101, s5, v82, 0x3ca908c9
	v_fmaak_f32 v101, v82, v101, 0xbd5c1c4e
	s_delay_alu instid0(VALU_DEP_1) | instskip(NEXT) | instid1(VALU_DEP_1)
	v_fmaak_f32 v101, v82, v101, 0x3e088382
	v_fmaak_f32 v101, v82, v101, 0xbeaaaa99
	s_delay_alu instid0(VALU_DEP_1) | instskip(NEXT) | instid1(VALU_DEP_1)
	v_mul_f32_e64 v101, |v6|, v101
	v_fma_f32 v82, v82, v101, |v6|
.LBB75_61:                              ;   in Loop: Header=BB75_9 Depth=1
	s_wait_alu 0xfffe
	s_or_b32 exec_lo, exec_lo, s24
	v_cmp_ngt_f32_e64 s24, 0x3f200000, |v79|
                                        ; implicit-def: $vgpr101
	s_and_saveexec_b32 s25, s24
	s_wait_alu 0xfffe
	s_xor_b32 s24, exec_lo, s25
	s_cbranch_execz .LBB75_63
; %bb.62:                               ;   in Loop: Header=BB75_9 Depth=1
	v_add_f32_e64 v101, |v79|, |v79|
	s_delay_alu instid0(VALU_DEP_1) | instskip(SKIP_1) | instid1(VALU_DEP_2)
	v_mul_f32_e32 v102, 0x3fb8aa3b, v101
	v_cmp_ngt_f32_e32 vcc_lo, 0xc2ce8ed0, v101
	v_rndne_f32_e32 v110, v102
	v_fma_f32 v111, 0x3fb8aa3b, v101, -v102
	s_delay_alu instid0(VALU_DEP_1) | instskip(SKIP_1) | instid1(VALU_DEP_2)
	v_dual_sub_f32 v102, v102, v110 :: v_dual_fmac_f32 v111, 0x32a5705f, v101
	v_cvt_i32_f32_e32 v110, v110
	v_add_f32_e32 v102, v102, v111
	s_delay_alu instid0(VALU_DEP_1) | instskip(NEXT) | instid1(TRANS32_DEP_1)
	v_exp_f32_e32 v102, v102
	v_ldexp_f32 v102, v102, v110
	s_wait_alu 0xfffd
	s_delay_alu instid0(VALU_DEP_1) | instskip(SKIP_2) | instid1(VALU_DEP_2)
	v_cndmask_b32_e32 v102, 0, v102, vcc_lo
	v_cmp_nlt_f32_e32 vcc_lo, 0x42b17218, v101
	s_wait_alu 0xfffd
	v_cndmask_b32_e32 v101, 0x7f800000, v102, vcc_lo
	s_delay_alu instid0(VALU_DEP_1) | instskip(NEXT) | instid1(VALU_DEP_1)
	v_add_f32_e32 v101, 1.0, v101
	v_rcp_f32_e32 v101, v101
	s_delay_alu instid0(TRANS32_DEP_1)
	v_fma_f32 v101, v101, -2.0, 1.0
.LBB75_63:                              ;   in Loop: Header=BB75_9 Depth=1
	s_wait_alu 0xfffe
	s_and_not1_saveexec_b32 s24, s24
	s_cbranch_execz .LBB75_65
; %bb.64:                               ;   in Loop: Header=BB75_9 Depth=1
	v_mul_f32_e32 v101, v79, v79
	s_delay_alu instid0(VALU_DEP_1) | instskip(NEXT) | instid1(VALU_DEP_1)
	v_fmaak_f32 v102, s5, v101, 0x3ca908c9
	v_fmaak_f32 v102, v101, v102, 0xbd5c1c4e
	s_delay_alu instid0(VALU_DEP_1) | instskip(NEXT) | instid1(VALU_DEP_1)
	v_fmaak_f32 v102, v101, v102, 0x3e088382
	v_fmaak_f32 v102, v101, v102, 0xbeaaaa99
	s_delay_alu instid0(VALU_DEP_1) | instskip(NEXT) | instid1(VALU_DEP_1)
	v_mul_f32_e64 v102, |v79|, v102
	v_fma_f32 v101, v101, v102, |v79|
.LBB75_65:                              ;   in Loop: Header=BB75_9 Depth=1
	s_wait_alu 0xfffe
	s_or_b32 exec_lo, exec_lo, s24
	v_bfi_b32 v6, 0x7fffffff, v82, v6
	s_delay_alu instid0(VALU_DEP_2) | instskip(SKIP_1) | instid1(VALU_DEP_3)
	v_bfi_b32 v79, 0x7fffffff, v101, v79
	v_cmp_ngt_f32_e64 s24, 0x3f200000, |v4|
                                        ; implicit-def: $vgpr82
	v_fma_f32 v102, s3, v6, v98
	s_delay_alu instid0(VALU_DEP_3) | instskip(NEXT) | instid1(VALU_DEP_1)
	v_fma_f32 v101, s3, v79, v86
	v_dual_add_f32 v6, 0x40051340, v102 :: v_dual_add_f32 v79, 0x40051340, v101
	s_delay_alu instid0(VALU_DEP_1) | instskip(SKIP_3) | instid1(VALU_DEP_1)
	v_max3_num_f32 v6, v63, v6, v79
	ds_bpermute_b32 v79, v2, v6
	s_wait_dscnt 0x0
	v_max_num_f32_e32 v79, v79, v79
	v_max_num_f32_e32 v6, v6, v79
	ds_bpermute_b32 v79, v97, v6
	s_wait_dscnt 0x0
	v_max_num_f32_e32 v79, v79, v79
	s_delay_alu instid0(VALU_DEP_1) | instskip(SKIP_3) | instid1(VALU_DEP_1)
	v_max_num_f32_e32 v6, v6, v79
	ds_bpermute_b32 v79, v94, v6
	s_wait_dscnt 0x0
	v_max_num_f32_e32 v79, v79, v79
	v_max_num_f32_e32 v6, v6, v79
	ds_bpermute_b32 v79, v91, v6
	s_wait_dscnt 0x0
	v_max_num_f32_e32 v79, v79, v79
	s_delay_alu instid0(VALU_DEP_1)
	v_max_num_f32_e32 v6, v6, v79
	ds_bpermute_b32 v79, v90, v6
	s_and_saveexec_b32 s25, s24
	s_wait_alu 0xfffe
	s_xor_b32 s24, exec_lo, s25
	s_cbranch_execz .LBB75_67
; %bb.66:                               ;   in Loop: Header=BB75_9 Depth=1
	v_add_f32_e64 v82, |v4|, |v4|
	s_delay_alu instid0(VALU_DEP_1) | instskip(SKIP_1) | instid1(VALU_DEP_2)
	v_mul_f32_e32 v110, 0x3fb8aa3b, v82
	v_cmp_ngt_f32_e32 vcc_lo, 0xc2ce8ed0, v82
	v_rndne_f32_e32 v111, v110
	v_fma_f32 v112, 0x3fb8aa3b, v82, -v110
	s_delay_alu instid0(VALU_DEP_2) | instskip(NEXT) | instid1(VALU_DEP_2)
	v_sub_f32_e32 v110, v110, v111
	v_fmac_f32_e32 v112, 0x32a5705f, v82
	v_cvt_i32_f32_e32 v111, v111
	s_delay_alu instid0(VALU_DEP_2) | instskip(NEXT) | instid1(VALU_DEP_1)
	v_add_f32_e32 v110, v110, v112
	v_exp_f32_e32 v110, v110
	s_delay_alu instid0(TRANS32_DEP_1) | instskip(SKIP_1) | instid1(VALU_DEP_1)
	v_ldexp_f32 v110, v110, v111
	s_wait_alu 0xfffd
	v_cndmask_b32_e32 v110, 0, v110, vcc_lo
	v_cmp_nlt_f32_e32 vcc_lo, 0x42b17218, v82
	s_wait_alu 0xfffd
	s_delay_alu instid0(VALU_DEP_2) | instskip(NEXT) | instid1(VALU_DEP_1)
	v_cndmask_b32_e32 v82, 0x7f800000, v110, vcc_lo
	v_add_f32_e32 v82, 1.0, v82
	s_delay_alu instid0(VALU_DEP_1) | instskip(NEXT) | instid1(TRANS32_DEP_1)
	v_rcp_f32_e32 v82, v82
	v_fma_f32 v82, v82, -2.0, 1.0
.LBB75_67:                              ;   in Loop: Header=BB75_9 Depth=1
	s_wait_alu 0xfffe
	s_and_not1_saveexec_b32 s24, s24
	s_cbranch_execz .LBB75_69
; %bb.68:                               ;   in Loop: Header=BB75_9 Depth=1
	v_mul_f32_e32 v82, v4, v4
	s_delay_alu instid0(VALU_DEP_1) | instskip(NEXT) | instid1(VALU_DEP_1)
	v_fmaak_f32 v110, s5, v82, 0x3ca908c9
	v_fmaak_f32 v110, v82, v110, 0xbd5c1c4e
	s_delay_alu instid0(VALU_DEP_1) | instskip(NEXT) | instid1(VALU_DEP_1)
	v_fmaak_f32 v110, v82, v110, 0x3e088382
	v_fmaak_f32 v110, v82, v110, 0xbeaaaa99
	s_delay_alu instid0(VALU_DEP_1) | instskip(NEXT) | instid1(VALU_DEP_1)
	v_mul_f32_e64 v110, |v4|, v110
	v_fma_f32 v82, v82, v110, |v4|
.LBB75_69:                              ;   in Loop: Header=BB75_9 Depth=1
	s_wait_alu 0xfffe
	s_or_b32 exec_lo, exec_lo, s24
	v_cmp_ngt_f32_e64 s24, 0x3f200000, |v5|
                                        ; implicit-def: $vgpr110
	s_and_saveexec_b32 s25, s24
	s_wait_alu 0xfffe
	s_xor_b32 s24, exec_lo, s25
	s_cbranch_execz .LBB75_71
; %bb.70:                               ;   in Loop: Header=BB75_9 Depth=1
	v_add_f32_e64 v110, |v5|, |v5|
	s_delay_alu instid0(VALU_DEP_1) | instskip(SKIP_1) | instid1(VALU_DEP_2)
	v_mul_f32_e32 v111, 0x3fb8aa3b, v110
	v_cmp_ngt_f32_e32 vcc_lo, 0xc2ce8ed0, v110
	v_rndne_f32_e32 v112, v111
	v_fma_f32 v113, 0x3fb8aa3b, v110, -v111
	s_delay_alu instid0(VALU_DEP_2) | instskip(NEXT) | instid1(VALU_DEP_2)
	v_sub_f32_e32 v111, v111, v112
	v_fmac_f32_e32 v113, 0x32a5705f, v110
	v_cvt_i32_f32_e32 v112, v112
	s_delay_alu instid0(VALU_DEP_2) | instskip(NEXT) | instid1(VALU_DEP_1)
	v_add_f32_e32 v111, v111, v113
	v_exp_f32_e32 v111, v111
	s_delay_alu instid0(TRANS32_DEP_1) | instskip(SKIP_1) | instid1(VALU_DEP_1)
	v_ldexp_f32 v111, v111, v112
	s_wait_alu 0xfffd
	v_cndmask_b32_e32 v111, 0, v111, vcc_lo
	v_cmp_nlt_f32_e32 vcc_lo, 0x42b17218, v110
	s_wait_alu 0xfffd
	s_delay_alu instid0(VALU_DEP_2) | instskip(NEXT) | instid1(VALU_DEP_1)
	v_cndmask_b32_e32 v110, 0x7f800000, v111, vcc_lo
	v_add_f32_e32 v110, 1.0, v110
	s_delay_alu instid0(VALU_DEP_1) | instskip(NEXT) | instid1(TRANS32_DEP_1)
	v_rcp_f32_e32 v110, v110
	v_fma_f32 v110, v110, -2.0, 1.0
.LBB75_71:                              ;   in Loop: Header=BB75_9 Depth=1
	s_wait_alu 0xfffe
	s_and_not1_saveexec_b32 s24, s24
	s_cbranch_execz .LBB75_73
; %bb.72:                               ;   in Loop: Header=BB75_9 Depth=1
	v_mul_f32_e32 v110, v5, v5
	s_delay_alu instid0(VALU_DEP_1) | instskip(NEXT) | instid1(VALU_DEP_1)
	v_fmaak_f32 v111, s5, v110, 0x3ca908c9
	v_fmaak_f32 v111, v110, v111, 0xbd5c1c4e
	s_delay_alu instid0(VALU_DEP_1) | instskip(NEXT) | instid1(VALU_DEP_1)
	v_fmaak_f32 v111, v110, v111, 0x3e088382
	v_fmaak_f32 v111, v110, v111, 0xbeaaaa99
	s_delay_alu instid0(VALU_DEP_1) | instskip(NEXT) | instid1(VALU_DEP_1)
	v_mul_f32_e64 v111, |v5|, v111
	v_fma_f32 v110, v110, v111, |v5|
.LBB75_73:                              ;   in Loop: Header=BB75_9 Depth=1
	s_wait_alu 0xfffe
	s_or_b32 exec_lo, exec_lo, s24
	v_bfi_b32 v4, 0x7fffffff, v82, v4
	s_delay_alu instid0(VALU_DEP_2)
	v_bfi_b32 v5, 0x7fffffff, v110, v5
	s_wait_dscnt 0x0
	v_dual_max_num_f32 v0, v0, v0 :: v_dual_max_num_f32 v79, v79, v79
	v_max_num_f32_e32 v6, v6, v6
	v_dual_fmac_f32 v98, s3, v4 :: v_dual_max_num_f32 v1, v1, v1
	v_dual_fmac_f32 v86, s3, v5 :: v_dual_max_num_f32 v5, v80, v80
	v_max_num_f32_e32 v4, v81, v81
	s_delay_alu instid0(VALU_DEP_3) | instskip(NEXT) | instid1(VALU_DEP_3)
	v_dual_add_f32 v80, 0x40051340, v98 :: v_dual_max_num_f32 v107, v107, v107
	v_dual_add_f32 v81, 0x40051340, v86 :: v_dual_max_num_f32 v82, v109, v109
	v_dual_max_num_f32 v103, v103, v103 :: v_dual_max_num_f32 v108, v108, v108
	v_max_num_f32_e32 v105, v105, v105
	s_delay_alu instid0(VALU_DEP_3)
	v_max3_num_f32 v80, v11, v80, v81
	v_dual_max_num_f32 v81, v106, v106 :: v_dual_max_num_f32 v104, v104, v104
	v_max_num_f32_e32 v109, v3, v3
	v_dual_max_num_f32 v6, v6, v79 :: v_dual_max_num_f32 v5, v5, v4
	ds_bpermute_b32 v106, v2, v80
	v_max_num_f32_e32 v4, v0, v1
	v_dual_max_num_f32 v3, v108, v82 :: v_dual_max_num_f32 v2, v81, v107
	v_dual_max_num_f32 v1, v104, v105 :: v_dual_max_num_f32 v0, v109, v103
	s_mul_u64 s[24:25], s[10:11], s[14:15]
	s_wait_dscnt 0x0
	s_wait_alu 0xfffe
	s_lshl_b64 s[24:25], s[24:25], 2
	s_barrier_signal -1
	s_wait_alu 0xfffe
	s_add_nc_u64 s[24:25], s[8:9], s[24:25]
	v_sub_f32_e32 v95, v95, v0
	s_wait_alu 0xfffe
	v_add_co_u32 v79, vcc_lo, s24, v16
	s_wait_alu 0xfffd
	v_add_co_ci_u32_e64 v81, null, s25, v17, vcc_lo
	v_add_co_u32 v103, vcc_lo, s24, v18
	v_sub_f32_e32 v87, v87, v1
	s_wait_alu 0xfffd
	v_add_co_ci_u32_e64 v104, null, s25, v19, vcc_lo
	v_max_num_f32_e32 v82, v106, v106
	v_sub_f32_e32 v111, v78, v1
	v_add_co_u32 v78, vcc_lo, v79, v46
	s_wait_alu 0xfffd
	v_add_co_ci_u32_e64 v79, null, 0, v81, vcc_lo
	v_max_num_f32_e32 v82, v80, v82
	v_add_co_u32 v80, vcc_lo, v103, v46
	s_wait_alu 0xfffd
	v_add_co_ci_u32_e64 v81, null, 0, v104, vcc_lo
	ds_bpermute_b32 v97, v97, v82
	v_mul_f32_e32 v112, 0x3fb8aa3b, v95
	s_barrier_wait -1
	s_wait_dscnt 0x0
	global_inv scope:SCOPE_SE
	s_clause 0x1
	global_load_b128 v[103:106], v[78:79], off
	global_load_b128 v[107:110], v[80:81], off
	v_dual_sub_f32 v76, v76, v0 :: v_dual_sub_f32 v89, v89, v1
	v_dual_sub_f32 v96, v96, v0 :: v_dual_sub_f32 v85, v85, v2
	v_sub_f32_e32 v88, v88, v2
	s_delay_alu instid0(VALU_DEP_3) | instskip(NEXT) | instid1(VALU_DEP_3)
	v_dual_mul_f32 v114, 0x3fb8aa3b, v76 :: v_dual_mul_f32 v115, 0x3fb8aa3b, v87
	v_dual_mul_f32 v113, 0x3fb8aa3b, v96 :: v_dual_mul_f32 v116, 0x3fb8aa3b, v89
	v_mul_f32_e32 v117, 0x3fb8aa3b, v111
	s_delay_alu instid0(VALU_DEP_3) | instskip(SKIP_1) | instid1(VALU_DEP_4)
	v_rndne_f32_e32 v120, v114
	v_cmp_ngt_f32_e32 vcc_lo, 0xc2ce8ed0, v95
	v_fma_f32 v81, 0x3fb8aa3b, v96, -v113
	v_fma_f32 v123, 0x3fb8aa3b, v89, -v116
	;; [unrolled: 1-line block ×3, first 2 shown]
	v_max_num_f32_e32 v97, v97, v97
	v_fma_f32 v78, 0x3fb8aa3b, v95, -v112
	v_rndne_f32_e32 v80, v112
	v_rndne_f32_e32 v122, v115
	v_fma_f32 v125, 0x3fb8aa3b, v111, -v117
	s_delay_alu instid0(VALU_DEP_4)
	v_dual_max_num_f32 v79, v82, v97 :: v_dual_fmac_f32 v78, 0x32a5705f, v95
	v_rndne_f32_e32 v82, v113
	v_fma_f32 v97, 0x3fb8aa3b, v76, -v114
	v_sub_f32_e32 v112, v112, v80
	ds_bpermute_b32 v94, v94, v79
	v_fmac_f32_e32 v81, 0x32a5705f, v96
	v_sub_f32_e32 v113, v113, v82
	v_dual_fmac_f32 v97, 0x32a5705f, v76 :: v_dual_add_f32 v78, v112, v78
	v_cvt_i32_f32_e32 v80, v80
	v_cvt_i32_f32_e32 v82, v82
	v_dual_sub_f32 v114, v114, v120 :: v_dual_fmac_f32 v121, 0x32a5705f, v87
	s_delay_alu instid0(VALU_DEP_4)
	v_exp_f32_e32 v78, v78
	v_rndne_f32_e32 v124, v116
	v_sub_f32_e32 v115, v115, v122
	v_fmac_f32_e32 v125, 0x32a5705f, v111
	v_rndne_f32_e32 v126, v117
	v_dual_mul_f32 v118, 0x3fb8aa3b, v85 :: v_dual_mul_f32 v119, 0x3fb8aa3b, v88
	v_sub_f32_e32 v116, v116, v124
	s_or_b32 s24, s10, 32
	v_sub_f32_e32 v70, v70, v2
	s_delay_alu instid0(TRANS32_DEP_1)
	v_ldexp_f32 v78, v78, v80
	s_wait_dscnt 0x0
	v_dual_max_num_f32 v94, v94, v94 :: v_dual_add_f32 v81, v113, v81
	v_fmac_f32_e32 v123, 0x32a5705f, v89
	v_fma_f32 v127, 0x3fb8aa3b, v85, -v118
	s_wait_alu 0xfffd
	v_cndmask_b32_e32 v78, 0, v78, vcc_lo
	v_cmp_ngt_f32_e32 vcc_lo, 0xc2ce8ed0, v96
	v_exp_f32_e32 v81, v81
	v_dual_sub_f32 v117, v117, v126 :: v_dual_add_f32 v112, v116, v123
	v_cvt_i32_f32_e32 v116, v124
	s_wait_alu 0xfffe
	s_ashr_i32 s25, s24, 31
	v_sub_f32_e32 v69, v69, v3
	s_wait_alu 0xfffe
	s_mul_u64 s[24:25], s[24:25], s[14:15]
	v_exp_f32_e32 v112, v112
	s_wait_alu 0xfffe
	s_lshl_b64 s[24:25], s[24:25], 2
	v_sub_f32_e32 v83, v83, v4
	v_ldexp_f32 v80, v81, v82
	v_dual_max_num_f32 v79, v79, v94 :: v_dual_add_f32 v94, v114, v97
	v_add_f32_e32 v97, v115, v121
	v_cvt_i32_f32_e32 v114, v120
	s_wait_alu 0xfffd
	v_cndmask_b32_e32 v80, 0, v80, vcc_lo
	ds_bpermute_b32 v91, v91, v79
	v_exp_f32_e32 v94, v94
	v_exp_f32_e32 v97, v97
	v_cvt_i32_f32_e32 v115, v122
	v_cmp_ngt_f32_e32 vcc_lo, 0xc2ce8ed0, v76
	v_add_f32_e32 v113, v117, v125
	v_cvt_i32_f32_e32 v117, v126
	s_wait_alu 0xfffe
	s_add_nc_u64 s[24:25], s[8:9], s[24:25]
	s_delay_alu instid0(VALU_DEP_2) | instskip(NEXT) | instid1(TRANS32_DEP_3)
	v_exp_f32_e32 v113, v113
	v_ldexp_f32 v81, v94, v114
	s_delay_alu instid0(TRANS32_DEP_2) | instskip(SKIP_2) | instid1(VALU_DEP_3)
	v_ldexp_f32 v82, v97, v115
	v_ldexp_f32 v94, v112, v116
	s_wait_alu 0xfffd
	v_cndmask_b32_e32 v81, 0, v81, vcc_lo
	v_cmp_ngt_f32_e32 vcc_lo, 0xc2ce8ed0, v87
	s_wait_dscnt 0x0
	v_max_num_f32_e32 v91, v91, v91
	s_delay_alu instid0(TRANS32_DEP_1) | instskip(NEXT) | instid1(VALU_DEP_2)
	v_ldexp_f32 v97, v113, v117
	v_max_num_f32_e32 v91, v79, v91
	s_wait_alu 0xfffd
	v_cndmask_b32_e32 v79, 0, v82, vcc_lo
	v_cmp_ngt_f32_e32 vcc_lo, 0xc2ce8ed0, v89
	s_wait_alu 0xfffd
	v_cndmask_b32_e32 v82, 0, v94, vcc_lo
	v_cmp_nlt_f32_e32 vcc_lo, 0x42b17218, v76
	s_wait_alu 0xfffd
	v_cndmask_b32_e32 v76, 0x7f800000, v81, vcc_lo
	v_cmp_ngt_f32_e32 vcc_lo, 0xc2ce8ed0, v111
	s_delay_alu instid0(VALU_DEP_2) | instskip(SKIP_3) | instid1(VALU_DEP_3)
	v_cvt_f16_f32_e32 v94, v76
	s_wait_alu 0xfffd
	v_cndmask_b32_e32 v81, 0, v97, vcc_lo
	v_cmp_nlt_f32_e32 vcc_lo, 0x42b17218, v95
	v_and_b32_e32 v94, 0xffff, v94
	s_wait_alu 0xfffd
	v_cndmask_b32_e32 v78, 0x7f800000, v78, vcc_lo
	v_cmp_nlt_f32_e32 vcc_lo, 0x42b17218, v96
	s_delay_alu instid0(VALU_DEP_3)
	v_mul_u32_u24_e32 v94, 0x10001, v94
	s_wait_alu 0xfffd
	v_cndmask_b32_e32 v80, 0x7f800000, v80, vcc_lo
	v_cmp_nlt_f32_e32 vcc_lo, 0x42b17218, v87
	s_wait_alu 0xfffd
	v_cndmask_b32_e32 v87, 0x7f800000, v79, vcc_lo
	v_cmp_nlt_f32_e32 vcc_lo, 0x42b17218, v89
	v_cvt_f16_f32_e32 v89, v78
	s_delay_alu instid0(VALU_DEP_3)
	v_cvt_f16_f32_e32 v95, v87
	s_wait_alu 0xfffd
	v_cndmask_b32_e32 v82, 0x7f800000, v82, vcc_lo
	ds_bpermute_b32 v90, v90, v91
	v_add_f32_e32 v79, v78, v80
	v_cvt_f16_f32_e32 v78, v80
	v_cmp_nlt_f32_e32 vcc_lo, 0x42b17218, v111
	v_add_f32_e32 v80, v87, v82
	v_pk_mul_f16 v87, v62, v94
	v_fma_f32 v62, 0x3fb8aa3b, v88, -v119
	v_fmac_f32_e32 v79, v7, v76
	v_pk_mul_f16 v76, v61, v94
	v_rndne_f32_e32 v61, v118
	v_cvt_f16_f32_e32 v96, v82
	v_fmac_f32_e32 v62, 0x32a5705f, v88
	s_wait_dscnt 0x0
	s_wait_alu 0xfffd
	v_dual_max_num_f32 v90, v90, v90 :: v_dual_cndmask_b32 v81, 0x7f800000, v81
	v_cmp_ngt_f32_e32 vcc_lo, 0xc2ce8ed0, v85
	s_delay_alu instid0(VALU_DEP_2) | instskip(SKIP_3) | instid1(VALU_DEP_3)
	v_max_num_f32_e32 v7, v91, v90
	v_rndne_f32_e32 v90, v119
	v_sub_f32_e32 v91, v118, v61
	v_cvt_i32_f32_e32 v61, v61
	v_sub_f32_e32 v94, v119, v90
	v_cvt_i32_f32_e32 v90, v90
	s_delay_alu instid0(VALU_DEP_2) | instskip(SKIP_3) | instid1(VALU_DEP_4)
	v_add_f32_e32 v62, v94, v62
	v_cvt_f16_f32_e32 v82, v81
	v_mul_f32_e32 v94, 0x3fb8aa3b, v70
	v_dual_fmac_f32 v80, v72, v81 :: v_dual_sub_f32 v11, v11, v7
	v_exp_f32_e32 v62, v62
	s_delay_alu instid0(VALU_DEP_3) | instskip(NEXT) | instid1(VALU_DEP_3)
	v_and_b32_e32 v72, 0xffff, v82
	v_fma_f32 v82, 0x3fb8aa3b, v70, -v94
	v_fmac_f32_e32 v127, 0x32a5705f, v85
	s_delay_alu instid0(VALU_DEP_3) | instskip(NEXT) | instid1(VALU_DEP_3)
	v_mul_u32_u24_e32 v72, 0x10001, v72
	v_fmac_f32_e32 v82, 0x32a5705f, v70
	s_delay_alu instid0(VALU_DEP_2) | instskip(SKIP_1) | instid1(TRANS32_DEP_1)
	v_pk_mul_f16 v97, v59, v72
	v_pk_mul_f16 v72, v60, v72
	v_ldexp_f32 v60, v62, v90
	v_add_f32_e32 v91, v91, v127
	v_sub_f32_e32 v62, v93, v3
	s_delay_alu instid0(VALU_DEP_2) | instskip(SKIP_1) | instid1(TRANS32_DEP_1)
	v_exp_f32_e32 v81, v91
	v_rndne_f32_e32 v91, v94
	v_ldexp_f32 v59, v81, v61
	s_delay_alu instid0(VALU_DEP_2) | instskip(SKIP_1) | instid1(VALU_DEP_2)
	v_cvt_i32_f32_e32 v81, v91
	s_wait_alu 0xfffd
	v_cndmask_b32_e32 v59, 0, v59, vcc_lo
	v_cmp_ngt_f32_e32 vcc_lo, 0xc2ce8ed0, v88
	s_wait_alu 0xfffd
	v_cndmask_b32_e32 v60, 0, v60, vcc_lo
	v_cmp_nlt_f32_e32 vcc_lo, 0x42b17218, v85
	v_sub_f32_e32 v85, v92, v3
	s_delay_alu instid0(VALU_DEP_1) | instskip(SKIP_3) | instid1(VALU_DEP_3)
	v_mul_f32_e32 v90, 0x3fb8aa3b, v85
	s_wait_alu 0xfffd
	v_cndmask_b32_e32 v59, 0x7f800000, v59, vcc_lo
	v_cmp_nlt_f32_e32 vcc_lo, 0x42b17218, v88
	v_rndne_f32_e32 v93, v90
	s_wait_alu 0xfffd
	v_cndmask_b32_e32 v60, 0x7f800000, v60, vcc_lo
	v_sub_f32_e32 v94, v94, v91
	v_cmp_ngt_f32_e32 vcc_lo, 0xc2ce8ed0, v70
	s_delay_alu instid0(VALU_DEP_2) | instskip(NEXT) | instid1(VALU_DEP_1)
	v_add_f32_e32 v61, v94, v82
	v_exp_f32_e32 v61, v61
	s_delay_alu instid0(TRANS32_DEP_1) | instskip(SKIP_1) | instid1(VALU_DEP_1)
	v_ldexp_f32 v61, v61, v81
	s_wait_alu 0xfffd
	v_dual_mul_f32 v82, 0x3fb8aa3b, v62 :: v_dual_cndmask_b32 v61, 0, v61
	s_delay_alu instid0(VALU_DEP_1)
	v_rndne_f32_e32 v91, v82
	v_cmp_nlt_f32_e32 vcc_lo, 0x42b17218, v70
	v_sub_f32_e32 v70, v90, v93
	v_cvt_f16_f32_e32 v88, v59
	v_add_f32_e32 v81, v59, v60
	v_fma_f32 v59, 0x3fb8aa3b, v62, -v82
	v_sub_f32_e32 v82, v82, v91
	v_cvt_i32_f32_e32 v91, v91
	v_cvt_i32_f32_e32 v93, v93
	s_delay_alu instid0(VALU_DEP_4) | instskip(NEXT) | instid1(VALU_DEP_1)
	v_fmac_f32_e32 v59, 0x32a5705f, v62
	v_dual_add_f32 v59, v82, v59 :: v_dual_mul_f32 v82, 0x3fb8aa3b, v69
	v_fma_f32 v92, 0x3fb8aa3b, v85, -v90
	v_cvt_f16_f32_e32 v90, v60
	s_delay_alu instid0(VALU_DEP_3) | instskip(NEXT) | instid1(VALU_DEP_3)
	v_exp_f32_e32 v59, v59
	v_rndne_f32_e32 v94, v82
	s_delay_alu instid0(TRANS32_DEP_1)
	v_ldexp_f32 v59, v59, v91
	v_fmac_f32_e32 v92, 0x32a5705f, v85
	s_wait_alu 0xfffd
	v_cndmask_b32_e32 v61, 0x7f800000, v61, vcc_lo
	v_cmp_ngt_f32_e32 vcc_lo, 0xc2ce8ed0, v62
	s_wait_alu 0xfffd
	v_dual_cndmask_b32 v59, 0, v59 :: v_dual_add_f32 v70, v70, v92
	s_delay_alu instid0(VALU_DEP_3)
	v_cvt_f16_f32_e32 v60, v61
	v_fmac_f32_e32 v81, v68, v61
	v_fma_f32 v92, 0x3fb8aa3b, v69, -v82
	v_cmp_ngt_f32_e32 vcc_lo, 0xc2ce8ed0, v85
	v_exp_f32_e32 v70, v70
	v_and_b32_e32 v60, 0xffff, v60
	s_delay_alu instid0(VALU_DEP_3) | instskip(NEXT) | instid1(VALU_DEP_2)
	v_fmac_f32_e32 v92, 0x32a5705f, v69
	v_mul_u32_u24_e32 v60, 0x10001, v60
	s_delay_alu instid0(VALU_DEP_1) | instskip(NEXT) | instid1(TRANS32_DEP_1)
	v_pk_mul_f16 v68, v58, v60
	v_ldexp_f32 v58, v70, v93
	v_pk_mul_f16 v70, v57, v60
	s_wait_alu 0xfffd
	s_delay_alu instid0(VALU_DEP_2)
	v_cndmask_b32_e32 v58, 0, v58, vcc_lo
	v_cmp_nlt_f32_e32 vcc_lo, 0x42b17218, v62
	v_sub_f32_e32 v82, v82, v94
	v_cvt_i32_f32_e32 v62, v94
	s_wait_alu 0xfffd
	v_cndmask_b32_e32 v59, 0x7f800000, v59, vcc_lo
	v_cmp_nlt_f32_e32 vcc_lo, 0x42b17218, v85
	v_add_f32_e32 v61, v82, v92
	s_delay_alu instid0(VALU_DEP_3) | instskip(SKIP_2) | instid1(VALU_DEP_3)
	v_cvt_f16_f32_e32 v57, v59
	s_wait_alu 0xfffd
	v_cndmask_b32_e32 v58, 0x7f800000, v58, vcc_lo
	v_exp_f32_e32 v61, v61
	v_cmp_ngt_f32_e32 vcc_lo, 0xc2ce8ed0, v69
	s_delay_alu instid0(VALU_DEP_2) | instskip(SKIP_2) | instid1(TRANS32_DEP_1)
	v_add_f32_e32 v82, v59, v58
	v_sub_f32_e32 v59, v67, v4
	v_cvt_f16_f32_e32 v58, v58
	v_ldexp_f32 v60, v61, v62
	v_sub_f32_e32 v61, v84, v4
	s_delay_alu instid0(VALU_DEP_4) | instskip(NEXT) | instid1(VALU_DEP_4)
	v_mul_f32_e32 v67, 0x3fb8aa3b, v59
	v_pack_b32_f16 v58, v90, v58
	s_wait_alu 0xfffd
	v_cndmask_b32_e32 v60, 0, v60, vcc_lo
	v_mul_f32_e32 v62, 0x3fb8aa3b, v61
	v_cmp_nlt_f32_e32 vcc_lo, 0x42b17218, v69
	v_fma_f32 v85, 0x3fb8aa3b, v59, -v67
	v_rndne_f32_e32 v91, v67
	s_delay_alu instid0(VALU_DEP_4) | instskip(SKIP_1) | instid1(VALU_DEP_4)
	v_fma_f32 v69, 0x3fb8aa3b, v61, -v62
	v_rndne_f32_e32 v84, v62
	v_fmac_f32_e32 v85, 0x32a5705f, v59
	s_delay_alu instid0(VALU_DEP_4)
	v_sub_f32_e32 v67, v67, v91
	v_mul_f32_e32 v92, 0x3fb8aa3b, v83
	v_fmac_f32_e32 v69, 0x32a5705f, v61
	s_wait_alu 0xfffd
	v_cndmask_b32_e32 v60, 0x7f800000, v60, vcc_lo
	v_dual_sub_f32 v62, v62, v84 :: v_dual_add_f32 v67, v67, v85
	v_rndne_f32_e32 v94, v92
	v_cmp_ngt_f32_e32 vcc_lo, 0xc2ce8ed0, v61
	s_delay_alu instid0(VALU_DEP_4) | instskip(NEXT) | instid1(VALU_DEP_4)
	v_cvt_f16_f32_e32 v93, v60
	v_add_f32_e32 v62, v62, v69
	v_fma_f32 v69, 0x3fb8aa3b, v83, -v92
	v_sub_f32_e32 v92, v92, v94
	v_exp_f32_e32 v67, v67
	v_dual_fmac_f32 v82, v66, v60 :: v_dual_and_b32 v85, 0xffff, v93
	s_delay_alu instid0(VALU_DEP_3) | instskip(SKIP_2) | instid1(VALU_DEP_3)
	v_fmac_f32_e32 v69, 0x32a5705f, v83
	v_exp_f32_e32 v62, v62
	v_cvt_i32_f32_e32 v60, v84
	v_mul_u32_u24_e32 v85, 0x10001, v85
	s_delay_alu instid0(VALU_DEP_3) | instskip(SKIP_1) | instid1(VALU_DEP_3)
	v_add_f32_e32 v66, v92, v69
	v_cvt_i32_f32_e32 v69, v91
	v_pk_mul_f16 v91, v55, v85
	v_pk_mul_f16 v92, v56, v85
	s_delay_alu instid0(TRANS32_DEP_1) | instskip(NEXT) | instid1(VALU_DEP_4)
	v_ldexp_f32 v55, v62, v60
	v_ldexp_f32 v60, v67, v69
	s_wait_alu 0xfffd
	s_delay_alu instid0(VALU_DEP_2)
	v_cndmask_b32_e32 v55, 0, v55, vcc_lo
	v_cmp_ngt_f32_e32 vcc_lo, 0xc2ce8ed0, v59
	s_wait_alu 0xfffd
	v_cndmask_b32_e32 v60, 0, v60, vcc_lo
	v_cmp_nlt_f32_e32 vcc_lo, 0x42b17218, v61
	s_wait_alu 0xfffd
	v_dual_sub_f32 v62, v100, v5 :: v_dual_cndmask_b32 v55, 0x7f800000, v55
	s_delay_alu instid0(VALU_DEP_1)
	v_mul_f32_e32 v67, 0x3fb8aa3b, v62
	v_exp_f32_e32 v56, v66
	v_cvt_i32_f32_e32 v66, v94
	v_cmp_nlt_f32_e32 vcc_lo, 0x42b17218, v59
	v_cvt_f16_f32_e32 v69, v55
	v_rndne_f32_e32 v61, v67
	s_wait_alu 0xfffd
	v_dual_sub_f32 v94, v101, v6 :: v_dual_cndmask_b32 v59, 0x7f800000, v60
	v_fma_f32 v60, 0x3fb8aa3b, v62, -v67
	v_cmp_ngt_f32_e32 vcc_lo, 0xc2ce8ed0, v83
	s_delay_alu instid0(TRANS32_DEP_1)
	v_ldexp_f32 v56, v56, v66
	v_sub_f32_e32 v67, v67, v61
	v_cvt_f16_f32_e32 v66, v59
	v_fmac_f32_e32 v60, 0x32a5705f, v62
	v_mul_f32_e32 v84, 0x3fb8aa3b, v94
	s_wait_alu 0xfffd
	v_cndmask_b32_e32 v56, 0, v56, vcc_lo
	v_cmp_nlt_f32_e32 vcc_lo, 0x42b17218, v83
	v_and_b32_e32 v66, 0xffff, v66
	v_add_f32_e32 v60, v67, v60
	s_wait_alu 0xfffd
	v_dual_sub_f32 v67, v99, v5 :: v_dual_cndmask_b32 v56, 0x7f800000, v56
	v_cmp_ngt_f32_e32 vcc_lo, 0xc2ce8ed0, v62
	s_delay_alu instid0(VALU_DEP_2) | instskip(NEXT) | instid1(VALU_DEP_1)
	v_add_f32_e32 v83, v55, v56
	v_fmac_f32_e32 v83, v65, v59
	v_cvt_f16_f32_e32 v85, v56
	v_exp_f32_e32 v56, v60
	v_sub_f32_e32 v59, v64, v5
	v_mul_u32_u24_e32 v55, 0x10001, v66
	s_delay_alu instid0(VALU_DEP_1)
	v_pk_mul_f16 v65, v53, v55
	v_cvt_i32_f32_e32 v53, v61
	v_pk_mul_f16 v93, v54, v55
	s_delay_alu instid0(TRANS32_DEP_1) | instid1(VALU_DEP_2)
	v_ldexp_f32 v53, v56, v53
	s_wait_alu 0xfffd
	s_delay_alu instid0(VALU_DEP_1) | instskip(NEXT) | instid1(VALU_DEP_1)
	v_dual_mul_f32 v60, 0x3fb8aa3b, v67 :: v_dual_cndmask_b32 v53, 0, v53
	v_fma_f32 v61, 0x3fb8aa3b, v67, -v60
	v_rndne_f32_e32 v64, v60
	v_cmp_nlt_f32_e32 vcc_lo, 0x42b17218, v62
	s_delay_alu instid0(VALU_DEP_2)
	v_dual_fmac_f32 v61, 0x32a5705f, v67 :: v_dual_sub_f32 v54, v60, v64
	s_wait_alu 0xfffd
	v_cndmask_b32_e32 v53, 0x7f800000, v53, vcc_lo
	v_cvt_i32_f32_e32 v64, v64
	v_cmp_ngt_f32_e32 vcc_lo, 0xc2ce8ed0, v67
	v_sub_f32_e32 v60, v102, v6
	v_add_f32_e32 v54, v54, v61
	v_cvt_f16_f32_e32 v99, v53
	s_delay_alu instid0(VALU_DEP_2) | instskip(NEXT) | instid1(TRANS32_DEP_1)
	v_exp_f32_e32 v54, v54
	v_ldexp_f32 v54, v54, v64
	v_fma_f32 v64, 0x3fb8aa3b, v94, -v84
	s_wait_alu 0xfffd
	s_delay_alu instid0(VALU_DEP_2) | instskip(NEXT) | instid1(VALU_DEP_2)
	v_cndmask_b32_e32 v54, 0, v54, vcc_lo
	v_fmac_f32_e32 v64, 0x32a5705f, v94
	v_mul_f32_e32 v66, 0x3fb8aa3b, v59
	v_cmp_ngt_f32_e32 vcc_lo, 0xc2ce8ed0, v59
	s_delay_alu instid0(VALU_DEP_2) | instskip(SKIP_1) | instid1(VALU_DEP_2)
	v_fma_f32 v55, 0x3fb8aa3b, v59, -v66
	v_rndne_f32_e32 v56, v66
	v_fmac_f32_e32 v55, 0x32a5705f, v59
	s_delay_alu instid0(VALU_DEP_2) | instskip(SKIP_1) | instid1(VALU_DEP_2)
	v_sub_f32_e32 v61, v66, v56
	v_cvt_i32_f32_e32 v56, v56
	v_add_f32_e32 v55, v61, v55
	s_delay_alu instid0(VALU_DEP_1) | instskip(NEXT) | instid1(TRANS32_DEP_1)
	v_exp_f32_e32 v55, v55
	v_ldexp_f32 v55, v55, v56
	s_wait_alu 0xfffd
	s_delay_alu instid0(VALU_DEP_1) | instskip(NEXT) | instid1(VALU_DEP_1)
	v_dual_mul_f32 v66, 0x3fb8aa3b, v60 :: v_dual_cndmask_b32 v55, 0, v55
	v_fma_f32 v61, 0x3fb8aa3b, v60, -v66
	v_rndne_f32_e32 v62, v66
	v_cmp_nlt_f32_e32 vcc_lo, 0x42b17218, v67
	s_delay_alu instid0(VALU_DEP_2)
	v_dual_fmac_f32 v61, 0x32a5705f, v60 :: v_dual_sub_f32 v66, v66, v62
	s_wait_alu 0xfffd
	v_cndmask_b32_e32 v54, 0x7f800000, v54, vcc_lo
	v_cmp_nlt_f32_e32 vcc_lo, 0x42b17218, v59
	v_cvt_i32_f32_e32 v62, v62
	v_add_f32_e32 v61, v66, v61
	v_rndne_f32_e32 v66, v84
	v_cvt_f16_f32_e32 v59, v54
	s_delay_alu instid0(VALU_DEP_3) | instskip(NEXT) | instid1(VALU_DEP_2)
	v_exp_f32_e32 v56, v61
	v_sub_f32_e32 v61, v84, v66
	v_add_f32_e32 v84, v53, v54
	s_delay_alu instid0(VALU_DEP_3) | instskip(SKIP_1) | instid1(VALU_DEP_3)
	v_pack_b32_f16 v59, v85, v59
	s_wait_alu 0xfffd
	v_dual_add_f32 v61, v61, v64 :: v_dual_cndmask_b32 v64, 0x7f800000, v55
	v_cmp_ngt_f32_e32 vcc_lo, 0xc2ce8ed0, v60
	s_delay_alu instid0(TRANS32_DEP_1) | instskip(NEXT) | instid1(VALU_DEP_3)
	v_ldexp_f32 v53, v56, v62
	v_exp_f32_e32 v54, v61
	v_cvt_i32_f32_e32 v61, v66
	v_sub_f32_e32 v56, v63, v6
	v_cvt_f16_f32_e32 v55, v64
	s_wait_alu 0xfffd
	v_cndmask_b32_e32 v53, 0, v53, vcc_lo
	v_cmp_nlt_f32_e32 vcc_lo, 0x42b17218, v60
	s_delay_alu instid0(VALU_DEP_3) | instskip(SKIP_1) | instid1(VALU_DEP_3)
	v_and_b32_e32 v66, 0xffff, v55
	s_wait_alu 0xfffd
	v_cndmask_b32_e32 v63, 0x7f800000, v53, vcc_lo
	v_ldexp_f32 v53, v54, v61
	v_cmp_ngt_f32_e32 vcc_lo, 0xc2ce8ed0, v94
	v_fmac_f32_e32 v84, v10, v64
	s_delay_alu instid0(VALU_DEP_4) | instskip(SKIP_3) | instid1(VALU_DEP_2)
	v_cvt_f16_f32_e32 v60, v63
	s_wait_alu 0xfffd
	v_dual_cndmask_b32 v53, 0, v53 :: v_dual_mul_f32 v54, 0x3fb8aa3b, v56
	v_cmp_nlt_f32_e32 vcc_lo, 0x42b17218, v94
	v_fma_f32 v61, 0x3fb8aa3b, v56, -v54
	s_delay_alu instid0(VALU_DEP_1) | instskip(NEXT) | instid1(VALU_DEP_1)
	v_dual_sub_f32 v62, v98, v7 :: v_dual_fmac_f32 v61, 0x32a5705f, v56
	v_mul_f32_e32 v55, 0x3fb8aa3b, v62
	v_rndne_f32_e32 v100, v54
	s_delay_alu instid0(VALU_DEP_2) | instskip(SKIP_2) | instid1(VALU_DEP_3)
	v_fma_f32 v67, 0x3fb8aa3b, v62, -v55
	v_rndne_f32_e32 v98, v55
	v_sub_f32_e32 v86, v86, v7
	v_dual_sub_f32 v54, v54, v100 :: v_dual_fmac_f32 v67, 0x32a5705f, v62
	s_wait_alu 0xfffd
	s_delay_alu instid0(VALU_DEP_3) | instskip(NEXT) | instid1(VALU_DEP_2)
	v_dual_sub_f32 v55, v55, v98 :: v_dual_cndmask_b32 v94, 0x7f800000, v53
	v_dual_mul_f32 v53, 0x3fb8aa3b, v86 :: v_dual_add_f32 v54, v54, v61
	v_cvt_i32_f32_e32 v61, v98
	s_delay_alu instid0(VALU_DEP_3) | instskip(SKIP_1) | instid1(VALU_DEP_4)
	v_add_f32_e32 v55, v55, v67
	v_mul_f32_e32 v67, 0x3fb8aa3b, v11
	v_fma_f32 v101, 0x3fb8aa3b, v86, -v53
	v_rndne_f32_e32 v102, v53
	v_exp_f32_e32 v54, v54
	v_exp_f32_e32 v55, v55
	v_fma_f32 v111, 0x3fb8aa3b, v11, -v67
	v_rndne_f32_e32 v112, v67
	v_cmp_ngt_f32_e32 vcc_lo, 0xc2ce8ed0, v62
	v_fmac_f32_e32 v101, 0x32a5705f, v86
	v_cvt_f16_f32_e32 v98, v94
	v_fmac_f32_e32 v111, 0x32a5705f, v11
	v_sub_f32_e32 v67, v67, v112
	s_delay_alu instid0(TRANS32_DEP_1) | instskip(NEXT) | instid1(VALU_DEP_2)
	v_ldexp_f32 v55, v55, v61
	v_add_f32_e32 v61, v67, v111
	v_cvt_i32_f32_e32 v67, v100
	v_cvt_i32_f32_e32 v100, v102
	s_wait_alu 0xfffd
	v_cndmask_b32_e32 v55, 0, v55, vcc_lo
	v_cmp_nlt_f32_e32 vcc_lo, 0x42b17218, v62
	v_sub_f32_e32 v53, v53, v102
	v_ldexp_f32 v54, v54, v67
	v_exp_f32_e32 v61, v61
	s_wait_alu 0xfffd
	s_delay_alu instid0(VALU_DEP_2) | instskip(SKIP_2) | instid1(VALU_DEP_3)
	v_dual_cndmask_b32 v62, 0x7f800000, v55 :: v_dual_add_f32 v53, v53, v101
	v_cmp_ngt_f32_e32 vcc_lo, 0xc2ce8ed0, v86
	v_cvt_i32_f32_e32 v55, v112
	v_exp_f32_e32 v53, v53
	s_delay_alu instid0(TRANS32_DEP_2) | instid1(VALU_DEP_1)
	v_ldexp_f32 v55, v61, v55
	v_cvt_f16_f32_e32 v61, v62
	s_delay_alu instid0(TRANS32_DEP_1) | instskip(SKIP_1) | instid1(VALU_DEP_1)
	v_ldexp_f32 v53, v53, v100
	s_wait_alu 0xfffd
	v_cndmask_b32_e32 v53, 0, v53, vcc_lo
	v_cmp_ngt_f32_e32 vcc_lo, 0xc2ce8ed0, v56
	s_wait_alu 0xfffd
	v_cndmask_b32_e32 v54, 0, v54, vcc_lo
	v_cmp_nlt_f32_e32 vcc_lo, 0x42b17218, v86
	s_wait_alu 0xfffd
	v_cndmask_b32_e32 v67, 0x7f800000, v53, vcc_lo
	v_cmp_ngt_f32_e32 vcc_lo, 0xc2ce8ed0, v11
	s_delay_alu instid0(VALU_DEP_2)
	v_cvt_f16_f32_e32 v86, v67
	s_wait_alu 0xfffd
	v_cndmask_b32_e32 v53, 0, v55, vcc_lo
	v_cmp_nlt_f32_e32 vcc_lo, 0x42b17218, v56
	v_pack_b32_f16 v56, v60, v61
	v_pack_b32_f16 v55, v69, v99
	;; [unrolled: 1-line block ×3, first 2 shown]
	v_mul_u32_u24_e32 v61, 0x10001, v66
	s_wait_alu 0xfffd
	v_cndmask_b32_e32 v100, 0x7f800000, v54, vcc_lo
	v_cmp_nlt_f32_e32 vcc_lo, 0x42b17218, v11
	v_pack_b32_f16 v54, v88, v57
	v_pack_b32_f16 v57, v78, v96
	v_add_f32_e32 v86, v63, v94
	v_cvt_f16_f32_e32 v66, v100
	s_wait_alu 0xfffd
	v_cndmask_b32_e32 v11, 0x7f800000, v53, vcc_lo
	v_pack_b32_f16 v53, v89, v95
	ds_store_b128 v45, v[53:56]
	ds_store_b128 v45, v[57:60] offset:512
	s_wait_loadcnt 0x1
	ds_store_b128 v41, v[103:106]
	s_wait_loadcnt 0x0
	ds_store_b128 v42, v[107:110]
	v_cvt_f16_f32_e32 v69, v11
	s_wait_dscnt 0x0
	s_barrier_signal -1
	s_barrier_wait -1
	global_inv scope:SCOPE_SE
	ds_load_b128 v[53:56], v40
	v_and_b32_e32 v57, 0xffff, v66
	v_dual_add_f32 v85, v62, v67 :: v_dual_and_b32 v10, 0xffff, v69
	v_pk_mul_f16 v51, v51, v61
	v_pk_mul_f16 v52, v52, v61
	s_delay_alu instid0(VALU_DEP_4) | instskip(NEXT) | instid1(VALU_DEP_4)
	v_mul_u32_u24_e32 v57, 0x10001, v57
	v_mul_u32_u24_e32 v10, 0x10001, v10
	v_dual_fmac_f32 v86, v9, v100 :: v_dual_fmac_f32 v85, v8, v11
	s_delay_alu instid0(VALU_DEP_3) | instskip(SKIP_1) | instid1(VALU_DEP_4)
	v_pk_mul_f16 v66, v49, v57
	v_pk_mul_f16 v67, v50, v57
	;; [unrolled: 1-line block ×4, first 2 shown]
	ds_load_2addr_b64 v[8:11], v43 offset1:32
	ds_load_b128 v[47:50], v40 offset:16
	ds_load_b128 v[57:60], v40 offset:32
	;; [unrolled: 1-line block ×3, first 2 shown]
	s_wait_dscnt 0x4
	v_lshrrev_b32_e32 v88, 16, v53
	v_and_b32_e32 v53, 0xffff, v53
	v_lshrrev_b32_e32 v89, 16, v54
	v_lshrrev_b32_e32 v90, 16, v55
	;; [unrolled: 1-line block ×3, first 2 shown]
	v_and_b32_e32 v54, 0xffff, v54
	v_and_b32_e32 v55, 0xffff, v55
	;; [unrolled: 1-line block ×3, first 2 shown]
	v_mul_u32_u24_e32 v53, 0x10001, v53
	v_mul_u32_u24_e32 v88, 0x10001, v88
	;; [unrolled: 1-line block ×8, first 2 shown]
	s_wait_dscnt 0x3
	v_pk_fma_f16 v76, v8, v53, v76
	v_pk_fma_f16 v95, v8, v88, v97
	v_pk_fma_f16 v68, v8, v54, v68
	v_pk_fma_f16 v91, v8, v89, v91
	v_pk_fma_f16 v65, v8, v55, v65
	v_pk_fma_f16 v51, v8, v90, v51
	v_pk_fma_f16 v66, v8, v56, v66
	v_pk_fma_f16 v8, v8, v94, v69
	v_pk_fma_f16 v53, v9, v53, v87
	v_pk_fma_f16 v69, v9, v88, v72
	v_pk_fma_f16 v54, v9, v54, v70
	v_pk_fma_f16 v70, v9, v89, v92
	v_pk_fma_f16 v55, v9, v55, v93
	v_pk_fma_f16 v52, v9, v90, v52
	v_pk_fma_f16 v56, v9, v56, v67
	v_pk_fma_f16 v9, v9, v94, v78
	s_wait_dscnt 0x2
	v_lshrrev_b32_e32 v67, 16, v47
	v_and_b32_e32 v47, 0xffff, v47
	v_lshrrev_b32_e32 v72, 16, v48
	v_lshrrev_b32_e32 v78, 16, v49
	;; [unrolled: 1-line block ×3, first 2 shown]
	v_and_b32_e32 v48, 0xffff, v48
	v_and_b32_e32 v49, 0xffff, v49
	v_and_b32_e32 v50, 0xffff, v50
	v_mul_u32_u24_e32 v47, 0x10001, v47
	v_mul_u32_u24_e32 v67, 0x10001, v67
	v_mul_u32_u24_e32 v48, 0x10001, v48
	v_mul_u32_u24_e32 v72, 0x10001, v72
	v_mul_u32_u24_e32 v49, 0x10001, v49
	v_mul_u32_u24_e32 v78, 0x10001, v78
	v_mul_u32_u24_e32 v88, 0x10001, v50
	v_mul_u32_u24_e32 v87, 0x10001, v87
	v_pk_fma_f16 v76, v10, v47, v76
	v_pk_fma_f16 v89, v10, v67, v95
	;; [unrolled: 1-line block ×11, first 2 shown]
	ds_load_2addr_b64 v[47:50], v43 offset0:64 offset1:96
	v_pk_fma_f16 v53, v11, v67, v69
	v_pk_fma_f16 v67, v11, v72, v70
	;; [unrolled: 1-line block ×5, first 2 shown]
	s_wait_dscnt 0x2
	v_lshrrev_b32_e32 v11, 16, v57
	v_and_b32_e32 v57, 0xffff, v57
	v_lshrrev_b32_e32 v69, 16, v58
	v_lshrrev_b32_e32 v70, 16, v59
	;; [unrolled: 1-line block ×3, first 2 shown]
	v_and_b32_e32 v58, 0xffff, v58
	v_and_b32_e32 v59, 0xffff, v59
	;; [unrolled: 1-line block ×3, first 2 shown]
	v_mul_u32_u24_e32 v57, 0x10001, v57
	v_mul_u32_u24_e32 v11, 0x10001, v11
	;; [unrolled: 1-line block ×8, first 2 shown]
	s_wait_dscnt 0x0
	v_pk_fma_f16 v76, v47, v57, v76
	v_pk_fma_f16 v78, v47, v11, v89
	;; [unrolled: 1-line block ×16, first 2 shown]
	v_lshrrev_b32_e32 v8, 16, v61
	v_and_b32_e32 v9, 0xffff, v61
	v_lshrrev_b32_e32 v10, 16, v62
	v_lshrrev_b32_e32 v11, 16, v63
	v_and_b32_e32 v60, 0xffff, v62
	v_mul_u32_u24_e32 v62, 0x10001, v8
	v_mul_u32_u24_e32 v61, 0x10001, v9
	v_and_b32_e32 v9, 0xffff, v63
	v_and_b32_e32 v8, 0xffff, v64
	v_lshrrev_b32_e32 v59, 16, v64
	v_mul_u32_u24_e32 v63, 0x10001, v10
	v_mul_u32_u24_e32 v67, 0x10001, v11
	;; [unrolled: 1-line block ×4, first 2 shown]
	ds_load_b128 v[8:11], v40 offset:64
	v_mul_u32_u24_e32 v60, 0x10001, v60
	v_mul_u32_u24_e32 v59, 0x10001, v59
	v_pk_fma_f16 v70, v49, v61, v76
	v_pk_fma_f16 v72, v49, v62, v78
	;; [unrolled: 1-line block ×14, first 2 shown]
	ds_load_2addr_b64 v[51:54], v43 offset0:128 offset1:160
	v_pk_fma_f16 v56, v50, v69, v56
	v_pk_fma_f16 v59, v50, v59, v48
	ds_load_b128 v[47:50], v40 offset:80
	s_wait_dscnt 0x2
	v_lshrrev_b32_e32 v63, 16, v8
	v_and_b32_e32 v8, 0xffff, v8
	v_lshrrev_b32_e32 v64, 16, v9
	v_and_b32_e32 v9, 0xffff, v9
	v_lshrrev_b32_e32 v67, 16, v10
	v_lshrrev_b32_e32 v69, 16, v11
	v_mul_u32_u24_e32 v8, 0x10001, v8
	v_and_b32_e32 v10, 0xffff, v10
	v_and_b32_e32 v11, 0xffff, v11
	v_mul_u32_u24_e32 v9, 0x10001, v9
	v_mul_u32_u24_e32 v63, 0x10001, v63
	;; [unrolled: 1-line block ×7, first 2 shown]
	s_wait_dscnt 0x1
	v_pk_fma_f16 v70, v51, v8, v70
	v_pk_fma_f16 v68, v51, v9, v68
	;; [unrolled: 1-line block ×4, first 2 shown]
	s_wait_dscnt 0x0
	v_lshrrev_b32_e32 v8, 16, v47
	v_and_b32_e32 v9, 0xffff, v47
	v_pk_fma_f16 v65, v51, v10, v65
	v_pk_fma_f16 v66, v51, v11, v66
	;; [unrolled: 1-line block ×8, first 2 shown]
	v_lshrrev_b32_e32 v10, 16, v48
	v_lshrrev_b32_e32 v11, 16, v49
	v_mul_u32_u24_e32 v59, 0x10001, v9
	v_and_b32_e32 v9, 0xffff, v49
	v_mul_u32_u24_e32 v49, 0x10001, v8
	v_and_b32_e32 v8, 0xffff, v50
	v_pk_fma_f16 v72, v51, v63, v72
	v_pk_fma_f16 v76, v51, v64, v76
	;; [unrolled: 1-line block ×3, first 2 shown]
	v_lshrrev_b32_e32 v47, 16, v50
	v_and_b32_e32 v48, 0xffff, v48
	v_mul_u32_u24_e32 v50, 0x10001, v10
	v_mul_u32_u24_e32 v63, 0x10001, v9
	;; [unrolled: 1-line block ×4, first 2 shown]
	ds_load_b128 v[8:11], v40 offset:96
	v_pk_fma_f16 v51, v51, v69, v87
	v_mul_u32_u24_e32 v48, 0x10001, v48
	v_mul_u32_u24_e32 v69, 0x10001, v47
	v_pk_fma_f16 v70, v53, v59, v70
	v_pk_fma_f16 v72, v53, v49, v72
	;; [unrolled: 1-line block ×14, first 2 shown]
	ds_load_2addr_b64 v[47:50], v43 offset0:192 offset1:224
	v_pk_fma_f16 v56, v54, v67, v56
	v_pk_fma_f16 v62, v54, v69, v52
	ds_load_b128 v[51:54], v40 offset:112
	s_wait_dscnt 0x2
	v_lshrrev_b32_e32 v63, 16, v8
	v_and_b32_e32 v8, 0xffff, v8
	v_lshrrev_b32_e32 v64, 16, v9
	v_and_b32_e32 v9, 0xffff, v9
	v_lshrrev_b32_e32 v67, 16, v10
	v_lshrrev_b32_e32 v69, 16, v11
	v_mul_u32_u24_e32 v8, 0x10001, v8
	v_and_b32_e32 v10, 0xffff, v10
	v_and_b32_e32 v11, 0xffff, v11
	v_mul_u32_u24_e32 v9, 0x10001, v9
	v_mul_u32_u24_e32 v63, 0x10001, v63
	;; [unrolled: 1-line block ×7, first 2 shown]
	s_wait_dscnt 0x1
	v_pk_fma_f16 v70, v47, v8, v70
	v_pk_fma_f16 v68, v47, v9, v68
	;; [unrolled: 1-line block ×4, first 2 shown]
	s_wait_dscnt 0x0
	v_lshrrev_b32_e32 v8, 16, v51
	v_and_b32_e32 v9, 0xffff, v51
	v_pk_fma_f16 v65, v47, v10, v65
	v_pk_fma_f16 v66, v47, v11, v66
	;; [unrolled: 1-line block ×8, first 2 shown]
	v_lshrrev_b32_e32 v10, 16, v52
	v_lshrrev_b32_e32 v11, 16, v53
	;; [unrolled: 1-line block ×3, first 2 shown]
	v_and_b32_e32 v52, 0xffff, v52
	v_mul_u32_u24_e32 v62, 0x10001, v9
	v_and_b32_e32 v9, 0xffff, v53
	v_mul_u32_u24_e32 v53, 0x10001, v8
	v_and_b32_e32 v8, 0xffff, v54
	v_pk_fma_f16 v72, v47, v63, v72
	v_pk_fma_f16 v76, v47, v64, v76
	;; [unrolled: 1-line block ×4, first 2 shown]
	v_mul_u32_u24_e32 v52, 0x10001, v52
	v_mul_u32_u24_e32 v54, 0x10001, v10
	;; [unrolled: 1-line block ×6, first 2 shown]
	ds_load_b128 v[8:11], v40 offset:128
	v_pk_fma_f16 v70, v49, v62, v70
	v_pk_fma_f16 v72, v49, v53, v72
	;; [unrolled: 1-line block ×8, first 2 shown]
	v_add_nc_u32_e32 v47, 0x800, v43
	v_pk_fma_f16 v62, v50, v62, v57
	v_pk_fma_f16 v59, v50, v53, v59
	;; [unrolled: 1-line block ×6, first 2 shown]
	ds_load_2addr_b64 v[51:54], v47 offset1:32
	v_pk_fma_f16 v64, v50, v67, v56
	ds_load_b128 v[55:58], v40 offset:144
	v_pk_fma_f16 v48, v50, v69, v48
	s_wait_dscnt 0x2
	v_lshrrev_b32_e32 v50, 16, v8
	v_and_b32_e32 v8, 0xffff, v8
	v_lshrrev_b32_e32 v67, 16, v9
	v_lshrrev_b32_e32 v69, 16, v10
	;; [unrolled: 1-line block ×3, first 2 shown]
	v_and_b32_e32 v9, 0xffff, v9
	v_and_b32_e32 v10, 0xffff, v10
	;; [unrolled: 1-line block ×3, first 2 shown]
	v_mul_u32_u24_e32 v8, 0x10001, v8
	v_mul_u32_u24_e32 v50, 0x10001, v50
	;; [unrolled: 1-line block ×8, first 2 shown]
	s_wait_dscnt 0x1
	v_pk_fma_f16 v70, v51, v8, v70
	v_pk_fma_f16 v72, v51, v50, v72
	v_pk_fma_f16 v68, v51, v9, v68
	v_pk_fma_f16 v76, v51, v67, v76
	v_pk_fma_f16 v65, v51, v10, v65
	v_pk_fma_f16 v78, v51, v69, v78
	v_pk_fma_f16 v66, v51, v11, v66
	v_pk_fma_f16 v49, v51, v88, v49
	v_pk_fma_f16 v51, v52, v8, v62
	v_pk_fma_f16 v50, v52, v50, v59
	v_pk_fma_f16 v59, v52, v9, v60
	s_wait_dscnt 0x0
	v_lshrrev_b32_e32 v8, 16, v55
	v_and_b32_e32 v9, 0xffff, v55
	v_pk_fma_f16 v62, v52, v10, v63
	v_pk_fma_f16 v63, v52, v11, v64
	v_lshrrev_b32_e32 v10, 16, v56
	v_lshrrev_b32_e32 v11, 16, v57
	v_and_b32_e32 v55, 0xffff, v56
	v_mul_u32_u24_e32 v56, 0x10001, v9
	v_and_b32_e32 v9, 0xffff, v57
	v_mul_u32_u24_e32 v57, 0x10001, v8
	v_and_b32_e32 v8, 0xffff, v58
	v_pk_fma_f16 v60, v52, v67, v87
	v_pk_fma_f16 v61, v52, v69, v61
	;; [unrolled: 1-line block ×3, first 2 shown]
	v_lshrrev_b32_e32 v48, 16, v58
	v_mul_u32_u24_e32 v58, 0x10001, v10
	v_mul_u32_u24_e32 v64, 0x10001, v9
	;; [unrolled: 1-line block ×4, first 2 shown]
	ds_load_b128 v[8:11], v40 offset:160
	v_mul_u32_u24_e32 v55, 0x10001, v55
	v_mul_u32_u24_e32 v87, 0x10001, v48
	v_pk_fma_f16 v70, v53, v56, v70
	v_pk_fma_f16 v72, v53, v57, v72
	;; [unrolled: 1-line block ×14, first 2 shown]
	ds_load_2addr_b64 v[48:51], v47 offset0:64 offset1:96
	v_pk_fma_f16 v62, v54, v69, v63
	v_pk_fma_f16 v63, v54, v87, v52
	ds_load_b128 v[52:55], v40 offset:176
	s_wait_dscnt 0x2
	v_lshrrev_b32_e32 v64, 16, v8
	v_and_b32_e32 v8, 0xffff, v8
	v_lshrrev_b32_e32 v67, 16, v9
	v_and_b32_e32 v9, 0xffff, v9
	v_lshrrev_b32_e32 v69, 16, v10
	v_lshrrev_b32_e32 v87, 16, v11
	v_mul_u32_u24_e32 v8, 0x10001, v8
	v_and_b32_e32 v10, 0xffff, v10
	v_and_b32_e32 v11, 0xffff, v11
	v_mul_u32_u24_e32 v9, 0x10001, v9
	v_mul_u32_u24_e32 v64, 0x10001, v64
	;; [unrolled: 1-line block ×7, first 2 shown]
	s_wait_dscnt 0x1
	v_pk_fma_f16 v70, v48, v8, v70
	v_pk_fma_f16 v68, v48, v9, v68
	;; [unrolled: 1-line block ×4, first 2 shown]
	s_wait_dscnt 0x0
	v_lshrrev_b32_e32 v8, 16, v52
	v_and_b32_e32 v9, 0xffff, v52
	v_pk_fma_f16 v65, v48, v10, v65
	v_pk_fma_f16 v66, v48, v11, v66
	;; [unrolled: 1-line block ×8, first 2 shown]
	v_lshrrev_b32_e32 v10, 16, v53
	v_lshrrev_b32_e32 v11, 16, v54
	v_mul_u32_u24_e32 v63, 0x10001, v9
	v_and_b32_e32 v9, 0xffff, v54
	v_mul_u32_u24_e32 v54, 0x10001, v8
	v_and_b32_e32 v8, 0xffff, v55
	v_pk_fma_f16 v72, v48, v64, v72
	v_pk_fma_f16 v76, v48, v67, v76
	;; [unrolled: 1-line block ×3, first 2 shown]
	v_lshrrev_b32_e32 v52, 16, v55
	v_and_b32_e32 v53, 0xffff, v53
	v_mul_u32_u24_e32 v55, 0x10001, v10
	v_mul_u32_u24_e32 v64, 0x10001, v9
	;; [unrolled: 1-line block ×4, first 2 shown]
	ds_load_b128 v[8:11], v40 offset:192
	v_pk_fma_f16 v48, v48, v87, v88
	v_mul_u32_u24_e32 v53, 0x10001, v53
	v_mul_u32_u24_e32 v87, 0x10001, v52
	v_pk_fma_f16 v70, v50, v63, v70
	v_pk_fma_f16 v72, v50, v54, v72
	;; [unrolled: 1-line block ×14, first 2 shown]
	ds_load_2addr_b64 v[52:55], v47 offset0:128 offset1:160
	v_pk_fma_f16 v62, v51, v69, v62
	v_pk_fma_f16 v63, v51, v87, v49
	ds_load_b128 v[48:51], v40 offset:208
	s_wait_dscnt 0x2
	v_lshrrev_b32_e32 v64, 16, v8
	v_and_b32_e32 v8, 0xffff, v8
	v_lshrrev_b32_e32 v67, 16, v9
	v_and_b32_e32 v9, 0xffff, v9
	v_lshrrev_b32_e32 v69, 16, v10
	v_lshrrev_b32_e32 v87, 16, v11
	v_mul_u32_u24_e32 v8, 0x10001, v8
	v_and_b32_e32 v10, 0xffff, v10
	v_and_b32_e32 v11, 0xffff, v11
	v_mul_u32_u24_e32 v9, 0x10001, v9
	v_mul_u32_u24_e32 v64, 0x10001, v64
	;; [unrolled: 1-line block ×7, first 2 shown]
	s_wait_dscnt 0x1
	v_pk_fma_f16 v70, v52, v8, v70
	v_pk_fma_f16 v68, v52, v9, v68
	;; [unrolled: 1-line block ×4, first 2 shown]
	s_wait_dscnt 0x0
	v_lshrrev_b32_e32 v8, 16, v48
	v_and_b32_e32 v9, 0xffff, v48
	v_pk_fma_f16 v65, v52, v10, v65
	v_pk_fma_f16 v66, v52, v11, v66
	;; [unrolled: 1-line block ×8, first 2 shown]
	v_lshrrev_b32_e32 v10, 16, v49
	v_lshrrev_b32_e32 v11, 16, v50
	v_mul_u32_u24_e32 v63, 0x10001, v9
	v_and_b32_e32 v9, 0xffff, v50
	v_mul_u32_u24_e32 v50, 0x10001, v8
	v_and_b32_e32 v8, 0xffff, v51
	v_pk_fma_f16 v72, v52, v64, v72
	v_pk_fma_f16 v76, v52, v67, v76
	v_pk_fma_f16 v78, v52, v69, v78
	v_lshrrev_b32_e32 v48, 16, v51
	v_and_b32_e32 v49, 0xffff, v49
	v_mul_u32_u24_e32 v51, 0x10001, v10
	v_mul_u32_u24_e32 v64, 0x10001, v9
	v_mul_u32_u24_e32 v67, 0x10001, v11
	v_mul_u32_u24_e32 v69, 0x10001, v8
	ds_load_b128 v[8:11], v40 offset:224
	v_pk_fma_f16 v52, v52, v87, v88
	v_mul_u32_u24_e32 v49, 0x10001, v49
	v_mul_u32_u24_e32 v87, 0x10001, v48
	v_pk_fma_f16 v70, v54, v63, v70
	v_pk_fma_f16 v72, v54, v50, v72
	v_pk_fma_f16 v76, v54, v51, v76
	v_pk_fma_f16 v68, v54, v49, v68
	v_pk_fma_f16 v65, v54, v64, v65
	v_pk_fma_f16 v78, v54, v67, v78
	v_pk_fma_f16 v66, v54, v69, v66
	v_pk_fma_f16 v88, v54, v87, v52
	v_pk_fma_f16 v56, v55, v63, v56
	v_pk_fma_f16 v57, v55, v50, v57
	v_pk_fma_f16 v59, v55, v49, v59
	v_pk_fma_f16 v58, v55, v51, v58
	v_pk_fma_f16 v60, v55, v64, v60
	v_pk_fma_f16 v61, v55, v67, v61
	ds_load_2addr_b64 v[48:51], v47 offset0:192 offset1:224
	v_pk_fma_f16 v62, v55, v69, v62
	v_pk_fma_f16 v63, v55, v87, v53
	ds_load_b128 v[52:55], v40 offset:240
	s_wait_dscnt 0x2
	v_lshrrev_b32_e32 v64, 16, v8
	v_and_b32_e32 v8, 0xffff, v8
	v_lshrrev_b32_e32 v67, 16, v9
	v_and_b32_e32 v9, 0xffff, v9
	v_lshrrev_b32_e32 v69, 16, v10
	v_lshrrev_b32_e32 v87, 16, v11
	v_mul_u32_u24_e32 v8, 0x10001, v8
	v_and_b32_e32 v10, 0xffff, v10
	v_and_b32_e32 v11, 0xffff, v11
	v_mul_u32_u24_e32 v9, 0x10001, v9
	v_mul_u32_u24_e32 v64, 0x10001, v64
	;; [unrolled: 1-line block ×7, first 2 shown]
	s_wait_dscnt 0x1
	v_pk_fma_f16 v70, v48, v8, v70
	v_pk_fma_f16 v68, v48, v9, v68
	;; [unrolled: 1-line block ×4, first 2 shown]
	s_wait_dscnt 0x0
	v_lshrrev_b32_e32 v8, 16, v52
	v_and_b32_e32 v9, 0xffff, v52
	v_pk_fma_f16 v65, v48, v10, v65
	v_pk_fma_f16 v66, v48, v11, v66
	;; [unrolled: 1-line block ×8, first 2 shown]
	v_lshrrev_b32_e32 v10, 16, v53
	v_lshrrev_b32_e32 v11, 16, v54
	;; [unrolled: 1-line block ×3, first 2 shown]
	v_and_b32_e32 v53, 0xffff, v53
	v_mul_u32_u24_e32 v63, 0x10001, v9
	v_and_b32_e32 v9, 0xffff, v54
	v_mul_u32_u24_e32 v54, 0x10001, v8
	v_and_b32_e32 v8, 0xffff, v55
	v_pk_fma_f16 v72, v48, v64, v72
	v_pk_fma_f16 v76, v48, v67, v76
	;; [unrolled: 1-line block ×4, first 2 shown]
	v_mul_u32_u24_e32 v53, 0x10001, v53
	v_mul_u32_u24_e32 v55, 0x10001, v10
	;; [unrolled: 1-line block ×6, first 2 shown]
	ds_load_b128 v[8:11], v40 offset:256
	v_pk_fma_f16 v70, v50, v63, v70
	v_pk_fma_f16 v72, v50, v54, v72
	v_pk_fma_f16 v68, v50, v53, v68
	v_pk_fma_f16 v76, v50, v55, v76
	v_pk_fma_f16 v65, v50, v64, v65
	v_pk_fma_f16 v78, v50, v67, v78
	v_pk_fma_f16 v66, v50, v69, v66
	v_pk_fma_f16 v50, v50, v87, v48
	v_add_nc_u32_e32 v48, 0x1000, v43
	v_pk_fma_f16 v63, v51, v63, v56
	v_pk_fma_f16 v88, v51, v54, v57
	;; [unrolled: 1-line block ×4, first 2 shown]
	ds_load_2addr_b64 v[52:55], v48 offset1:32
	ds_load_b128 v[56:59], v40 offset:272
	v_pk_fma_f16 v60, v51, v64, v60
	v_pk_fma_f16 v61, v51, v67, v61
	;; [unrolled: 1-line block ×4, first 2 shown]
	s_wait_dscnt 0x2
	v_lshrrev_b32_e32 v51, 16, v8
	v_and_b32_e32 v8, 0xffff, v8
	v_lshrrev_b32_e32 v64, 16, v9
	v_lshrrev_b32_e32 v67, 16, v10
	;; [unrolled: 1-line block ×3, first 2 shown]
	v_and_b32_e32 v9, 0xffff, v9
	v_and_b32_e32 v10, 0xffff, v10
	;; [unrolled: 1-line block ×3, first 2 shown]
	v_mul_u32_u24_e32 v8, 0x10001, v8
	v_mul_u32_u24_e32 v51, 0x10001, v51
	;; [unrolled: 1-line block ×8, first 2 shown]
	s_wait_dscnt 0x1
	v_pk_fma_f16 v70, v52, v8, v70
	v_pk_fma_f16 v72, v52, v51, v72
	;; [unrolled: 1-line block ×10, first 2 shown]
	s_wait_dscnt 0x0
	v_lshrrev_b32_e32 v8, 16, v56
	v_and_b32_e32 v9, 0xffff, v56
	v_pk_fma_f16 v60, v53, v10, v60
	v_pk_fma_f16 v62, v53, v11, v62
	v_lshrrev_b32_e32 v10, 16, v57
	v_lshrrev_b32_e32 v11, 16, v58
	v_and_b32_e32 v56, 0xffff, v57
	v_mul_u32_u24_e32 v57, 0x10001, v9
	v_and_b32_e32 v9, 0xffff, v58
	v_mul_u32_u24_e32 v58, 0x10001, v8
	v_and_b32_e32 v8, 0xffff, v59
	v_pk_fma_f16 v51, v53, v51, v88
	v_pk_fma_f16 v64, v53, v64, v90
	;; [unrolled: 1-line block ×4, first 2 shown]
	v_lshrrev_b32_e32 v49, 16, v59
	v_mul_u32_u24_e32 v59, 0x10001, v10
	v_mul_u32_u24_e32 v67, 0x10001, v9
	;; [unrolled: 1-line block ×4, first 2 shown]
	ds_load_b128 v[8:11], v40 offset:288
	v_mul_u32_u24_e32 v56, 0x10001, v56
	v_mul_u32_u24_e32 v88, 0x10001, v49
	v_pk_fma_f16 v70, v54, v57, v70
	v_pk_fma_f16 v72, v54, v58, v72
	;; [unrolled: 1-line block ×14, first 2 shown]
	ds_load_2addr_b64 v[49:52], v48 offset0:64 offset1:96
	v_pk_fma_f16 v62, v55, v87, v62
	v_pk_fma_f16 v64, v55, v88, v53
	ds_load_b128 v[53:56], v40 offset:304
	s_wait_dscnt 0x2
	v_lshrrev_b32_e32 v87, 16, v10
	v_lshrrev_b32_e32 v88, 16, v11
	v_and_b32_e32 v10, 0xffff, v10
	v_and_b32_e32 v11, 0xffff, v11
	v_lshrrev_b32_e32 v67, 16, v8
	v_and_b32_e32 v8, 0xffff, v8
	v_lshrrev_b32_e32 v69, 16, v9
	v_and_b32_e32 v9, 0xffff, v9
	v_mul_u32_u24_e32 v10, 0x10001, v10
	v_mul_u32_u24_e32 v11, 0x10001, v11
	;; [unrolled: 1-line block ×8, first 2 shown]
	s_wait_dscnt 0x1
	v_pk_fma_f16 v65, v49, v10, v65
	v_pk_fma_f16 v66, v49, v11, v66
	;; [unrolled: 1-line block ×4, first 2 shown]
	s_wait_dscnt 0x0
	v_lshrrev_b32_e32 v11, 16, v53
	v_and_b32_e32 v53, 0xffff, v53
	v_pk_fma_f16 v70, v49, v8, v70
	v_pk_fma_f16 v68, v49, v9, v68
	;; [unrolled: 1-line block ×8, first 2 shown]
	v_lshrrev_b32_e32 v61, 16, v54
	v_lshrrev_b32_e32 v62, 16, v55
	v_and_b32_e32 v54, 0xffff, v54
	v_mul_u32_u24_e32 v64, 0x10001, v53
	v_and_b32_e32 v53, 0xffff, v55
	v_and_b32_e32 v55, 0xffff, v56
	v_pk_fma_f16 v72, v49, v67, v72
	v_pk_fma_f16 v76, v49, v69, v76
	;; [unrolled: 1-line block ×3, first 2 shown]
	v_lshrrev_b32_e32 v63, 16, v56
	v_mul_u32_u24_e32 v67, 0x10001, v54
	v_mul_u32_u24_e32 v69, 0x10001, v53
	;; [unrolled: 1-line block ×3, first 2 shown]
	ds_load_b128 v[53:56], v40 offset:320
	v_pk_fma_f16 v49, v49, v88, v89
	v_mul_u32_u24_e32 v11, 0x10001, v11
	v_mul_u32_u24_e32 v61, 0x10001, v61
	;; [unrolled: 1-line block ×4, first 2 shown]
	v_pk_fma_f16 v70, v51, v64, v70
	v_pk_fma_f16 v72, v51, v11, v72
	;; [unrolled: 1-line block ×14, first 2 shown]
	ds_load_2addr_b64 v[8:11], v48 offset0:128 offset1:160
	v_pk_fma_f16 v60, v52, v87, v60
	v_pk_fma_f16 v62, v52, v63, v50
	ds_load_b128 v[49:52], v40 offset:336
	s_wait_dscnt 0x2
	v_lshrrev_b32_e32 v63, 16, v53
	v_and_b32_e32 v53, 0xffff, v53
	v_lshrrev_b32_e32 v69, 16, v54
	v_lshrrev_b32_e32 v87, 16, v55
	;; [unrolled: 1-line block ×3, first 2 shown]
	v_and_b32_e32 v54, 0xffff, v54
	v_and_b32_e32 v55, 0xffff, v55
	;; [unrolled: 1-line block ×3, first 2 shown]
	v_mul_u32_u24_e32 v53, 0x10001, v53
	v_mul_u32_u24_e32 v63, 0x10001, v63
	;; [unrolled: 1-line block ×8, first 2 shown]
	s_wait_dscnt 0x1
	v_pk_fma_f16 v70, v8, v53, v70
	v_pk_fma_f16 v72, v8, v63, v72
	;; [unrolled: 1-line block ×8, first 2 shown]
	s_wait_dscnt 0x0
	v_lshrrev_b32_e32 v8, 16, v49
	v_and_b32_e32 v49, 0xffff, v49
	v_pk_fma_f16 v141, v9, v69, v58
	s_wait_alu 0xfffe
	v_add_co_u32 v69, vcc_lo, s24, v16
	v_pk_fma_f16 v138, v9, v53, v64
	v_mul_u32_u24_e32 v145, 0x10001, v49
	v_lshrrev_b32_e32 v53, 16, v50
	v_and_b32_e32 v50, 0xffff, v50
	v_mul_u32_u24_e32 v146, 0x10001, v8
	v_and_b32_e32 v8, 0xffff, v52
	v_pk_fma_f16 v153, v10, v145, v70
	s_wait_alu 0xfffd
	v_add_co_ci_u32_e64 v70, null, s25, v17, vcc_lo
	v_add_co_u32 v127, vcc_lo, s24, v18
	s_wait_alu 0xfffd
	v_add_co_ci_u32_e64 v128, null, s25, v19, vcc_lo
	v_add_co_u32 v69, vcc_lo, v69, v46
	;; [unrolled: 3-line block ×3, first 2 shown]
	v_pk_fma_f16 v140, v9, v54, v67
	v_pk_fma_f16 v142, v9, v55, v61
	v_lshrrev_b32_e32 v54, 16, v51
	v_lshrrev_b32_e32 v55, 16, v52
	v_and_b32_e32 v49, 0xffff, v51
	v_mul_u32_u24_e32 v147, 0x10001, v50
	v_mul_u32_u24_e32 v151, 0x10001, v8
	v_add_nc_u32_e32 v8, 0x1800, v43
	s_wait_alu 0xfffd
	v_add_co_ci_u32_e64 v132, null, 0, v128, vcc_lo
	v_pk_fma_f16 v139, v9, v63, v57
	v_pk_fma_f16 v143, v9, v87, v59
	;; [unrolled: 1-line block ×4, first 2 shown]
	v_mul_u32_u24_e32 v148, 0x10001, v53
	v_mul_u32_u24_e32 v149, 0x10001, v49
	v_mul_u32_u24_e32 v150, 0x10001, v54
	v_mul_u32_u24_e32 v152, 0x10001, v55
	v_pk_fma_f16 v154, v10, v147, v68
	ds_load_2addr_b64 v[49:52], v48 offset0:192 offset1:224
	ds_load_b128 v[53:56], v40 offset:352
	ds_load_b128 v[57:60], v40 offset:368
	ds_load_2addr_b64 v[61:64], v8 offset1:32
	ds_load_b128 v[65:68], v40 offset:384
	ds_load_b128 v[87:90], v40 offset:400
	ds_load_2addr_b64 v[91:94], v8 offset0:64 offset1:96
	ds_load_b128 v[95:98], v40 offset:416
	ds_load_b128 v[99:102], v40 offset:432
	ds_load_2addr_b64 v[103:106], v8 offset0:128 offset1:160
	;; [unrolled: 3-line block ×3, first 2 shown]
	ds_load_b128 v[119:122], v40 offset:480
	ds_load_b128 v[123:126], v40 offset:496
	s_wait_loadcnt_dscnt 0x0
	s_barrier_signal -1
	s_barrier_wait -1
	global_inv scope:SCOPE_SE
	s_clause 0x1
	global_load_b128 v[127:130], v[69:70], off
	global_load_b128 v[131:134], v[131:132], off
	v_pk_fma_f16 v72, v10, v146, v72
	v_pk_fma_f16 v69, v10, v148, v76
	;; [unrolled: 1-line block ×14, first 2 shown]
	v_lshrrev_b32_e32 v11, 16, v53
	v_and_b32_e32 v53, 0xffff, v53
	v_lshrrev_b32_e32 v142, 16, v54
	v_lshrrev_b32_e32 v143, 16, v55
	;; [unrolled: 1-line block ×3, first 2 shown]
	v_and_b32_e32 v54, 0xffff, v54
	v_and_b32_e32 v55, 0xffff, v55
	v_and_b32_e32 v56, 0xffff, v56
	v_mul_u32_u24_e32 v53, 0x10001, v53
	v_mul_u32_u24_e32 v11, 0x10001, v11
	;; [unrolled: 1-line block ×8, first 2 shown]
	v_pk_fma_f16 v145, v49, v53, v153
	v_pk_fma_f16 v72, v49, v11, v72
	;; [unrolled: 1-line block ×16, first 2 shown]
	v_lshrrev_b32_e32 v50, 16, v57
	v_and_b32_e32 v57, 0xffff, v57
	v_lshrrev_b32_e32 v136, 16, v58
	v_lshrrev_b32_e32 v137, 16, v59
	;; [unrolled: 1-line block ×3, first 2 shown]
	v_and_b32_e32 v58, 0xffff, v58
	v_and_b32_e32 v59, 0xffff, v59
	v_and_b32_e32 v60, 0xffff, v60
	v_mul_u32_u24_e32 v57, 0x10001, v57
	v_mul_u32_u24_e32 v50, 0x10001, v50
	v_mul_u32_u24_e32 v58, 0x10001, v58
	v_mul_u32_u24_e32 v136, 0x10001, v136
	v_mul_u32_u24_e32 v59, 0x10001, v59
	v_mul_u32_u24_e32 v137, 0x10001, v137
	v_mul_u32_u24_e32 v60, 0x10001, v60
	v_mul_u32_u24_e32 v138, 0x10001, v138
	v_pk_fma_f16 v139, v51, v57, v145
	v_pk_fma_f16 v72, v51, v50, v72
	;; [unrolled: 1-line block ×16, first 2 shown]
	v_lshrrev_b32_e32 v52, 16, v65
	v_and_b32_e32 v56, 0xffff, v65
	v_lshrrev_b32_e32 v57, 16, v66
	v_lshrrev_b32_e32 v58, 16, v67
	v_and_b32_e32 v60, 0xffff, v66
	v_and_b32_e32 v65, 0xffff, v67
	;; [unrolled: 1-line block ×3, first 2 shown]
	v_lshrrev_b32_e32 v59, 16, v68
	v_mul_u32_u24_e32 v56, 0x10001, v56
	v_mul_u32_u24_e32 v52, 0x10001, v52
	;; [unrolled: 1-line block ×8, first 2 shown]
	v_pk_fma_f16 v67, v61, v56, v139
	v_pk_fma_f16 v68, v61, v52, v72
	;; [unrolled: 1-line block ×9, first 2 shown]
	v_lshrrev_b32_e32 v55, 16, v87
	v_and_b32_e32 v56, 0xffff, v87
	v_and_b32_e32 v60, 0xffff, v88
	v_pk_fma_f16 v69, v61, v57, v69
	v_pk_fma_f16 v70, v61, v65, v70
	;; [unrolled: 1-line block ×7, first 2 shown]
	v_lshrrev_b32_e32 v57, 16, v88
	v_mul_u32_u24_e32 v56, 0x10001, v56
	v_and_b32_e32 v61, 0xffff, v89
	v_mul_u32_u24_e32 v55, 0x10001, v55
	v_and_b32_e32 v62, 0xffff, v90
	v_mul_u32_u24_e32 v60, 0x10001, v60
	v_lshrrev_b32_e32 v58, 16, v89
	v_lshrrev_b32_e32 v59, 16, v90
	v_mul_u32_u24_e32 v57, 0x10001, v57
	v_mul_u32_u24_e32 v61, 0x10001, v61
	;; [unrolled: 1-line block ×3, first 2 shown]
	v_pk_fma_f16 v65, v63, v56, v67
	v_pk_fma_f16 v66, v63, v55, v68
	;; [unrolled: 1-line block ×6, first 2 shown]
	v_lshrrev_b32_e32 v55, 16, v95
	v_and_b32_e32 v56, 0xffff, v95
	v_and_b32_e32 v60, 0xffff, v96
	v_mul_u32_u24_e32 v58, 0x10001, v58
	v_mul_u32_u24_e32 v59, 0x10001, v59
	v_pk_fma_f16 v68, v63, v57, v69
	v_pk_fma_f16 v69, v63, v61, v70
	;; [unrolled: 1-line block ×6, first 2 shown]
	v_lshrrev_b32_e32 v57, 16, v96
	v_mul_u32_u24_e32 v56, 0x10001, v56
	v_and_b32_e32 v61, 0xffff, v97
	v_mul_u32_u24_e32 v55, 0x10001, v55
	v_and_b32_e32 v62, 0xffff, v98
	v_mul_u32_u24_e32 v60, 0x10001, v60
	v_pk_fma_f16 v70, v63, v58, v76
	v_pk_fma_f16 v10, v63, v59, v10
	;; [unrolled: 1-line block ×4, first 2 shown]
	v_mul_u32_u24_e32 v57, 0x10001, v57
	v_mul_u32_u24_e32 v61, 0x10001, v61
	;; [unrolled: 1-line block ×3, first 2 shown]
	v_pk_fma_f16 v63, v91, v56, v65
	v_pk_fma_f16 v64, v91, v55, v66
	;; [unrolled: 1-line block ×6, first 2 shown]
	v_lshrrev_b32_e32 v55, 16, v99
	v_and_b32_e32 v56, 0xffff, v99
	v_and_b32_e32 v60, 0xffff, v100
	v_lshrrev_b32_e32 v58, 16, v97
	v_lshrrev_b32_e32 v59, 16, v98
	v_pk_fma_f16 v66, v91, v57, v68
	v_pk_fma_f16 v67, v91, v61, v69
	v_pk_fma_f16 v69, v91, v62, v72
	v_pk_fma_f16 v51, v92, v57, v51
	v_pk_fma_f16 v52, v92, v61, v52
	v_pk_fma_f16 v54, v92, v62, v54
	v_lshrrev_b32_e32 v57, 16, v100
	v_mul_u32_u24_e32 v56, 0x10001, v56
	v_and_b32_e32 v61, 0xffff, v101
	v_mul_u32_u24_e32 v55, 0x10001, v55
	v_and_b32_e32 v62, 0xffff, v102
	v_mul_u32_u24_e32 v60, 0x10001, v60
	v_mul_u32_u24_e32 v58, 0x10001, v58
	v_mul_u32_u24_e32 v59, 0x10001, v59
	v_mul_u32_u24_e32 v57, 0x10001, v57
	v_mul_u32_u24_e32 v61, 0x10001, v61
	v_mul_u32_u24_e32 v62, 0x10001, v62
	v_pk_fma_f16 v63, v93, v56, v63
	v_pk_fma_f16 v64, v93, v55, v64
	v_pk_fma_f16 v65, v93, v60, v65
	v_pk_fma_f16 v49, v94, v56, v49
	v_pk_fma_f16 v11, v94, v55, v11
	v_pk_fma_f16 v50, v94, v60, v50
	v_lshrrev_b32_e32 v55, 16, v107
	v_and_b32_e32 v56, 0xffff, v107
	v_and_b32_e32 v60, 0xffff, v108
	v_pk_fma_f16 v68, v91, v58, v70
	v_pk_fma_f16 v10, v91, v59, v10
	v_pk_fma_f16 v53, v92, v58, v53
	v_pk_fma_f16 v9, v92, v59, v9
	v_lshrrev_b32_e32 v58, 16, v101
	v_lshrrev_b32_e32 v59, 16, v102
	v_pk_fma_f16 v66, v93, v57, v66
	v_pk_fma_f16 v67, v93, v61, v67
	v_pk_fma_f16 v69, v93, v62, v69
	v_pk_fma_f16 v51, v94, v57, v51
	v_pk_fma_f16 v52, v94, v61, v52
	v_pk_fma_f16 v54, v94, v62, v54
	v_lshrrev_b32_e32 v57, 16, v108
	v_mul_u32_u24_e32 v56, 0x10001, v56
	v_and_b32_e32 v61, 0xffff, v109
	v_mul_u32_u24_e32 v55, 0x10001, v55
	v_and_b32_e32 v62, 0xffff, v110
	v_mul_u32_u24_e32 v60, 0x10001, v60
	v_mul_u32_u24_e32 v58, 0x10001, v58
	v_mul_u32_u24_e32 v59, 0x10001, v59
	v_mul_u32_u24_e32 v57, 0x10001, v57
	v_mul_u32_u24_e32 v61, 0x10001, v61
	v_mul_u32_u24_e32 v62, 0x10001, v62
	v_pk_fma_f16 v63, v103, v56, v63
	v_pk_fma_f16 v64, v103, v55, v64
	v_pk_fma_f16 v65, v103, v60, v65
	v_pk_fma_f16 v49, v104, v56, v49
	v_pk_fma_f16 v11, v104, v55, v11
	v_pk_fma_f16 v50, v104, v60, v50
	v_lshrrev_b32_e32 v55, 16, v111
	v_and_b32_e32 v56, 0xffff, v111
	v_and_b32_e32 v60, 0xffff, v112
	v_pk_fma_f16 v68, v93, v58, v68
	v_pk_fma_f16 v10, v93, v59, v10
	v_pk_fma_f16 v53, v94, v58, v53
	v_pk_fma_f16 v9, v94, v59, v9
	;; [unrolled: 32-line block ×3, first 2 shown]
	v_lshrrev_b32_e32 v58, 16, v113
	v_lshrrev_b32_e32 v59, 16, v114
	v_pk_fma_f16 v66, v105, v57, v66
	v_pk_fma_f16 v67, v105, v61, v67
	;; [unrolled: 1-line block ×6, first 2 shown]
	v_lshrrev_b32_e32 v57, 16, v120
	v_mul_u32_u24_e32 v56, 0x10001, v56
	v_and_b32_e32 v61, 0xffff, v121
	v_mul_u32_u24_e32 v55, 0x10001, v55
	v_and_b32_e32 v62, 0xffff, v122
	v_mul_u32_u24_e32 v60, 0x10001, v60
	v_mul_u32_u24_e32 v58, 0x10001, v58
	;; [unrolled: 1-line block ×6, first 2 shown]
	v_pk_fma_f16 v63, v115, v56, v63
	v_pk_fma_f16 v64, v115, v55, v64
	;; [unrolled: 1-line block ×5, first 2 shown]
	v_lshrrev_b32_e32 v49, 16, v123
	v_and_b32_e32 v50, 0xffff, v123
	v_pk_fma_f16 v68, v105, v58, v68
	v_pk_fma_f16 v10, v105, v59, v10
	;; [unrolled: 1-line block ×4, first 2 shown]
	v_lshrrev_b32_e32 v58, 16, v121
	v_lshrrev_b32_e32 v59, 16, v122
	v_pk_fma_f16 v65, v115, v60, v65
	v_pk_fma_f16 v66, v115, v57, v66
	;; [unrolled: 1-line block ×7, first 2 shown]
	v_lshrrev_b32_e32 v51, 16, v124
	v_lshrrev_b32_e32 v52, 16, v125
	v_mul_u32_u24_e32 v61, 0x10001, v50
	v_and_b32_e32 v50, 0xffff, v125
	v_mul_u32_u24_e32 v62, 0x10001, v49
	v_and_b32_e32 v49, 0xffff, v126
	v_mul_u32_u24_e32 v58, 0x10001, v58
	v_mul_u32_u24_e32 v59, 0x10001, v59
	v_mul_u32_u24_e32 v70, 0x10001, v51
	v_mul_u32_u24_e32 v72, 0x10001, v50
	v_mul_u32_u24_e32 v76, 0x10001, v52
	v_mul_u32_u24_e32 v78, 0x10001, v49
	s_wait_loadcnt 0x1
	ds_store_b128 v41, v[127:130]
	s_wait_loadcnt 0x0
	ds_store_b128 v42, v[131:134]
	s_wait_dscnt 0x0
	s_barrier_signal -1
	s_barrier_wait -1
	global_inv scope:SCOPE_SE
	ds_load_b128 v[49:52], v40 offset:512
	v_pk_fma_f16 v68, v115, v58, v68
	v_pk_fma_f16 v10, v115, v59, v10
	v_pk_fma_f16 v53, v116, v58, v53
	v_pk_fma_f16 v9, v116, v59, v9
	v_lshrrev_b32_e32 v58, 16, v126
	v_and_b32_e32 v59, 0xffff, v124
	v_pk_fma_f16 v87, v117, v61, v63
	v_pk_fma_f16 v88, v117, v62, v64
	;; [unrolled: 1-line block ×3, first 2 shown]
	v_mul_u32_u24_e32 v58, 0x10001, v58
	v_mul_u32_u24_e32 v59, 0x10001, v59
	v_pk_fma_f16 v91, v117, v72, v67
	v_pk_fma_f16 v92, v117, v76, v68
	;; [unrolled: 1-line block ×13, first 2 shown]
	ds_load_2addr_b64 v[53:56], v43 offset1:32
	ds_load_b128 v[57:60], v40 offset:528
	ds_load_b128 v[61:64], v40 offset:544
	;; [unrolled: 1-line block ×3, first 2 shown]
	s_wait_dscnt 0x4
	v_lshrrev_b32_e32 v95, 16, v49
	v_and_b32_e32 v49, 0xffff, v49
	v_lshrrev_b32_e32 v96, 16, v50
	v_lshrrev_b32_e32 v97, 16, v51
	;; [unrolled: 1-line block ×3, first 2 shown]
	v_and_b32_e32 v50, 0xffff, v50
	v_and_b32_e32 v51, 0xffff, v51
	;; [unrolled: 1-line block ×3, first 2 shown]
	v_mul_u32_u24_e32 v49, 0x10001, v49
	v_mul_u32_u24_e32 v95, 0x10001, v95
	;; [unrolled: 1-line block ×8, first 2 shown]
	s_wait_dscnt 0x3
	v_pk_fma_f16 v87, v53, v49, v87
	v_pk_fma_f16 v88, v53, v95, v88
	;; [unrolled: 1-line block ×16, first 2 shown]
	s_wait_dscnt 0x2
	v_lshrrev_b32_e32 v52, 16, v57
	v_and_b32_e32 v54, 0xffff, v57
	v_lshrrev_b32_e32 v57, 16, v58
	v_lshrrev_b32_e32 v76, 16, v59
	;; [unrolled: 1-line block ×3, first 2 shown]
	v_and_b32_e32 v58, 0xffff, v58
	v_and_b32_e32 v59, 0xffff, v59
	;; [unrolled: 1-line block ×3, first 2 shown]
	v_mul_u32_u24_e32 v54, 0x10001, v54
	v_mul_u32_u24_e32 v52, 0x10001, v52
	v_mul_u32_u24_e32 v58, 0x10001, v58
	v_mul_u32_u24_e32 v57, 0x10001, v57
	v_mul_u32_u24_e32 v59, 0x10001, v59
	v_mul_u32_u24_e32 v76, 0x10001, v76
	v_mul_u32_u24_e32 v60, 0x10001, v60
	v_mul_u32_u24_e32 v78, 0x10001, v78
	v_pk_fma_f16 v87, v55, v54, v87
	v_pk_fma_f16 v88, v55, v52, v88
	v_pk_fma_f16 v89, v55, v58, v89
	v_pk_fma_f16 v90, v55, v57, v90
	v_pk_fma_f16 v91, v55, v59, v91
	v_pk_fma_f16 v92, v55, v76, v92
	v_pk_fma_f16 v69, v55, v60, v69
	v_pk_fma_f16 v10, v55, v78, v10
	v_pk_fma_f16 v54, v56, v54, v49
	v_pk_fma_f16 v11, v56, v52, v11
	v_pk_fma_f16 v55, v56, v58, v50
	v_pk_fma_f16 v53, v56, v57, v53
	v_pk_fma_f16 v57, v56, v59, v51
	ds_load_2addr_b64 v[49:52], v43 offset0:64 offset1:96
	v_pk_fma_f16 v58, v56, v76, v70
	v_pk_fma_f16 v59, v56, v60, v72
	v_pk_fma_f16 v9, v56, v78, v9
	s_wait_dscnt 0x2
	v_lshrrev_b32_e32 v56, 16, v61
	v_and_b32_e32 v60, 0xffff, v61
	v_lshrrev_b32_e32 v61, 16, v62
	v_lshrrev_b32_e32 v70, 16, v63
	;; [unrolled: 1-line block ×3, first 2 shown]
	v_and_b32_e32 v62, 0xffff, v62
	v_and_b32_e32 v63, 0xffff, v63
	v_mul_u32_u24_e32 v56, 0x10001, v56
	v_and_b32_e32 v64, 0xffff, v64
	v_mul_u32_u24_e32 v61, 0x10001, v61
	v_mul_u32_u24_e32 v60, 0x10001, v60
	;; [unrolled: 1-line block ×7, first 2 shown]
	s_wait_dscnt 0x0
	v_pk_fma_f16 v78, v49, v56, v88
	v_pk_fma_f16 v88, v49, v61, v90
	;; [unrolled: 1-line block ×3, first 2 shown]
	v_and_b32_e32 v53, 0xffff, v65
	v_pk_fma_f16 v76, v49, v60, v87
	v_pk_fma_f16 v87, v49, v62, v89
	;; [unrolled: 1-line block ×10, first 2 shown]
	v_lshrrev_b32_e32 v54, 16, v66
	v_lshrrev_b32_e32 v55, 16, v67
	v_and_b32_e32 v56, 0xffff, v66
	v_mul_u32_u24_e32 v63, 0x10001, v53
	v_and_b32_e32 v53, 0xffff, v67
	v_pk_fma_f16 v58, v50, v70, v58
	v_pk_fma_f16 v62, v50, v64, v59
	;; [unrolled: 1-line block ×3, first 2 shown]
	v_lshrrev_b32_e32 v50, 16, v65
	v_lshrrev_b32_e32 v59, 16, v68
	v_and_b32_e32 v64, 0xffff, v68
	v_mul_u32_u24_e32 v65, 0x10001, v56
	v_mul_u32_u24_e32 v66, 0x10001, v54
	;; [unrolled: 1-line block ×4, first 2 shown]
	ds_load_b128 v[53:56], v40 offset:576
	v_mul_u32_u24_e32 v50, 0x10001, v50
	v_mul_u32_u24_e32 v64, 0x10001, v64
	v_mul_u32_u24_e32 v70, 0x10001, v59
	v_pk_fma_f16 v72, v51, v63, v76
	v_pk_fma_f16 v63, v52, v63, v49
	;; [unrolled: 1-line block ×14, first 2 shown]
	ds_load_2addr_b64 v[57:60], v43 offset0:128 offset1:160
	v_pk_fma_f16 v62, v52, v64, v62
	v_pk_fma_f16 v9, v52, v70, v9
	ds_load_b128 v[49:52], v40 offset:592
	s_wait_dscnt 0x2
	v_lshrrev_b32_e32 v90, 16, v56
	v_and_b32_e32 v56, 0xffff, v56
	v_lshrrev_b32_e32 v64, 16, v53
	v_and_b32_e32 v53, 0xffff, v53
	v_lshrrev_b32_e32 v68, 16, v54
	v_lshrrev_b32_e32 v70, 16, v55
	v_and_b32_e32 v54, 0xffff, v54
	v_and_b32_e32 v55, 0xffff, v55
	v_mul_u32_u24_e32 v56, 0x10001, v56
	v_mul_u32_u24_e32 v53, 0x10001, v53
	;; [unrolled: 1-line block ×8, first 2 shown]
	s_wait_dscnt 0x1
	v_pk_fma_f16 v69, v57, v56, v69
	v_pk_fma_f16 v62, v58, v56, v62
	;; [unrolled: 1-line block ×3, first 2 shown]
	s_wait_dscnt 0x0
	v_lshrrev_b32_e32 v56, 16, v49
	v_and_b32_e32 v49, 0xffff, v49
	v_pk_fma_f16 v76, v57, v64, v76
	v_pk_fma_f16 v78, v57, v54, v78
	;; [unrolled: 1-line block ×13, first 2 shown]
	v_lshrrev_b32_e32 v58, 16, v50
	v_lshrrev_b32_e32 v63, 16, v51
	v_and_b32_e32 v50, 0xffff, v50
	v_mul_u32_u24_e32 v65, 0x10001, v49
	v_and_b32_e32 v49, 0xffff, v51
	v_and_b32_e32 v51, 0xffff, v52
	v_lshrrev_b32_e32 v64, 16, v52
	v_mul_u32_u24_e32 v66, 0x10001, v50
	v_mul_u32_u24_e32 v56, 0x10001, v56
	;; [unrolled: 1-line block ×4, first 2 shown]
	ds_load_b128 v[49:52], v40 offset:608
	v_mul_u32_u24_e32 v58, 0x10001, v58
	v_mul_u32_u24_e32 v63, 0x10001, v63
	;; [unrolled: 1-line block ×3, first 2 shown]
	v_pk_fma_f16 v70, v59, v65, v72
	v_pk_fma_f16 v72, v59, v56, v76
	v_pk_fma_f16 v76, v59, v66, v78
	v_pk_fma_f16 v78, v59, v58, v87
	v_pk_fma_f16 v87, v59, v67, v88
	v_pk_fma_f16 v88, v59, v63, v89
	v_pk_fma_f16 v69, v59, v68, v69
	v_pk_fma_f16 v10, v59, v64, v10
	v_pk_fma_f16 v65, v60, v65, v53
	v_pk_fma_f16 v11, v60, v56, v11
	v_pk_fma_f16 v66, v60, v66, v54
	v_pk_fma_f16 v89, v60, v58, v57
	v_pk_fma_f16 v67, v60, v67, v55
	v_pk_fma_f16 v61, v60, v63, v61
	ds_load_2addr_b64 v[53:56], v43 offset0:192 offset1:224
	v_pk_fma_f16 v62, v60, v68, v62
	v_pk_fma_f16 v9, v60, v64, v9
	ds_load_b128 v[57:60], v40 offset:624
	s_wait_dscnt 0x2
	v_lshrrev_b32_e32 v63, 16, v49
	v_and_b32_e32 v49, 0xffff, v49
	v_lshrrev_b32_e32 v64, 16, v50
	v_lshrrev_b32_e32 v68, 16, v51
	;; [unrolled: 1-line block ×3, first 2 shown]
	v_and_b32_e32 v50, 0xffff, v50
	v_and_b32_e32 v51, 0xffff, v51
	;; [unrolled: 1-line block ×3, first 2 shown]
	v_mul_u32_u24_e32 v49, 0x10001, v49
	v_mul_u32_u24_e32 v63, 0x10001, v63
	;; [unrolled: 1-line block ×8, first 2 shown]
	s_wait_dscnt 0x1
	v_pk_fma_f16 v70, v53, v49, v70
	v_pk_fma_f16 v72, v53, v63, v72
	;; [unrolled: 1-line block ×11, first 2 shown]
	s_wait_dscnt 0x0
	v_lshrrev_b32_e32 v49, 16, v57
	v_and_b32_e32 v50, 0xffff, v57
	v_pk_fma_f16 v65, v54, v51, v67
	v_pk_fma_f16 v62, v54, v52, v62
	v_lshrrev_b32_e32 v51, 16, v58
	v_lshrrev_b32_e32 v52, 16, v59
	v_and_b32_e32 v57, 0xffff, v58
	v_mul_u32_u24_e32 v58, 0x10001, v50
	v_and_b32_e32 v50, 0xffff, v59
	v_mul_u32_u24_e32 v59, 0x10001, v49
	v_and_b32_e32 v49, 0xffff, v60
	v_pk_fma_f16 v64, v54, v64, v89
	v_pk_fma_f16 v61, v54, v68, v61
	;; [unrolled: 1-line block ×3, first 2 shown]
	v_lshrrev_b32_e32 v54, 16, v60
	v_mul_u32_u24_e32 v60, 0x10001, v51
	v_mul_u32_u24_e32 v66, 0x10001, v50
	;; [unrolled: 1-line block ×4, first 2 shown]
	ds_load_b128 v[49:52], v40 offset:640
	v_mul_u32_u24_e32 v57, 0x10001, v57
	v_mul_u32_u24_e32 v54, 0x10001, v54
	v_pk_fma_f16 v70, v55, v58, v70
	v_pk_fma_f16 v72, v55, v59, v72
	;; [unrolled: 1-line block ×14, first 2 shown]
	ds_load_2addr_b64 v[57:60], v47 offset1:32
	v_pk_fma_f16 v62, v56, v68, v62
	v_pk_fma_f16 v9, v56, v54, v9
	ds_load_b128 v[53:56], v40 offset:656
	s_wait_dscnt 0x2
	v_lshrrev_b32_e32 v66, 16, v49
	v_and_b32_e32 v49, 0xffff, v49
	v_lshrrev_b32_e32 v67, 16, v50
	v_lshrrev_b32_e32 v68, 16, v51
	;; [unrolled: 1-line block ×3, first 2 shown]
	v_and_b32_e32 v50, 0xffff, v50
	v_and_b32_e32 v51, 0xffff, v51
	;; [unrolled: 1-line block ×3, first 2 shown]
	v_mul_u32_u24_e32 v49, 0x10001, v49
	v_mul_u32_u24_e32 v66, 0x10001, v66
	;; [unrolled: 1-line block ×8, first 2 shown]
	s_wait_dscnt 0x1
	v_pk_fma_f16 v70, v57, v49, v70
	v_pk_fma_f16 v72, v57, v66, v72
	;; [unrolled: 1-line block ×10, first 2 shown]
	s_wait_dscnt 0x0
	v_lshrrev_b32_e32 v49, 16, v53
	v_and_b32_e32 v50, 0xffff, v53
	v_pk_fma_f16 v11, v58, v66, v11
	v_pk_fma_f16 v64, v58, v67, v64
	;; [unrolled: 1-line block ×6, first 2 shown]
	v_lshrrev_b32_e32 v51, 16, v54
	v_lshrrev_b32_e32 v52, 16, v55
	v_mul_u32_u24_e32 v58, 0x10001, v50
	v_and_b32_e32 v50, 0xffff, v55
	v_mul_u32_u24_e32 v55, 0x10001, v49
	v_and_b32_e32 v49, 0xffff, v56
	v_lshrrev_b32_e32 v53, 16, v56
	v_and_b32_e32 v54, 0xffff, v54
	v_mul_u32_u24_e32 v56, 0x10001, v51
	v_mul_u32_u24_e32 v66, 0x10001, v50
	;; [unrolled: 1-line block ×4, first 2 shown]
	ds_load_b128 v[49:52], v40 offset:672
	v_mul_u32_u24_e32 v54, 0x10001, v54
	v_mul_u32_u24_e32 v89, 0x10001, v53
	v_pk_fma_f16 v70, v59, v58, v70
	v_pk_fma_f16 v72, v59, v55, v72
	;; [unrolled: 1-line block ×14, first 2 shown]
	ds_load_2addr_b64 v[53:56], v47 offset0:64 offset1:96
	v_pk_fma_f16 v62, v60, v68, v62
	v_pk_fma_f16 v9, v60, v89, v9
	ds_load_b128 v[57:60], v40 offset:688
	s_wait_dscnt 0x2
	v_lshrrev_b32_e32 v66, 16, v49
	v_and_b32_e32 v49, 0xffff, v49
	v_lshrrev_b32_e32 v67, 16, v50
	v_lshrrev_b32_e32 v68, 16, v51
	;; [unrolled: 1-line block ×3, first 2 shown]
	v_and_b32_e32 v50, 0xffff, v50
	v_and_b32_e32 v51, 0xffff, v51
	;; [unrolled: 1-line block ×3, first 2 shown]
	v_mul_u32_u24_e32 v49, 0x10001, v49
	v_mul_u32_u24_e32 v66, 0x10001, v66
	;; [unrolled: 1-line block ×8, first 2 shown]
	s_wait_dscnt 0x1
	v_pk_fma_f16 v70, v53, v49, v70
	v_pk_fma_f16 v72, v53, v66, v72
	;; [unrolled: 1-line block ×10, first 2 shown]
	s_wait_dscnt 0x0
	v_lshrrev_b32_e32 v49, 16, v57
	v_and_b32_e32 v50, 0xffff, v57
	v_pk_fma_f16 v65, v54, v51, v65
	v_pk_fma_f16 v62, v54, v52, v62
	v_lshrrev_b32_e32 v51, 16, v58
	v_lshrrev_b32_e32 v52, 16, v59
	v_and_b32_e32 v57, 0xffff, v58
	v_mul_u32_u24_e32 v58, 0x10001, v50
	v_and_b32_e32 v50, 0xffff, v59
	v_mul_u32_u24_e32 v59, 0x10001, v49
	v_and_b32_e32 v49, 0xffff, v60
	v_pk_fma_f16 v11, v54, v66, v11
	v_pk_fma_f16 v64, v54, v67, v64
	;; [unrolled: 1-line block ×4, first 2 shown]
	v_lshrrev_b32_e32 v54, 16, v60
	v_mul_u32_u24_e32 v60, 0x10001, v51
	v_mul_u32_u24_e32 v66, 0x10001, v50
	;; [unrolled: 1-line block ×4, first 2 shown]
	ds_load_b128 v[49:52], v40 offset:704
	v_mul_u32_u24_e32 v57, 0x10001, v57
	v_mul_u32_u24_e32 v54, 0x10001, v54
	v_pk_fma_f16 v70, v55, v58, v70
	v_pk_fma_f16 v72, v55, v59, v72
	;; [unrolled: 1-line block ×14, first 2 shown]
	ds_load_2addr_b64 v[57:60], v47 offset0:128 offset1:160
	v_pk_fma_f16 v62, v56, v68, v62
	v_pk_fma_f16 v9, v56, v54, v9
	ds_load_b128 v[53:56], v40 offset:720
	s_wait_dscnt 0x2
	v_lshrrev_b32_e32 v66, 16, v49
	v_and_b32_e32 v49, 0xffff, v49
	v_lshrrev_b32_e32 v67, 16, v50
	v_lshrrev_b32_e32 v68, 16, v51
	;; [unrolled: 1-line block ×3, first 2 shown]
	v_and_b32_e32 v50, 0xffff, v50
	v_and_b32_e32 v51, 0xffff, v51
	;; [unrolled: 1-line block ×3, first 2 shown]
	v_mul_u32_u24_e32 v49, 0x10001, v49
	v_mul_u32_u24_e32 v66, 0x10001, v66
	;; [unrolled: 1-line block ×8, first 2 shown]
	s_wait_dscnt 0x1
	v_pk_fma_f16 v70, v57, v49, v70
	v_pk_fma_f16 v72, v57, v66, v72
	;; [unrolled: 1-line block ×10, first 2 shown]
	s_wait_dscnt 0x0
	v_lshrrev_b32_e32 v49, 16, v53
	v_and_b32_e32 v50, 0xffff, v53
	v_pk_fma_f16 v11, v58, v66, v11
	v_pk_fma_f16 v64, v58, v67, v64
	;; [unrolled: 1-line block ×6, first 2 shown]
	v_lshrrev_b32_e32 v51, 16, v54
	v_lshrrev_b32_e32 v52, 16, v55
	v_mul_u32_u24_e32 v58, 0x10001, v50
	v_and_b32_e32 v50, 0xffff, v55
	v_mul_u32_u24_e32 v55, 0x10001, v49
	v_and_b32_e32 v49, 0xffff, v56
	v_lshrrev_b32_e32 v53, 16, v56
	v_and_b32_e32 v54, 0xffff, v54
	v_mul_u32_u24_e32 v56, 0x10001, v51
	v_mul_u32_u24_e32 v66, 0x10001, v50
	;; [unrolled: 1-line block ×4, first 2 shown]
	ds_load_b128 v[49:52], v40 offset:736
	v_mul_u32_u24_e32 v54, 0x10001, v54
	v_mul_u32_u24_e32 v89, 0x10001, v53
	v_pk_fma_f16 v70, v59, v58, v70
	v_pk_fma_f16 v72, v59, v55, v72
	;; [unrolled: 1-line block ×14, first 2 shown]
	ds_load_2addr_b64 v[53:56], v47 offset0:192 offset1:224
	v_pk_fma_f16 v47, v60, v68, v62
	v_pk_fma_f16 v9, v60, v89, v9
	ds_load_b128 v[57:60], v40 offset:752
	s_wait_dscnt 0x2
	v_lshrrev_b32_e32 v62, 16, v49
	v_and_b32_e32 v49, 0xffff, v49
	v_lshrrev_b32_e32 v66, 16, v50
	v_lshrrev_b32_e32 v67, 16, v51
	;; [unrolled: 1-line block ×3, first 2 shown]
	v_and_b32_e32 v50, 0xffff, v50
	v_and_b32_e32 v51, 0xffff, v51
	;; [unrolled: 1-line block ×3, first 2 shown]
	v_mul_u32_u24_e32 v49, 0x10001, v49
	v_mul_u32_u24_e32 v62, 0x10001, v62
	;; [unrolled: 1-line block ×8, first 2 shown]
	s_wait_dscnt 0x1
	v_pk_fma_f16 v70, v53, v49, v70
	v_pk_fma_f16 v72, v53, v62, v72
	;; [unrolled: 1-line block ×11, first 2 shown]
	s_wait_dscnt 0x0
	v_lshrrev_b32_e32 v49, 16, v57
	v_and_b32_e32 v50, 0xffff, v57
	v_pk_fma_f16 v63, v54, v66, v64
	v_pk_fma_f16 v64, v54, v51, v65
	;; [unrolled: 1-line block ×3, first 2 shown]
	v_lshrrev_b32_e32 v51, 16, v58
	v_lshrrev_b32_e32 v52, 16, v59
	v_and_b32_e32 v57, 0xffff, v58
	v_mul_u32_u24_e32 v58, 0x10001, v50
	v_and_b32_e32 v50, 0xffff, v59
	v_mul_u32_u24_e32 v59, 0x10001, v49
	v_and_b32_e32 v49, 0xffff, v60
	v_pk_fma_f16 v61, v54, v67, v61
	v_pk_fma_f16 v9, v54, v68, v9
	v_lshrrev_b32_e32 v54, 16, v60
	v_mul_u32_u24_e32 v60, 0x10001, v51
	v_mul_u32_u24_e32 v65, 0x10001, v50
	;; [unrolled: 1-line block ×4, first 2 shown]
	ds_load_b128 v[49:52], v40 offset:768
	v_mul_u32_u24_e32 v57, 0x10001, v57
	v_mul_u32_u24_e32 v54, 0x10001, v54
	v_pk_fma_f16 v68, v55, v58, v70
	v_pk_fma_f16 v70, v55, v59, v72
	;; [unrolled: 1-line block ×14, first 2 shown]
	ds_load_2addr_b64 v[57:60], v48 offset1:32
	v_pk_fma_f16 v47, v56, v67, v47
	v_pk_fma_f16 v9, v56, v54, v9
	ds_load_b128 v[53:56], v40 offset:784
	s_wait_dscnt 0x2
	v_lshrrev_b32_e32 v65, 16, v49
	v_and_b32_e32 v49, 0xffff, v49
	v_lshrrev_b32_e32 v66, 16, v50
	v_lshrrev_b32_e32 v67, 16, v51
	;; [unrolled: 1-line block ×3, first 2 shown]
	v_and_b32_e32 v50, 0xffff, v50
	v_and_b32_e32 v51, 0xffff, v51
	;; [unrolled: 1-line block ×3, first 2 shown]
	v_mul_u32_u24_e32 v49, 0x10001, v49
	v_mul_u32_u24_e32 v65, 0x10001, v65
	;; [unrolled: 1-line block ×8, first 2 shown]
	s_wait_dscnt 0x1
	v_pk_fma_f16 v68, v57, v49, v68
	v_pk_fma_f16 v70, v57, v65, v70
	;; [unrolled: 1-line block ×10, first 2 shown]
	s_wait_dscnt 0x0
	v_lshrrev_b32_e32 v49, 16, v53
	v_and_b32_e32 v50, 0xffff, v53
	v_pk_fma_f16 v11, v58, v65, v11
	v_pk_fma_f16 v63, v58, v66, v63
	;; [unrolled: 1-line block ×6, first 2 shown]
	v_lshrrev_b32_e32 v51, 16, v54
	v_lshrrev_b32_e32 v52, 16, v55
	v_mul_u32_u24_e32 v58, 0x10001, v50
	v_and_b32_e32 v50, 0xffff, v55
	v_mul_u32_u24_e32 v55, 0x10001, v49
	v_and_b32_e32 v49, 0xffff, v56
	v_lshrrev_b32_e32 v53, 16, v56
	v_and_b32_e32 v54, 0xffff, v54
	v_mul_u32_u24_e32 v56, 0x10001, v51
	v_mul_u32_u24_e32 v65, 0x10001, v50
	;; [unrolled: 1-line block ×4, first 2 shown]
	ds_load_b128 v[49:52], v40 offset:800
	v_mul_u32_u24_e32 v54, 0x10001, v54
	v_mul_u32_u24_e32 v88, 0x10001, v53
	v_pk_fma_f16 v68, v59, v58, v68
	v_pk_fma_f16 v70, v59, v55, v70
	;; [unrolled: 1-line block ×14, first 2 shown]
	ds_load_2addr_b64 v[53:56], v48 offset0:64 offset1:96
	v_pk_fma_f16 v47, v60, v67, v47
	v_pk_fma_f16 v9, v60, v88, v9
	ds_load_b128 v[57:60], v40 offset:816
	s_wait_dscnt 0x2
	v_lshrrev_b32_e32 v65, 16, v49
	v_and_b32_e32 v49, 0xffff, v49
	v_lshrrev_b32_e32 v66, 16, v50
	v_lshrrev_b32_e32 v67, 16, v51
	;; [unrolled: 1-line block ×3, first 2 shown]
	v_and_b32_e32 v50, 0xffff, v50
	v_and_b32_e32 v51, 0xffff, v51
	;; [unrolled: 1-line block ×3, first 2 shown]
	v_mul_u32_u24_e32 v49, 0x10001, v49
	v_mul_u32_u24_e32 v65, 0x10001, v65
	;; [unrolled: 1-line block ×8, first 2 shown]
	s_wait_dscnt 0x1
	v_pk_fma_f16 v68, v53, v49, v68
	v_pk_fma_f16 v70, v53, v65, v70
	;; [unrolled: 1-line block ×10, first 2 shown]
	s_wait_dscnt 0x0
	v_lshrrev_b32_e32 v49, 16, v57
	v_and_b32_e32 v50, 0xffff, v57
	v_pk_fma_f16 v64, v54, v51, v64
	v_pk_fma_f16 v47, v54, v52, v47
	v_lshrrev_b32_e32 v51, 16, v58
	v_lshrrev_b32_e32 v52, 16, v59
	v_and_b32_e32 v57, 0xffff, v58
	v_mul_u32_u24_e32 v58, 0x10001, v50
	v_and_b32_e32 v50, 0xffff, v59
	v_mul_u32_u24_e32 v59, 0x10001, v49
	v_and_b32_e32 v49, 0xffff, v60
	v_pk_fma_f16 v11, v54, v65, v11
	v_pk_fma_f16 v63, v54, v66, v63
	;; [unrolled: 1-line block ×4, first 2 shown]
	v_lshrrev_b32_e32 v54, 16, v60
	v_mul_u32_u24_e32 v60, 0x10001, v51
	v_mul_u32_u24_e32 v65, 0x10001, v50
	;; [unrolled: 1-line block ×4, first 2 shown]
	ds_load_b128 v[49:52], v40 offset:832
	v_mul_u32_u24_e32 v57, 0x10001, v57
	v_mul_u32_u24_e32 v54, 0x10001, v54
	v_pk_fma_f16 v68, v55, v58, v68
	v_pk_fma_f16 v70, v55, v59, v70
	v_pk_fma_f16 v76, v55, v60, v76
	v_pk_fma_f16 v72, v55, v57, v72
	v_pk_fma_f16 v78, v55, v65, v78
	v_pk_fma_f16 v87, v55, v66, v87
	v_pk_fma_f16 v69, v55, v67, v69
	v_pk_fma_f16 v10, v55, v54, v10
	v_pk_fma_f16 v88, v56, v58, v53
	v_pk_fma_f16 v11, v56, v59, v11
	v_pk_fma_f16 v62, v56, v57, v62
	v_pk_fma_f16 v63, v56, v60, v63
	v_pk_fma_f16 v64, v56, v65, v64
	v_pk_fma_f16 v61, v56, v66, v61
	ds_load_2addr_b64 v[57:60], v48 offset0:128 offset1:160
	v_pk_fma_f16 v47, v56, v67, v47
	v_pk_fma_f16 v9, v56, v54, v9
	ds_load_b128 v[53:56], v40 offset:848
	s_wait_dscnt 0x2
	v_lshrrev_b32_e32 v65, 16, v49
	v_and_b32_e32 v49, 0xffff, v49
	v_lshrrev_b32_e32 v66, 16, v50
	v_lshrrev_b32_e32 v67, 16, v51
	v_lshrrev_b32_e32 v89, 16, v52
	v_and_b32_e32 v50, 0xffff, v50
	v_and_b32_e32 v51, 0xffff, v51
	;; [unrolled: 1-line block ×3, first 2 shown]
	v_mul_u32_u24_e32 v49, 0x10001, v49
	v_mul_u32_u24_e32 v65, 0x10001, v65
	;; [unrolled: 1-line block ×8, first 2 shown]
	s_wait_dscnt 0x1
	v_pk_fma_f16 v68, v57, v49, v68
	v_pk_fma_f16 v70, v57, v65, v70
	;; [unrolled: 1-line block ×10, first 2 shown]
	s_wait_dscnt 0x0
	v_lshrrev_b32_e32 v49, 16, v53
	v_and_b32_e32 v50, 0xffff, v53
	v_pk_fma_f16 v11, v58, v65, v11
	v_pk_fma_f16 v63, v58, v66, v63
	;; [unrolled: 1-line block ×6, first 2 shown]
	v_lshrrev_b32_e32 v51, 16, v54
	v_lshrrev_b32_e32 v52, 16, v55
	v_mul_u32_u24_e32 v58, 0x10001, v50
	v_and_b32_e32 v50, 0xffff, v55
	v_mul_u32_u24_e32 v55, 0x10001, v49
	v_and_b32_e32 v49, 0xffff, v56
	v_lshrrev_b32_e32 v53, 16, v56
	v_and_b32_e32 v54, 0xffff, v54
	v_mul_u32_u24_e32 v56, 0x10001, v51
	v_mul_u32_u24_e32 v65, 0x10001, v50
	;; [unrolled: 1-line block ×4, first 2 shown]
	ds_load_b128 v[49:52], v40 offset:864
	v_mul_u32_u24_e32 v54, 0x10001, v54
	v_mul_u32_u24_e32 v88, 0x10001, v53
	v_pk_fma_f16 v68, v59, v58, v68
	v_pk_fma_f16 v70, v59, v55, v70
	;; [unrolled: 1-line block ×14, first 2 shown]
	ds_load_2addr_b64 v[53:56], v48 offset0:192 offset1:224
	v_pk_fma_f16 v47, v60, v67, v47
	v_pk_fma_f16 v9, v60, v88, v9
	ds_load_b128 v[57:60], v40 offset:880
	s_wait_dscnt 0x2
	v_lshrrev_b32_e32 v48, 16, v49
	v_lshrrev_b32_e32 v66, 16, v51
	;; [unrolled: 1-line block ×3, first 2 shown]
	v_and_b32_e32 v51, 0xffff, v51
	v_and_b32_e32 v52, 0xffff, v52
	;; [unrolled: 1-line block ×3, first 2 shown]
	v_lshrrev_b32_e32 v65, 16, v50
	v_and_b32_e32 v50, 0xffff, v50
	v_mul_u32_u24_e32 v48, 0x10001, v48
	v_mul_u32_u24_e32 v51, 0x10001, v51
	;; [unrolled: 1-line block ×8, first 2 shown]
	s_wait_dscnt 0x1
	v_pk_fma_f16 v70, v53, v48, v70
	v_pk_fma_f16 v78, v53, v51, v78
	;; [unrolled: 1-line block ×5, first 2 shown]
	s_wait_dscnt 0x0
	v_lshrrev_b32_e32 v47, 16, v57
	v_and_b32_e32 v48, 0xffff, v57
	v_pk_fma_f16 v68, v53, v49, v68
	v_pk_fma_f16 v72, v53, v50, v72
	;; [unrolled: 1-line block ×11, first 2 shown]
	v_lshrrev_b32_e32 v49, 16, v58
	v_lshrrev_b32_e32 v50, 16, v59
	v_and_b32_e32 v54, 0xffff, v58
	v_mul_u32_u24_e32 v57, 0x10001, v48
	v_and_b32_e32 v48, 0xffff, v59
	v_mul_u32_u24_e32 v58, 0x10001, v47
	v_and_b32_e32 v47, 0xffff, v60
	v_lshrrev_b32_e32 v52, 16, v60
	v_mul_u32_u24_e32 v59, 0x10001, v49
	v_mul_u32_u24_e32 v60, 0x10001, v48
	;; [unrolled: 1-line block ×4, first 2 shown]
	ds_load_b128 v[47:50], v40 offset:896
	v_mul_u32_u24_e32 v54, 0x10001, v54
	v_mul_u32_u24_e32 v67, 0x10001, v52
	v_pk_fma_f16 v68, v55, v57, v68
	v_pk_fma_f16 v70, v55, v58, v70
	;; [unrolled: 1-line block ×14, first 2 shown]
	ds_load_2addr_b64 v[51:54], v8 offset1:32
	v_pk_fma_f16 v63, v56, v66, v64
	v_pk_fma_f16 v9, v56, v67, v9
	ds_load_b128 v[55:58], v40 offset:912
	s_wait_dscnt 0x2
	v_lshrrev_b32_e32 v64, 16, v47
	v_and_b32_e32 v47, 0xffff, v47
	v_lshrrev_b32_e32 v65, 16, v48
	v_lshrrev_b32_e32 v66, 16, v49
	;; [unrolled: 1-line block ×3, first 2 shown]
	v_and_b32_e32 v48, 0xffff, v48
	v_and_b32_e32 v49, 0xffff, v49
	;; [unrolled: 1-line block ×3, first 2 shown]
	v_mul_u32_u24_e32 v47, 0x10001, v47
	v_mul_u32_u24_e32 v64, 0x10001, v64
	;; [unrolled: 1-line block ×8, first 2 shown]
	s_wait_dscnt 0x1
	v_pk_fma_f16 v68, v51, v47, v68
	v_pk_fma_f16 v70, v51, v64, v70
	;; [unrolled: 1-line block ×10, first 2 shown]
	s_wait_dscnt 0x0
	v_lshrrev_b32_e32 v47, 16, v55
	v_and_b32_e32 v48, 0xffff, v55
	v_pk_fma_f16 v60, v52, v49, v60
	v_pk_fma_f16 v63, v52, v50, v63
	v_lshrrev_b32_e32 v49, 16, v56
	v_lshrrev_b32_e32 v50, 16, v57
	v_and_b32_e32 v55, 0xffff, v56
	v_mul_u32_u24_e32 v56, 0x10001, v48
	v_and_b32_e32 v48, 0xffff, v57
	v_mul_u32_u24_e32 v57, 0x10001, v47
	v_and_b32_e32 v47, 0xffff, v58
	v_pk_fma_f16 v11, v52, v64, v11
	v_pk_fma_f16 v59, v52, v65, v59
	;; [unrolled: 1-line block ×4, first 2 shown]
	v_lshrrev_b32_e32 v52, 16, v58
	v_mul_u32_u24_e32 v58, 0x10001, v49
	v_mul_u32_u24_e32 v64, 0x10001, v48
	;; [unrolled: 1-line block ×4, first 2 shown]
	ds_load_b128 v[47:50], v40 offset:928
	v_mul_u32_u24_e32 v55, 0x10001, v55
	v_mul_u32_u24_e32 v52, 0x10001, v52
	v_pk_fma_f16 v67, v53, v56, v68
	v_pk_fma_f16 v68, v53, v57, v70
	;; [unrolled: 1-line block ×14, first 2 shown]
	ds_load_2addr_b64 v[55:58], v8 offset0:64 offset1:96
	v_pk_fma_f16 v63, v54, v66, v63
	v_pk_fma_f16 v9, v54, v52, v9
	ds_load_b128 v[51:54], v40 offset:944
	s_wait_dscnt 0x2
	v_lshrrev_b32_e32 v64, 16, v47
	v_and_b32_e32 v47, 0xffff, v47
	v_lshrrev_b32_e32 v65, 16, v48
	v_lshrrev_b32_e32 v66, 16, v49
	;; [unrolled: 1-line block ×3, first 2 shown]
	v_and_b32_e32 v48, 0xffff, v48
	v_and_b32_e32 v49, 0xffff, v49
	;; [unrolled: 1-line block ×3, first 2 shown]
	v_mul_u32_u24_e32 v47, 0x10001, v47
	v_mul_u32_u24_e32 v64, 0x10001, v64
	;; [unrolled: 1-line block ×8, first 2 shown]
	s_wait_dscnt 0x1
	v_pk_fma_f16 v67, v55, v47, v67
	v_pk_fma_f16 v68, v55, v64, v68
	;; [unrolled: 1-line block ×10, first 2 shown]
	s_wait_dscnt 0x0
	v_lshrrev_b32_e32 v47, 16, v51
	v_and_b32_e32 v48, 0xffff, v51
	v_pk_fma_f16 v11, v56, v64, v11
	v_pk_fma_f16 v59, v56, v65, v59
	;; [unrolled: 1-line block ×6, first 2 shown]
	v_lshrrev_b32_e32 v49, 16, v52
	v_lshrrev_b32_e32 v50, 16, v53
	v_mul_u32_u24_e32 v56, 0x10001, v48
	v_and_b32_e32 v48, 0xffff, v53
	v_mul_u32_u24_e32 v53, 0x10001, v47
	v_and_b32_e32 v47, 0xffff, v54
	v_lshrrev_b32_e32 v51, 16, v54
	v_and_b32_e32 v52, 0xffff, v52
	v_mul_u32_u24_e32 v54, 0x10001, v49
	v_mul_u32_u24_e32 v64, 0x10001, v48
	;; [unrolled: 1-line block ×4, first 2 shown]
	ds_load_b128 v[47:50], v40 offset:960
	v_mul_u32_u24_e32 v52, 0x10001, v52
	v_mul_u32_u24_e32 v87, 0x10001, v51
	v_pk_fma_f16 v67, v57, v56, v67
	v_pk_fma_f16 v68, v57, v53, v68
	;; [unrolled: 1-line block ×14, first 2 shown]
	ds_load_2addr_b64 v[51:54], v8 offset0:128 offset1:160
	v_pk_fma_f16 v63, v58, v66, v63
	v_pk_fma_f16 v9, v58, v87, v9
	ds_load_b128 v[55:58], v40 offset:976
	s_wait_dscnt 0x2
	v_lshrrev_b32_e32 v64, 16, v47
	v_and_b32_e32 v47, 0xffff, v47
	v_lshrrev_b32_e32 v65, 16, v48
	v_lshrrev_b32_e32 v66, 16, v49
	;; [unrolled: 1-line block ×3, first 2 shown]
	v_and_b32_e32 v48, 0xffff, v48
	v_and_b32_e32 v49, 0xffff, v49
	;; [unrolled: 1-line block ×3, first 2 shown]
	v_mul_u32_u24_e32 v47, 0x10001, v47
	v_mul_u32_u24_e32 v64, 0x10001, v64
	v_mul_u32_u24_e32 v48, 0x10001, v48
	v_mul_u32_u24_e32 v65, 0x10001, v65
	v_mul_u32_u24_e32 v49, 0x10001, v49
	v_mul_u32_u24_e32 v66, 0x10001, v66
	v_mul_u32_u24_e32 v50, 0x10001, v50
	v_mul_u32_u24_e32 v87, 0x10001, v87
	s_wait_dscnt 0x1
	v_pk_fma_f16 v67, v51, v47, v67
	v_pk_fma_f16 v68, v51, v64, v68
	;; [unrolled: 1-line block ×9, first 2 shown]
	s_wait_dscnt 0x0
	v_and_b32_e32 v47, 0xffff, v55
	v_pk_fma_f16 v62, v52, v48, v62
	v_pk_fma_f16 v60, v52, v49, v60
	;; [unrolled: 1-line block ×3, first 2 shown]
	v_lshrrev_b32_e32 v48, 16, v56
	v_lshrrev_b32_e32 v49, 16, v57
	v_and_b32_e32 v50, 0xffff, v56
	v_mul_u32_u24_e32 v56, 0x10001, v47
	v_and_b32_e32 v47, 0xffff, v57
	v_pk_fma_f16 v11, v52, v64, v11
	v_pk_fma_f16 v59, v52, v65, v59
	;; [unrolled: 1-line block ×4, first 2 shown]
	v_lshrrev_b32_e32 v9, 16, v55
	v_lshrrev_b32_e32 v55, 16, v58
	v_and_b32_e32 v57, 0xffff, v58
	v_mul_u32_u24_e32 v58, 0x10001, v50
	v_mul_u32_u24_e32 v64, 0x10001, v48
	;; [unrolled: 1-line block ×4, first 2 shown]
	ds_load_b128 v[47:50], v40 offset:992
	v_mul_u32_u24_e32 v9, 0x10001, v9
	v_mul_u32_u24_e32 v57, 0x10001, v57
	;; [unrolled: 1-line block ×3, first 2 shown]
	v_pk_fma_f16 v67, v53, v56, v67
	v_pk_fma_f16 v70, v53, v58, v70
	;; [unrolled: 1-line block ×14, first 2 shown]
	ds_load_2addr_b64 v[8:11], v8 offset0:192 offset1:224
	v_pk_fma_f16 v57, v54, v57, v63
	v_pk_fma_f16 v55, v54, v55, v52
	ds_load_b128 v[51:54], v40 offset:1008
	s_wait_dscnt 0x2
	v_lshrrev_b32_e32 v62, 16, v47
	v_and_b32_e32 v47, 0xffff, v47
	v_lshrrev_b32_e32 v63, 16, v48
	v_lshrrev_b32_e32 v64, 16, v49
	v_lshrrev_b32_e32 v65, 16, v50
	v_and_b32_e32 v48, 0xffff, v48
	v_and_b32_e32 v49, 0xffff, v49
	;; [unrolled: 1-line block ×3, first 2 shown]
	s_wait_loadcnt_dscnt 0x0
	s_barrier_signal -1
	s_barrier_wait -1
	global_inv scope:SCOPE_SE
	s_load_b32 s11, s[20:21], 0x4
	v_mul_u32_u24_e32 v47, 0x10001, v47
	v_mul_u32_u24_e32 v62, 0x10001, v62
	;; [unrolled: 1-line block ×8, first 2 shown]
	v_pk_fma_f16 v66, v8, v47, v67
	v_pk_fma_f16 v67, v8, v62, v68
	;; [unrolled: 1-line block ×10, first 2 shown]
	v_lshrrev_b32_e32 v48, 16, v51
	v_and_b32_e32 v49, 0xffff, v51
	v_pk_fma_f16 v47, v9, v47, v56
	v_pk_fma_f16 v56, v9, v62, v88
	;; [unrolled: 1-line block ×6, first 2 shown]
	v_lshrrev_b32_e32 v51, 16, v52
	v_and_b32_e32 v52, 0xffff, v52
	v_lshrrev_b32_e32 v55, 16, v53
	v_lshrrev_b32_e32 v57, 16, v54
	v_mul_u32_u24_e32 v60, 0x10001, v49
	v_mul_u32_u24_e32 v65, 0x10001, v48
	v_and_b32_e32 v48, 0xffff, v53
	v_and_b32_e32 v49, 0xffff, v54
	v_mul_u32_u24_e32 v52, 0x10001, v52
	v_mul_u32_u24_e32 v88, 0x10001, v51
	;; [unrolled: 1-line block ×6, first 2 shown]
	s_wait_kmcnt 0x0
	s_lshl_b32 s11, s11, 6
	v_pk_fma_f16 v61, v10, v60, v66
	v_pk_fma_f16 v59, v10, v65, v67
	v_pk_fma_f16 v58, v10, v52, v68
	v_pk_fma_f16 v55, v10, v88, v70
	v_pk_fma_f16 v53, v10, v54, v72
	v_pk_fma_f16 v51, v10, v89, v76
	v_pk_fma_f16 v49, v10, v90, v69
	v_pk_fma_f16 v48, v10, v91, v8
	v_pk_fma_f16 v62, v11, v60, v47
	v_pk_fma_f16 v60, v11, v65, v56
	v_pk_fma_f16 v57, v11, v52, v78
	v_pk_fma_f16 v56, v11, v88, v63
	v_pk_fma_f16 v54, v11, v54, v87
	v_pk_fma_f16 v52, v11, v89, v64
	v_pk_fma_f16 v50, v11, v90, v50
	v_pk_fma_f16 v47, v11, v91, v9
	s_wait_alu 0xfffe
	s_add_co_i32 s10, s11, s10
	s_wait_alu 0xfffe
	s_cmp_ge_i32 s10, s30
	s_cbranch_scc1 .LBB75_75
; %bb.74:                               ;   in Loop: Header=BB75_9 Depth=1
	v_dual_mov_b32 v76, v0 :: v_dual_mov_b32 v69, v3
	v_dual_mov_b32 v78, v1 :: v_dual_mov_b32 v67, v4
	;; [unrolled: 1-line block ×7, first 2 shown]
	v_mov_b32_e32 v10, v84
	v_mov_b32_e32 v8, v85
	s_branch .LBB75_9
.LBB75_75:
	v_mov_b32_e32 v8, v22
.LBB75_76:
	v_cmp_lt_i32_e32 vcc_lo, v77, v21
	s_cmp_lg_u64 s[12:13], 0
	s_cselect_b32 s3, -1, 0
	s_cmp_eq_u32 s4, 0
	s_wait_alu 0xfffd
	v_cndmask_b32_e32 v9, v8, v77, vcc_lo
	v_cmp_lt_i32_e32 vcc_lo, v75, v21
	s_cselect_b32 s5, -1, 0
	s_wait_alu 0xfffe
	s_and_b32 s3, s5, s3
	v_lshlrev_b32_e32 v9, 2, v9
	ds_bpermute_b32 v12, v9, v81
	s_wait_dscnt 0x0
	v_add_f32_e32 v12, v81, v12
	ds_bpermute_b32 v10, v9, v79
	ds_bpermute_b32 v14, v9, v83
	;; [unrolled: 1-line block ×5, first 2 shown]
	s_wait_alu 0xfffd
	v_cndmask_b32_e32 v17, v8, v75, vcc_lo
	ds_bpermute_b32 v15, v9, v84
	ds_bpermute_b32 v9, v9, v85
	v_cmp_lt_i32_e32 vcc_lo, v74, v21
	s_wait_alu 0xfffd
	v_cndmask_b32_e32 v38, v8, v74, vcc_lo
	v_cmp_lt_i32_e32 vcc_lo, v73, v21
	s_delay_alu instid0(VALU_DEP_2)
	v_lshlrev_b32_e32 v38, 2, v38
	s_wait_dscnt 0x6
	v_add_f32_e32 v10, v79, v10
	s_wait_dscnt 0x5
	v_dual_add_f32 v14, v83, v14 :: v_dual_lshlrev_b32 v17, 2, v17
	s_wait_dscnt 0x3
	v_dual_add_f32 v16, v86, v16 :: v_dual_add_f32 v11, v80, v11
	s_wait_dscnt 0x2
	v_add_f32_e32 v13, v82, v13
	ds_bpermute_b32 v18, v17, v10
	ds_bpermute_b32 v20, v17, v12
	s_wait_dscnt 0x3
	v_add_f32_e32 v15, v84, v15
	s_wait_dscnt 0x2
	v_add_f32_e32 v9, v85, v9
	ds_bpermute_b32 v19, v17, v11
	ds_bpermute_b32 v22, v17, v13
	ds_bpermute_b32 v23, v17, v14
	ds_bpermute_b32 v37, v17, v16
	s_wait_dscnt 0x5
	v_add_f32_e32 v10, v10, v18
	ds_bpermute_b32 v36, v17, v15
	s_wait_dscnt 0x5
	v_add_f32_e32 v12, v12, v20
	ds_bpermute_b32 v17, v17, v9
	s_wait_dscnt 0x5
	v_add_f32_e32 v11, v11, v19
	s_wait_dscnt 0x3
	v_dual_add_f32 v13, v13, v22 :: v_dual_add_f32 v14, v14, v23
	s_wait_dscnt 0x2
	v_add_f32_e32 v16, v16, v37
	ds_bpermute_b32 v19, v38, v12
	ds_bpermute_b32 v18, v38, v11
	;; [unrolled: 1-line block ×4, first 2 shown]
	s_wait_dscnt 0x5
	v_add_f32_e32 v15, v15, v36
	ds_bpermute_b32 v36, v38, v16
	s_wait_dscnt 0x5
	v_add_f32_e32 v9, v9, v17
	ds_bpermute_b32 v17, v38, v10
	ds_bpermute_b32 v23, v38, v15
	ds_bpermute_b32 v37, v38, v9
	s_wait_alu 0xfffd
	v_cndmask_b32_e32 v38, v8, v73, vcc_lo
	s_wait_dscnt 0x5
	v_dual_add_f32 v12, v12, v19 :: v_dual_add_f32 v13, v13, v20
	s_wait_dscnt 0x4
	v_add_f32_e32 v14, v14, v22
	v_cmp_lt_i32_e32 vcc_lo, v71, v21
	v_lshlrev_b32_e32 v38, 2, v38
	v_add_f32_e32 v11, v11, v18
	ds_bpermute_b32 v20, v38, v13
	ds_bpermute_b32 v19, v38, v12
	;; [unrolled: 1-line block ×3, first 2 shown]
	s_wait_dscnt 0x6
	v_add_f32_e32 v16, v16, v36
	s_wait_alu 0xfffd
	v_cndmask_b32_e32 v8, v8, v71, vcc_lo
	s_wait_dscnt 0x5
	v_add_f32_e32 v10, v10, v17
	s_wait_alu 0xfffe
	s_and_b32 vcc_lo, exec_lo, s3
	s_wait_dscnt 0x4
	v_add_f32_e32 v15, v15, v23
	ds_bpermute_b32 v22, v38, v14
	s_wait_dscnt 0x4
	v_add_f32_e32 v9, v9, v37
	ds_bpermute_b32 v17, v38, v10
	ds_bpermute_b32 v36, v38, v16
	;; [unrolled: 1-line block ×4, first 2 shown]
	s_wait_dscnt 0x6
	v_dual_add_f32 v13, v13, v20 :: v_dual_add_f32 v12, v12, v19
	s_wait_dscnt 0x5
	v_dual_add_f32 v11, v11, v18 :: v_dual_lshlrev_b32 v8, 2, v8
	s_wait_dscnt 0x1
	v_dual_add_f32 v10, v10, v17 :: v_dual_add_f32 v15, v15, v23
	ds_bpermute_b32 v18, v8, v11
	s_wait_dscnt 0x1
	v_dual_add_f32 v16, v16, v36 :: v_dual_add_f32 v17, v9, v37
	ds_bpermute_b32 v20, v8, v13
	v_add_f32_e32 v14, v14, v22
	ds_bpermute_b32 v9, v8, v10
	ds_bpermute_b32 v19, v8, v12
	;; [unrolled: 1-line block ×6, first 2 shown]
	s_wait_dscnt 0x5
	v_dual_add_f32 v8, v10, v9 :: v_dual_add_f32 v9, v11, v18
	s_wait_dscnt 0x4
	v_dual_add_f32 v10, v12, v19 :: v_dual_add_f32 v11, v13, v20
	;; [unrolled: 2-line block ×4, first 2 shown]
	s_wait_alu 0xfffe
	s_cbranch_vccz .LBB75_79
; %bb.77:
	s_ashr_i32 s3, s2, 31
	v_dual_mov_b32 v16, 0 :: v_dual_max_num_f32 v17, v1, v1
	s_wait_alu 0xfffe
	s_lshl_b64 s[6:7], s[2:3], 2
	v_dual_max_num_f32 v18, v2, v2 :: v_dual_max_num_f32 v21, v5, v5
	s_add_nc_u64 s[6:7], s[12:13], s[6:7]
	v_max_num_f32_e32 v19, v3, v3
	global_load_b128 v[36:39], v16, s[6:7]
	v_max_num_f32_e32 v16, v0, v0
	v_max_num_f32_e32 v22, v6, v6
	v_dual_max_num_f32 v20, v4, v4 :: v_dual_max_num_f32 v43, v7, v7
	s_wait_loadcnt 0x0
	v_dual_max_num_f32 v40, v37, v37 :: v_dual_max_num_f32 v23, v36, v36
	v_dual_max_num_f32 v41, v38, v38 :: v_dual_max_num_f32 v42, v39, v39
	s_delay_alu instid0(VALU_DEP_2) | instskip(NEXT) | instid1(VALU_DEP_2)
	v_dual_max_num_f32 v17, v17, v40 :: v_dual_max_num_f32 v16, v16, v23
	v_dual_max_num_f32 v18, v18, v41 :: v_dual_max_num_f32 v21, v21, v40
	s_delay_alu instid0(VALU_DEP_3) | instskip(SKIP_1) | instid1(VALU_DEP_4)
	v_dual_max_num_f32 v19, v19, v42 :: v_dual_max_num_f32 v20, v20, v23
	v_dual_max_num_f32 v23, v43, v42 :: v_dual_max_num_f32 v22, v22, v41
	v_sub_f32_e32 v41, v36, v16
	v_dual_sub_f32 v40, v0, v16 :: v_dual_sub_f32 v43, v37, v17
	v_dual_sub_f32 v42, v1, v17 :: v_dual_sub_f32 v45, v38, v18
	;; [unrolled: 1-line block ×7, first 2 shown]
	v_dual_mov_b32 v0, v16 :: v_dual_mov_b32 v3, v19
	v_dual_sub_f32 v38, v38, v22 :: v_dual_mov_b32 v1, v17
	v_dual_mov_b32 v2, v18 :: v_dual_mov_b32 v5, v21
	v_dual_mov_b32 v4, v20 :: v_dual_mov_b32 v7, v23
	v_dual_mov_b32 v6, v22 :: v_dual_mul_f32 v17, 0x3fb8aa3b, v41
	v_dual_mul_f32 v16, 0x3fb8aa3b, v40 :: v_dual_mul_f32 v19, 0x3fb8aa3b, v43
	v_dual_mul_f32 v18, 0x3fb8aa3b, v42 :: v_dual_mul_f32 v21, 0x3fb8aa3b, v45
	s_delay_alu instid0(VALU_DEP_3) | instskip(NEXT) | instid1(VALU_DEP_3)
	v_fma_f32 v78, 0x3fb8aa3b, v41, -v17
	v_fma_f32 v76, 0x3fb8aa3b, v40, -v16
	v_rndne_f32_e32 v77, v16
	v_rndne_f32_e32 v79, v17
	;; [unrolled: 1-line block ×3, first 2 shown]
	v_dual_mul_f32 v20, 0x3fb8aa3b, v44 :: v_dual_mul_f32 v23, 0x3fb8aa3b, v63
	s_delay_alu instid0(VALU_DEP_3)
	v_dual_fmac_f32 v76, 0x32a5705f, v40 :: v_dual_sub_f32 v17, v17, v79
	v_sub_f32_e32 v16, v16, v77
	v_dual_mul_f32 v22, 0x3fb8aa3b, v46 :: v_dual_mul_f32 v69, 0x3fb8aa3b, v36
	v_dual_mul_f32 v72, 0x3fb8aa3b, v66 :: v_dual_mul_f32 v75, 0x3fb8aa3b, v39
	v_fma_f32 v80, 0x3fb8aa3b, v42, -v18
	v_rndne_f32_e32 v81, v18
	v_fma_f32 v82, 0x3fb8aa3b, v43, -v19
	v_rndne_f32_e32 v87, v21
	v_dual_fmac_f32 v78, 0x32a5705f, v41 :: v_dual_sub_f32 v19, v19, v83
	v_add_f32_e32 v16, v16, v76
	v_fma_f32 v86, 0x3fb8aa3b, v45, -v21
	v_rndne_f32_e32 v91, v23
	v_rndne_f32_e32 v95, v69
	;; [unrolled: 1-line block ×3, first 2 shown]
	v_fmac_f32_e32 v80, 0x32a5705f, v42
	v_dual_sub_f32 v18, v18, v81 :: v_dual_sub_f32 v21, v21, v87
	v_dual_mul_f32 v74, 0x3fb8aa3b, v67 :: v_dual_add_f32 v17, v17, v78
	v_exp_f32_e32 v16, v16
	v_dual_mul_f32 v68, 0x3fb8aa3b, v64 :: v_dual_mul_f32 v71, 0x3fb8aa3b, v37
	v_dual_mul_f32 v70, 0x3fb8aa3b, v65 :: v_dual_mul_f32 v73, 0x3fb8aa3b, v38
	v_fma_f32 v84, 0x3fb8aa3b, v44, -v20
	v_rndne_f32_e32 v85, v20
	v_rndne_f32_e32 v89, v22
	v_fma_f32 v90, 0x3fb8aa3b, v63, -v23
	v_fma_f32 v94, 0x3fb8aa3b, v36, -v69
	;; [unrolled: 1-line block ×3, first 2 shown]
	v_cvt_i32_f32_e32 v77, v77
	v_dual_fmac_f32 v86, 0x32a5705f, v45 :: v_dual_sub_f32 v75, v75, v107
	v_fmac_f32_e32 v82, 0x32a5705f, v43
	v_sub_f32_e32 v23, v23, v91
	v_dual_sub_f32 v69, v69, v95 :: v_dual_add_f32 v18, v18, v80
	v_exp_f32_e32 v17, v17
	v_fma_f32 v88, 0x3fb8aa3b, v46, -v22
	v_rndne_f32_e32 v99, v71
	v_rndne_f32_e32 v103, v73
	v_cvt_i32_f32_e32 v79, v79
	v_fmac_f32_e32 v84, 0x32a5705f, v44
	v_dual_sub_f32 v20, v20, v85 :: v_dual_add_f32 v21, v21, v86
	v_dual_sub_f32 v22, v22, v89 :: v_dual_add_f32 v19, v19, v82
	v_exp_f32_e32 v18, v18
	v_ldexp_f32 v16, v16, v77
	v_cmp_ngt_f32_e32 vcc_lo, 0xc2ce8ed0, v40
	v_fma_f32 v98, 0x3fb8aa3b, v37, -v71
	v_fma_f32 v102, 0x3fb8aa3b, v38, -v73
	v_cvt_i32_f32_e32 v81, v81
	v_sub_f32_e32 v71, v71, v99
	v_dual_sub_f32 v73, v73, v103 :: v_dual_add_f32 v20, v20, v84
	v_exp_f32_e32 v19, v19
	v_ldexp_f32 v17, v17, v79
	s_wait_alu 0xfffd
	v_cndmask_b32_e32 v16, 0, v16, vcc_lo
	v_cmp_ngt_f32_e32 vcc_lo, 0xc2ce8ed0, v41
	v_cvt_i32_f32_e32 v83, v83
	v_fmac_f32_e32 v88, 0x32a5705f, v46
	v_fmac_f32_e32 v102, 0x32a5705f, v38
	v_exp_f32_e32 v20, v20
	v_ldexp_f32 v18, v18, v81
	s_wait_alu 0xfffd
	v_cndmask_b32_e32 v17, 0, v17, vcc_lo
	v_cmp_ngt_f32_e32 vcc_lo, 0xc2ce8ed0, v42
	v_fma_f32 v92, 0x3fb8aa3b, v64, -v68
	v_rndne_f32_e32 v97, v70
	v_cvt_i32_f32_e32 v85, v85
	v_dual_fmac_f32 v94, 0x32a5705f, v36 :: v_dual_add_f32 v73, v73, v102
	v_fmac_f32_e32 v90, 0x32a5705f, v63
	v_add_f32_e32 v22, v22, v88
	v_exp_f32_e32 v21, v21
	v_ldexp_f32 v19, v19, v83
	s_wait_alu 0xfffd
	v_cndmask_b32_e32 v18, 0, v18, vcc_lo
	v_cmp_ngt_f32_e32 vcc_lo, 0xc2ce8ed0, v43
	v_fma_f32 v96, 0x3fb8aa3b, v65, -v70
	v_cvt_i32_f32_e32 v87, v87
	v_dual_sub_f32 v70, v70, v97 :: v_dual_add_f32 v69, v69, v94
	v_dual_fmac_f32 v92, 0x32a5705f, v64 :: v_dual_add_f32 v23, v23, v90
	v_exp_f32_e32 v22, v22
	v_ldexp_f32 v20, v20, v85
	s_wait_alu 0xfffd
	v_cndmask_b32_e32 v19, 0, v19, vcc_lo
	v_cmp_ngt_f32_e32 vcc_lo, 0xc2ce8ed0, v44
	v_fma_f32 v100, 0x3fb8aa3b, v66, -v72
	v_cvt_i32_f32_e32 v89, v89
	v_exp_f32_e32 v23, v23
	v_ldexp_f32 v21, v21, v87
	s_wait_alu 0xfffd
	v_cndmask_b32_e32 v20, 0, v20, vcc_lo
	v_cmp_ngt_f32_e32 vcc_lo, 0xc2ce8ed0, v45
	v_cvt_i32_f32_e32 v91, v91
	v_fmac_f32_e32 v100, 0x32a5705f, v66
	v_ldexp_f32 v22, v22, v89
	v_rndne_f32_e32 v93, v68
	s_wait_alu 0xfffd
	v_cndmask_b32_e32 v21, 0, v21, vcc_lo
	v_cmp_ngt_f32_e32 vcc_lo, 0xc2ce8ed0, v46
	v_ldexp_f32 v23, v23, v91
	v_fmac_f32_e32 v106, 0x32a5705f, v39
	v_fmac_f32_e32 v96, 0x32a5705f, v65
	v_exp_f32_e32 v69, v69
	s_wait_alu 0xfffd
	v_cndmask_b32_e32 v22, 0, v22, vcc_lo
	v_cmp_ngt_f32_e32 vcc_lo, 0xc2ce8ed0, v63
	v_dual_fmac_f32 v98, 0x32a5705f, v37 :: v_dual_add_f32 v75, v75, v106
	v_add_f32_e32 v70, v70, v96
	v_cvt_i32_f32_e32 v95, v95
	s_wait_alu 0xfffd
	v_dual_cndmask_b32 v23, 0, v23 :: v_dual_sub_f32 v68, v68, v93
	v_add_f32_e32 v71, v71, v98
	v_cvt_i32_f32_e32 v93, v93
	v_exp_f32_e32 v70, v70
	v_cmp_ngt_f32_e32 vcc_lo, 0xc2ce8ed0, v64
	v_add_f32_e32 v68, v68, v92
	v_cvt_i32_f32_e32 v97, v97
	v_exp_f32_e32 v71, v71
	v_ldexp_f32 v69, v69, v95
	v_rndne_f32_e32 v101, v72
	v_exp_f32_e32 v68, v68
	v_cvt_i32_f32_e32 v99, v99
	v_exp_f32_e32 v73, v73
	v_ldexp_f32 v70, v70, v97
	v_exp_f32_e32 v75, v75
	v_fma_f32 v104, 0x3fb8aa3b, v67, -v74
	v_rndne_f32_e32 v105, v74
	v_ldexp_f32 v71, v71, v99
	v_cvt_i32_f32_e32 v103, v103
	v_cvt_i32_f32_e32 v107, v107
	v_ldexp_f32 v68, v68, v93
	s_delay_alu instid0(TRANS32_DEP_2) | instid1(VALU_DEP_3)
	v_ldexp_f32 v73, v73, v103
	s_delay_alu instid0(TRANS32_DEP_1) | instid1(VALU_DEP_3)
	v_ldexp_f32 v75, v75, v107
	s_wait_alu 0xfffd
	s_delay_alu instid0(VALU_DEP_3)
	v_cndmask_b32_e32 v68, 0, v68, vcc_lo
	v_cmp_ngt_f32_e32 vcc_lo, 0xc2ce8ed0, v36
	v_sub_f32_e32 v74, v74, v105
	v_cvt_i32_f32_e32 v105, v105
	s_wait_alu 0xfffd
	v_cndmask_b32_e32 v69, 0, v69, vcc_lo
	v_cmp_ngt_f32_e32 vcc_lo, 0xc2ce8ed0, v65
	s_wait_alu 0xfffd
	v_cndmask_b32_e32 v70, 0, v70, vcc_lo
	v_cmp_ngt_f32_e32 vcc_lo, 0xc2ce8ed0, v37
	v_sub_f32_e32 v72, v72, v101
	v_cvt_i32_f32_e32 v101, v101
	s_wait_alu 0xfffd
	s_delay_alu instid0(VALU_DEP_2) | instskip(SKIP_1) | instid1(VALU_DEP_2)
	v_dual_cndmask_b32 v71, 0, v71 :: v_dual_add_f32 v72, v72, v100
	v_cmp_ngt_f32_e32 vcc_lo, 0xc2ce8ed0, v66
	v_exp_f32_e32 v72, v72
	s_delay_alu instid0(TRANS32_DEP_1) | instskip(SKIP_1) | instid1(VALU_DEP_1)
	v_ldexp_f32 v72, v72, v101
	s_wait_alu 0xfffd
	v_cndmask_b32_e32 v72, 0, v72, vcc_lo
	v_cmp_ngt_f32_e32 vcc_lo, 0xc2ce8ed0, v38
	s_wait_alu 0xfffd
	v_dual_fmac_f32 v104, 0x32a5705f, v67 :: v_dual_cndmask_b32 v73, 0, v73
	s_delay_alu instid0(VALU_DEP_1) | instskip(SKIP_1) | instid1(VALU_DEP_2)
	v_add_f32_e32 v74, v74, v104
	v_cmp_ngt_f32_e32 vcc_lo, 0xc2ce8ed0, v67
	v_exp_f32_e32 v74, v74
	s_delay_alu instid0(TRANS32_DEP_1) | instskip(SKIP_1) | instid1(VALU_DEP_1)
	v_ldexp_f32 v74, v74, v105
	s_wait_alu 0xfffd
	v_cndmask_b32_e32 v74, 0, v74, vcc_lo
	v_cmp_ngt_f32_e32 vcc_lo, 0xc2ce8ed0, v39
	s_wait_alu 0xfffd
	v_cndmask_b32_e32 v75, 0, v75, vcc_lo
	v_cmp_nlt_f32_e32 vcc_lo, 0x42b17218, v40
	s_wait_alu 0xfffd
	v_cndmask_b32_e32 v40, 0x7f800000, v16, vcc_lo
	v_cmp_nlt_f32_e32 vcc_lo, 0x42b17218, v41
	;; [unrolled: 3-line block ×5, first 2 shown]
	s_wait_alu 0xfffd
	s_delay_alu instid0(VALU_DEP_2)
	v_dual_fmac_f32 v17, v9, v41 :: v_dual_cndmask_b32 v42, 0x7f800000, v20
	v_cmp_nlt_f32_e32 vcc_lo, 0x42b17218, v45
	v_cvt_f16_f32_e32 v9, v41
	s_wait_alu 0xfffd
	v_cndmask_b32_e32 v18, 0x7f800000, v21, vcc_lo
	v_cmp_nlt_f32_e32 vcc_lo, 0x42b17218, v46
	s_delay_alu instid0(VALU_DEP_2)
	v_fmac_f32_e32 v18, v10, v42
	s_wait_alu 0xfffd
	v_cndmask_b32_e32 v43, 0x7f800000, v22, vcc_lo
	v_cmp_nlt_f32_e32 vcc_lo, 0x42b17218, v63
	v_cvt_f16_f32_e32 v10, v42
	s_wait_alu 0xfffd
	v_cndmask_b32_e32 v19, 0x7f800000, v23, vcc_lo
	v_cmp_nlt_f32_e32 vcc_lo, 0x42b17218, v64
	s_wait_alu 0xfffd
	s_delay_alu instid0(VALU_DEP_2)
	v_dual_fmac_f32 v19, v11, v43 :: v_dual_cndmask_b32 v44, 0x7f800000, v68
	v_cmp_nlt_f32_e32 vcc_lo, 0x42b17218, v36
	v_cvt_f16_f32_e32 v11, v43
	s_wait_alu 0xfffd
	v_cndmask_b32_e32 v20, 0x7f800000, v69, vcc_lo
	v_cmp_nlt_f32_e32 vcc_lo, 0x42b17218, v65
	s_delay_alu instid0(VALU_DEP_2)
	v_fmac_f32_e32 v20, v12, v44
	s_wait_alu 0xfffd
	v_cndmask_b32_e32 v36, 0x7f800000, v70, vcc_lo
	v_cmp_nlt_f32_e32 vcc_lo, 0x42b17218, v37
	v_cvt_f16_f32_e32 v12, v44
	s_wait_alu 0xfffd
	v_cndmask_b32_e32 v21, 0x7f800000, v71, vcc_lo
	v_cmp_nlt_f32_e32 vcc_lo, 0x42b17218, v66
	s_delay_alu instid0(VALU_DEP_2)
	v_fmac_f32_e32 v21, v13, v36
	s_wait_alu 0xfffd
	v_cndmask_b32_e32 v37, 0x7f800000, v72, vcc_lo
	v_cmp_nlt_f32_e32 vcc_lo, 0x42b17218, v38
	v_cvt_f16_f32_e32 v13, v36
	s_wait_alu 0xfffd
	v_cndmask_b32_e32 v22, 0x7f800000, v73, vcc_lo
	v_cmp_nlt_f32_e32 vcc_lo, 0x42b17218, v67
	s_delay_alu instid0(VALU_DEP_3) | instskip(NEXT) | instid1(VALU_DEP_3)
	v_and_b32_e32 v41, 0xffff, v13
	v_dual_mov_b32 v13, v21 :: v_dual_fmac_f32 v22, v14, v37
	s_wait_alu 0xfffd
	v_cndmask_b32_e32 v38, 0x7f800000, v74, vcc_lo
	v_cmp_nlt_f32_e32 vcc_lo, 0x42b17218, v39
	v_cvt_f16_f32_e32 v14, v37
	v_and_b32_e32 v37, 0xffff, v9
	v_and_b32_e32 v39, 0xffff, v11
	v_mul_u32_u24_e32 v41, 0x10001, v41
	s_wait_alu 0xfffd
	v_cndmask_b32_e32 v23, 0x7f800000, v75, vcc_lo
	v_and_b32_e32 v42, 0xffff, v14
	v_mul_u32_u24_e32 v37, 0x10001, v37
	v_mul_u32_u24_e32 v39, 0x10001, v39
	v_mov_b32_e32 v9, v17
	v_fmac_f32_e32 v23, v15, v38
	v_cvt_f16_f32_e32 v15, v38
	v_and_b32_e32 v38, 0xffff, v10
	v_mul_u32_u24_e32 v42, 0x10001, v42
	v_dual_mov_b32 v10, v18 :: v_dual_mov_b32 v11, v19
	s_delay_alu instid0(VALU_DEP_4) | instskip(NEXT) | instid1(VALU_DEP_4)
	v_and_b32_e32 v15, 0xffff, v15
	v_mul_u32_u24_e32 v38, 0x10001, v38
	v_mov_b32_e32 v14, v22
	v_pk_mul_f16 v59, v59, v37
	v_pk_mul_f16 v60, v60, v37
	v_mul_u32_u24_e32 v15, 0x10001, v15
	v_pk_mul_f16 v58, v58, v38
	v_pk_mul_f16 v57, v57, v38
	;; [unrolled: 1-line block ×6, first 2 shown]
	v_dual_mov_b32 v15, v23 :: v_dual_fmac_f32 v16, v8, v40
	v_cvt_f16_f32_e32 v8, v40
	v_and_b32_e32 v40, 0xffff, v12
	v_mov_b32_e32 v12, v20
	v_pk_mul_f16 v51, v51, v41
	v_pk_mul_f16 v52, v52, v41
	v_and_b32_e32 v36, 0xffff, v8
	v_mul_u32_u24_e32 v40, 0x10001, v40
	v_mov_b32_e32 v8, v16
	v_pk_mul_f16 v49, v49, v42
	v_pk_mul_f16 v50, v50, v42
	v_mul_u32_u24_e32 v36, 0x10001, v36
	v_pk_mul_f16 v53, v53, v40
	v_pk_mul_f16 v54, v54, v40
	s_delay_alu instid0(VALU_DEP_3)
	v_pk_mul_f16 v61, v61, v36
	v_pk_mul_f16 v62, v62, v36
	s_mov_b32 s3, exec_lo
	v_cmpx_gt_i32_e64 s22, v25
	s_cbranch_execnz .LBB75_80
.LBB75_78:
	s_nop 0
	s_sendmsg sendmsg(MSG_DEALLOC_VGPRS)
	s_endpgm
.LBB75_79:
	s_delay_alu instid0(VALU_DEP_1)
	v_dual_mov_b32 v23, v15 :: v_dual_mov_b32 v22, v14
	v_dual_mov_b32 v21, v13 :: v_dual_mov_b32 v20, v12
	;; [unrolled: 1-line block ×4, first 2 shown]
	s_mov_b32 s3, exec_lo
	v_cmpx_gt_i32_e64 s22, v25
	s_cbranch_execz .LBB75_78
.LBB75_80:
	s_load_b32 s1, s[0:1], 0xd4
	v_mov_b32_e32 v37, 1.0
	s_wait_kmcnt 0x0
	s_cmp_lg_u32 s1, 1
	s_cselect_b32 s5, -1, 0
	s_cmp_eq_u32 s1, 1
	s_cselect_b32 s6, -1, 0
	s_wait_alu 0xfffe
	s_and_b32 vcc_lo, exec_lo, s5
	s_wait_alu 0xfffe
	s_cbranch_vccnz .LBB75_82
; %bb.81:
	v_div_scale_f32 v25, null, v8, v8, 1.0
	s_delay_alu instid0(VALU_DEP_1) | instskip(NEXT) | instid1(TRANS32_DEP_1)
	v_rcp_f32_e32 v36, v25
	v_fma_f32 v37, -v25, v36, 1.0
	s_delay_alu instid0(VALU_DEP_1) | instskip(SKIP_1) | instid1(VALU_DEP_1)
	v_fmac_f32_e32 v36, v37, v36
	v_div_scale_f32 v37, vcc_lo, 1.0, v8, 1.0
	v_mul_f32_e32 v38, v37, v36
	s_delay_alu instid0(VALU_DEP_1) | instskip(NEXT) | instid1(VALU_DEP_1)
	v_fma_f32 v39, -v25, v38, v37
	v_fmac_f32_e32 v38, v39, v36
	s_delay_alu instid0(VALU_DEP_1) | instskip(SKIP_1) | instid1(VALU_DEP_1)
	v_fma_f32 v25, -v25, v38, v37
	s_wait_alu 0xfffd
	v_div_fmas_f32 v25, v25, v36, v38
	s_delay_alu instid0(VALU_DEP_1)
	v_div_fixup_f32 v37, v25, v8, 1.0
.LBB75_82:
	s_mul_i32 s3, s28, s22
	v_cmp_eq_u32_e32 vcc_lo, 0, v35
	s_wait_alu 0xfffe
	s_add_co_i32 s3, s3, s31
	v_cvt_f32_f16_e32 v35, v61
	s_wait_alu 0xfffe
	v_dual_mov_b32 v39, 0 :: v_dual_add_nc_u32 v8, s3, v24
	v_cvt_f32_f16_e32 v40, v62
	s_delay_alu instid0(VALU_DEP_2) | instskip(NEXT) | instid1(VALU_DEP_2)
	v_mul_lo_u32 v36, v8, s23
	v_mul_f32_e32 v40, v37, v40
	s_delay_alu instid0(VALU_DEP_2) | instskip(NEXT) | instid1(VALU_DEP_1)
	v_add_nc_u32_e32 v8, s2, v36
	v_mad_co_u64_u32 v[24:25], null, s1, v8, s[4:5]
	v_lshrrev_b32_e32 v8, 16, v61
	v_lshrrev_b32_e32 v25, 16, v62
	s_and_b32 s5, vcc_lo, s5
	s_delay_alu instid0(VALU_DEP_2) | instskip(NEXT) | instid1(VALU_DEP_4)
	v_cvt_f32_f16_e32 v8, v8
	v_lshl_add_u32 v38, v24, 7, v33
	s_delay_alu instid0(VALU_DEP_3) | instskip(NEXT) | instid1(VALU_DEP_2)
	v_cvt_f32_f16_e32 v25, v25
	v_lshlrev_b64_e32 v[42:43], 2, v[38:39]
	v_mul_f32_e32 v38, v37, v35
	v_mul_f32_e32 v39, v37, v8
	s_delay_alu instid0(VALU_DEP_4) | instskip(NEXT) | instid1(VALU_DEP_4)
	v_mul_f32_e32 v41, v37, v25
	v_add_co_u32 v42, s0, s16, v42
	s_wait_alu 0xf1ff
	v_add_co_ci_u32_e64 v43, null, s17, v43, s0
	global_store_b128 v[42:43], v[38:41], off
	s_wait_alu 0xfffe
	s_and_saveexec_b32 s0, s5
	s_cbranch_execz .LBB75_84
; %bb.83:
	v_ashrrev_i32_e32 v25, 31, v24
	v_dual_mov_b32 v37, v0 :: v_dual_mov_b32 v38, v16
	s_delay_alu instid0(VALU_DEP_2) | instskip(NEXT) | instid1(VALU_DEP_1)
	v_lshlrev_b64_e32 v[24:25], 3, v[24:25]
	v_add_co_u32 v24, vcc_lo, s18, v24
	s_wait_alu 0xfffd
	s_delay_alu instid0(VALU_DEP_2)
	v_add_co_ci_u32_e64 v25, null, s19, v25, vcc_lo
	global_store_b64 v[24:25], v[37:38], off
.LBB75_84:
	s_wait_alu 0xfffe
	s_or_b32 exec_lo, exec_lo, s0
	v_cndmask_b32_e64 v24, 0, 1, s6
	v_mov_b32_e32 v0, 1.0
	s_and_not1_b32 vcc_lo, exec_lo, s6
	s_wait_alu 0xfffe
	s_cbranch_vccnz .LBB75_86
; %bb.85:
	v_div_scale_f32 v0, null, v9, v9, 1.0
	s_delay_alu instid0(VALU_DEP_1) | instskip(NEXT) | instid1(TRANS32_DEP_1)
	v_rcp_f32_e32 v8, v0
	v_fma_f32 v16, -v0, v8, 1.0
	s_delay_alu instid0(VALU_DEP_1) | instskip(SKIP_1) | instid1(VALU_DEP_1)
	v_fmac_f32_e32 v8, v16, v8
	v_div_scale_f32 v16, vcc_lo, 1.0, v9, 1.0
	v_mul_f32_e32 v25, v16, v8
	s_delay_alu instid0(VALU_DEP_1) | instskip(NEXT) | instid1(VALU_DEP_1)
	v_fma_f32 v35, -v0, v25, v16
	v_fmac_f32_e32 v25, v35, v8
	s_delay_alu instid0(VALU_DEP_1) | instskip(SKIP_1) | instid1(VALU_DEP_1)
	v_fma_f32 v0, -v0, v25, v16
	s_wait_alu 0xfffd
	v_div_fmas_f32 v0, v0, v8, v25
	s_delay_alu instid0(VALU_DEP_1)
	v_div_fixup_f32 v0, v0, v9, 1.0
.LBB75_86:
	s_add_co_i32 s8, s2, 1
	v_cvt_f32_f16_e32 v25, v59
	v_add_nc_u32_e32 v8, s8, v36
	v_cvt_f32_f16_e32 v35, v60
	v_mov_b32_e32 v38, 0
	v_lshrrev_b32_e32 v16, 16, v60
	s_delay_alu instid0(VALU_DEP_4) | instskip(SKIP_2) | instid1(VALU_DEP_4)
	v_mad_co_u64_u32 v[8:9], null, s1, v8, s[4:5]
	v_lshrrev_b32_e32 v9, 16, v59
	v_mul_f32_e32 v39, v0, v35
	v_cvt_f32_f16_e32 v16, v16
	s_delay_alu instid0(VALU_DEP_3) | instskip(SKIP_1) | instid1(VALU_DEP_3)
	v_cvt_f32_f16_e32 v9, v9
	v_lshl_add_u32 v37, v8, 7, v33
	v_mul_f32_e32 v40, v0, v16
	s_delay_alu instid0(VALU_DEP_2) | instskip(SKIP_2) | instid1(VALU_DEP_3)
	v_lshlrev_b64_e32 v[41:42], 2, v[37:38]
	v_mul_f32_e32 v37, v0, v25
	v_mul_f32_e32 v38, v0, v9
	v_add_co_u32 v41, vcc_lo, s16, v41
	s_wait_alu 0xfffd
	s_delay_alu instid0(VALU_DEP_4)
	v_add_co_ci_u32_e64 v42, null, s17, v42, vcc_lo
	global_store_b128 v[41:42], v[37:40], off
	s_and_saveexec_b32 s0, s5
	s_cbranch_execz .LBB75_88
; %bb.87:
	v_ashrrev_i32_e32 v9, 31, v8
	v_mov_b32_e32 v16, v1
	s_delay_alu instid0(VALU_DEP_2) | instskip(NEXT) | instid1(VALU_DEP_1)
	v_lshlrev_b64_e32 v[8:9], 3, v[8:9]
	v_add_co_u32 v8, vcc_lo, s18, v8
	s_wait_alu 0xfffd
	s_delay_alu instid0(VALU_DEP_2)
	v_add_co_ci_u32_e64 v9, null, s19, v9, vcc_lo
	global_store_b64 v[8:9], v[16:17], off
.LBB75_88:
	s_wait_alu 0xfffe
	s_or_b32 exec_lo, exec_lo, s0
	v_cmp_ne_u32_e32 vcc_lo, 1, v24
	v_mov_b32_e32 v8, 1.0
	s_cbranch_vccnz .LBB75_90
; %bb.89:
	v_div_scale_f32 v0, null, v10, v10, 1.0
	s_delay_alu instid0(VALU_DEP_1) | instskip(NEXT) | instid1(TRANS32_DEP_1)
	v_rcp_f32_e32 v1, v0
	v_fma_f32 v8, -v0, v1, 1.0
	s_delay_alu instid0(VALU_DEP_1) | instskip(SKIP_1) | instid1(VALU_DEP_1)
	v_fmac_f32_e32 v1, v8, v1
	v_div_scale_f32 v8, vcc_lo, 1.0, v10, 1.0
	v_mul_f32_e32 v9, v8, v1
	s_delay_alu instid0(VALU_DEP_1) | instskip(NEXT) | instid1(VALU_DEP_1)
	v_fma_f32 v16, -v0, v9, v8
	v_fmac_f32_e32 v9, v16, v1
	s_delay_alu instid0(VALU_DEP_1) | instskip(SKIP_1) | instid1(VALU_DEP_1)
	v_fma_f32 v0, -v0, v9, v8
	s_wait_alu 0xfffd
	v_div_fmas_f32 v0, v0, v1, v9
	s_delay_alu instid0(VALU_DEP_1)
	v_div_fixup_f32 v8, v0, v10, 1.0
.LBB75_90:
	s_add_co_i32 s6, s2, 2
	v_cvt_f32_f16_e32 v17, v58
	s_wait_alu 0xfffe
	v_add_nc_u32_e32 v0, s6, v36
	v_cvt_f32_f16_e32 v25, v57
	v_mov_b32_e32 v10, 0
	v_lshrrev_b32_e32 v16, 16, v57
	v_mul_f32_e32 v37, v8, v17
	v_mad_co_u64_u32 v[0:1], null, s1, v0, s[4:5]
	v_lshrrev_b32_e32 v1, 16, v58
	v_mul_f32_e32 v39, v8, v25
	v_cvt_f32_f16_e32 v16, v16
	s_delay_alu instid0(VALU_DEP_3) | instskip(SKIP_1) | instid1(VALU_DEP_3)
	v_cvt_f32_f16_e32 v1, v1
	v_lshl_add_u32 v9, v0, 7, v33
	v_mul_f32_e32 v40, v8, v16
	s_delay_alu instid0(VALU_DEP_3) | instskip(NEXT) | instid1(VALU_DEP_3)
	v_mul_f32_e32 v38, v8, v1
	v_lshlrev_b64_e32 v[9:10], 2, v[9:10]
	s_delay_alu instid0(VALU_DEP_1) | instskip(SKIP_1) | instid1(VALU_DEP_2)
	v_add_co_u32 v8, vcc_lo, s16, v9
	s_wait_alu 0xfffd
	v_add_co_ci_u32_e64 v9, null, s17, v10, vcc_lo
	global_store_b128 v[8:9], v[37:40], off
	s_and_saveexec_b32 s0, s5
	s_cbranch_execz .LBB75_92
; %bb.91:
	v_ashrrev_i32_e32 v1, 31, v0
	v_mov_b32_e32 v17, v2
	s_delay_alu instid0(VALU_DEP_2) | instskip(NEXT) | instid1(VALU_DEP_1)
	v_lshlrev_b64_e32 v[0:1], 3, v[0:1]
	v_add_co_u32 v0, vcc_lo, s18, v0
	s_wait_alu 0xfffd
	s_delay_alu instid0(VALU_DEP_2)
	v_add_co_ci_u32_e64 v1, null, s19, v1, vcc_lo
	global_store_b64 v[0:1], v[17:18], off
.LBB75_92:
	s_wait_alu 0xfffe
	s_or_b32 exec_lo, exec_lo, s0
	v_cmp_ne_u32_e32 vcc_lo, 1, v24
	v_mov_b32_e32 v2, 1.0
	s_cbranch_vccnz .LBB75_94
; %bb.93:
	v_div_scale_f32 v0, null, v11, v11, 1.0
	s_delay_alu instid0(VALU_DEP_1) | instskip(NEXT) | instid1(TRANS32_DEP_1)
	v_rcp_f32_e32 v1, v0
	v_fma_f32 v2, -v0, v1, 1.0
	s_delay_alu instid0(VALU_DEP_1) | instskip(SKIP_1) | instid1(VALU_DEP_1)
	v_fmac_f32_e32 v1, v2, v1
	v_div_scale_f32 v2, vcc_lo, 1.0, v11, 1.0
	v_mul_f32_e32 v8, v2, v1
	s_delay_alu instid0(VALU_DEP_1) | instskip(NEXT) | instid1(VALU_DEP_1)
	v_fma_f32 v9, -v0, v8, v2
	v_fmac_f32_e32 v8, v9, v1
	s_delay_alu instid0(VALU_DEP_1) | instskip(SKIP_1) | instid1(VALU_DEP_1)
	v_fma_f32 v0, -v0, v8, v2
	s_wait_alu 0xfffd
	v_div_fmas_f32 v0, v0, v1, v8
	s_delay_alu instid0(VALU_DEP_1)
	v_div_fixup_f32 v2, v0, v11, 1.0
.LBB75_94:
	s_add_co_i32 s0, s2, 3
	v_lshrrev_b32_e32 v10, 16, v56
	s_wait_alu 0xfffe
	v_dual_mov_b32 v9, 0 :: v_dual_add_nc_u32 v0, s0, v36
	v_cvt_f32_f16_e32 v11, v55
	v_cvt_f32_f16_e32 v18, v56
	;; [unrolled: 1-line block ×3, first 2 shown]
	s_delay_alu instid0(VALU_DEP_4) | instskip(SKIP_1) | instid1(VALU_DEP_4)
	v_mad_co_u64_u32 v[0:1], null, s1, v0, s[4:5]
	v_lshrrev_b32_e32 v1, 16, v55
	v_mul_f32_e32 v10, v2, v18
	s_delay_alu instid0(VALU_DEP_2) | instskip(NEXT) | instid1(VALU_DEP_4)
	v_cvt_f32_f16_e32 v1, v1
	v_lshl_add_u32 v8, v0, 7, v33
	s_delay_alu instid0(VALU_DEP_1) | instskip(NEXT) | instid1(VALU_DEP_3)
	v_lshlrev_b64_e32 v[16:17], 2, v[8:9]
	v_mul_f32_e32 v9, v2, v1
	v_mul_f32_e32 v8, v2, v11
	;; [unrolled: 1-line block ×3, first 2 shown]
	s_delay_alu instid0(VALU_DEP_4)
	v_add_co_u32 v1, vcc_lo, s16, v16
	s_wait_alu 0xfffd
	v_add_co_ci_u32_e64 v2, null, s17, v17, vcc_lo
	global_store_b128 v[1:2], v[8:11], off
	s_and_saveexec_b32 s7, s5
	s_cbranch_execz .LBB75_96
; %bb.95:
	v_ashrrev_i32_e32 v1, 31, v0
	v_mov_b32_e32 v18, v3
	s_delay_alu instid0(VALU_DEP_2) | instskip(NEXT) | instid1(VALU_DEP_1)
	v_lshlrev_b64_e32 v[0:1], 3, v[0:1]
	v_add_co_u32 v0, vcc_lo, s18, v0
	s_wait_alu 0xfffd
	s_delay_alu instid0(VALU_DEP_2)
	v_add_co_ci_u32_e64 v1, null, s19, v1, vcc_lo
	global_store_b64 v[0:1], v[18:19], off
.LBB75_96:
	s_wait_alu 0xfffe
	s_or_b32 exec_lo, exec_lo, s7
	v_cmp_gt_i32_e32 vcc_lo, s22, v34
	s_and_b32 exec_lo, exec_lo, vcc_lo
	s_cbranch_execz .LBB75_78
; %bb.97:
	v_cmp_ne_u32_e32 vcc_lo, 1, v24
	v_mov_b32_e32 v2, 1.0
	s_cbranch_vccnz .LBB75_99
; %bb.98:
	v_div_scale_f32 v0, null, v12, v12, 1.0
	s_delay_alu instid0(VALU_DEP_1) | instskip(NEXT) | instid1(TRANS32_DEP_1)
	v_rcp_f32_e32 v1, v0
	v_fma_f32 v2, -v0, v1, 1.0
	s_delay_alu instid0(VALU_DEP_1) | instskip(SKIP_1) | instid1(VALU_DEP_1)
	v_fmac_f32_e32 v1, v2, v1
	v_div_scale_f32 v2, vcc_lo, 1.0, v12, 1.0
	v_mul_f32_e32 v3, v2, v1
	s_delay_alu instid0(VALU_DEP_1) | instskip(NEXT) | instid1(VALU_DEP_1)
	v_fma_f32 v8, -v0, v3, v2
	v_fmac_f32_e32 v3, v8, v1
	s_delay_alu instid0(VALU_DEP_1) | instskip(SKIP_1) | instid1(VALU_DEP_1)
	v_fma_f32 v0, -v0, v3, v2
	s_wait_alu 0xfffd
	v_div_fmas_f32 v0, v0, v1, v3
	s_delay_alu instid0(VALU_DEP_1)
	v_div_fixup_f32 v2, v0, v12, 1.0
.LBB75_99:
	v_dual_mov_b32 v9, 0 :: v_dual_add_nc_u32 v0, s3, v32
	v_lshrrev_b32_e32 v3, 16, v54
	v_cvt_f32_f16_e32 v10, v53
	v_cvt_f32_f16_e32 v11, v54
	s_delay_alu instid0(VALU_DEP_4) | instskip(NEXT) | instid1(VALU_DEP_4)
	v_mad_co_u64_u32 v[0:1], null, v0, s23, s[2:3]
	v_cvt_f32_f16_e32 v3, v3
	s_delay_alu instid0(VALU_DEP_2) | instskip(SKIP_1) | instid1(VALU_DEP_1)
	v_mad_co_u64_u32 v[0:1], null, s1, v0, s[4:5]
	v_lshrrev_b32_e32 v1, 16, v53
	v_cvt_f32_f16_e32 v1, v1
	s_delay_alu instid0(VALU_DEP_3) | instskip(NEXT) | instid1(VALU_DEP_1)
	v_lshl_add_u32 v8, v0, 7, v33
	v_lshlrev_b64_e32 v[16:17], 2, v[8:9]
	s_delay_alu instid0(VALU_DEP_3)
	v_mul_f32_e32 v9, v2, v1
	v_mul_f32_e32 v8, v2, v10
	;; [unrolled: 1-line block ×4, first 2 shown]
	v_add_co_u32 v1, vcc_lo, s16, v16
	s_wait_alu 0xfffd
	v_add_co_ci_u32_e64 v2, null, s17, v17, vcc_lo
	global_store_b128 v[1:2], v[8:11], off
	s_and_saveexec_b32 s2, s5
	s_cbranch_execz .LBB75_101
; %bb.100:
	v_ashrrev_i32_e32 v1, 31, v0
	v_mov_b32_e32 v19, v4
	s_delay_alu instid0(VALU_DEP_2) | instskip(NEXT) | instid1(VALU_DEP_1)
	v_lshlrev_b64_e32 v[0:1], 3, v[0:1]
	v_add_co_u32 v0, vcc_lo, s18, v0
	s_wait_alu 0xfffd
	s_delay_alu instid0(VALU_DEP_2)
	v_add_co_ci_u32_e64 v1, null, s19, v1, vcc_lo
	global_store_b64 v[0:1], v[19:20], off
.LBB75_101:
	s_wait_alu 0xfffe
	s_or_b32 exec_lo, exec_lo, s2
	v_cmp_gt_i32_e32 vcc_lo, s22, v31
	s_and_b32 exec_lo, exec_lo, vcc_lo
	s_cbranch_execz .LBB75_78
; %bb.102:
	v_cmp_ne_u32_e32 vcc_lo, 1, v24
	v_mov_b32_e32 v2, 1.0
	s_cbranch_vccnz .LBB75_104
; %bb.103:
	v_div_scale_f32 v0, null, v13, v13, 1.0
	s_delay_alu instid0(VALU_DEP_1) | instskip(NEXT) | instid1(TRANS32_DEP_1)
	v_rcp_f32_e32 v1, v0
	v_fma_f32 v2, -v0, v1, 1.0
	s_delay_alu instid0(VALU_DEP_1) | instskip(SKIP_1) | instid1(VALU_DEP_1)
	v_fmac_f32_e32 v1, v2, v1
	v_div_scale_f32 v2, vcc_lo, 1.0, v13, 1.0
	v_mul_f32_e32 v3, v2, v1
	s_delay_alu instid0(VALU_DEP_1) | instskip(NEXT) | instid1(VALU_DEP_1)
	v_fma_f32 v4, -v0, v3, v2
	v_fmac_f32_e32 v3, v4, v1
	s_delay_alu instid0(VALU_DEP_1) | instskip(SKIP_1) | instid1(VALU_DEP_1)
	v_fma_f32 v0, -v0, v3, v2
	s_wait_alu 0xfffd
	v_div_fmas_f32 v0, v0, v1, v3
	s_delay_alu instid0(VALU_DEP_1)
	v_div_fixup_f32 v2, v0, v13, 1.0
.LBB75_104:
	v_add_nc_u32_e32 v0, s3, v30
	v_lshrrev_b32_e32 v8, 16, v52
	v_cvt_f32_f16_e32 v9, v51
	v_cvt_f32_f16_e32 v10, v52
	s_delay_alu instid0(VALU_DEP_4) | instskip(NEXT) | instid1(VALU_DEP_4)
	v_mad_co_u64_u32 v[0:1], null, v0, s23, s[8:9]
	v_cvt_f32_f16_e32 v11, v8
	v_mov_b32_e32 v4, 0
	v_mul_f32_e32 v8, v2, v9
	v_mul_f32_e32 v10, v2, v10
	s_delay_alu instid0(VALU_DEP_4) | instskip(SKIP_2) | instid1(VALU_DEP_1)
	v_mul_f32_e32 v11, v2, v11
	v_mad_co_u64_u32 v[0:1], null, s1, v0, s[4:5]
	v_lshrrev_b32_e32 v1, 16, v51
	v_cvt_f32_f16_e32 v1, v1
	s_delay_alu instid0(VALU_DEP_3) | instskip(NEXT) | instid1(VALU_DEP_2)
	v_lshl_add_u32 v3, v0, 7, v33
	v_mul_f32_e32 v9, v2, v1
	s_delay_alu instid0(VALU_DEP_2) | instskip(NEXT) | instid1(VALU_DEP_1)
	v_lshlrev_b64_e32 v[3:4], 2, v[3:4]
	v_add_co_u32 v1, vcc_lo, s16, v3
	s_wait_alu 0xfffd
	s_delay_alu instid0(VALU_DEP_2)
	v_add_co_ci_u32_e64 v2, null, s17, v4, vcc_lo
	global_store_b128 v[1:2], v[8:11], off
	s_and_saveexec_b32 s2, s5
	s_cbranch_execz .LBB75_106
; %bb.105:
	v_ashrrev_i32_e32 v1, 31, v0
	v_mov_b32_e32 v20, v5
	s_delay_alu instid0(VALU_DEP_2) | instskip(NEXT) | instid1(VALU_DEP_1)
	v_lshlrev_b64_e32 v[0:1], 3, v[0:1]
	v_add_co_u32 v0, vcc_lo, s18, v0
	s_wait_alu 0xfffd
	s_delay_alu instid0(VALU_DEP_2)
	v_add_co_ci_u32_e64 v1, null, s19, v1, vcc_lo
	global_store_b64 v[0:1], v[20:21], off
.LBB75_106:
	s_wait_alu 0xfffe
	s_or_b32 exec_lo, exec_lo, s2
	v_cmp_gt_i32_e32 vcc_lo, s22, v29
	s_and_b32 exec_lo, exec_lo, vcc_lo
	s_cbranch_execz .LBB75_78
; %bb.107:
	v_cmp_ne_u32_e32 vcc_lo, 1, v24
	v_mov_b32_e32 v2, 1.0
	s_cbranch_vccnz .LBB75_109
; %bb.108:
	v_div_scale_f32 v0, null, v14, v14, 1.0
	s_delay_alu instid0(VALU_DEP_1) | instskip(NEXT) | instid1(TRANS32_DEP_1)
	v_rcp_f32_e32 v1, v0
	v_fma_f32 v2, -v0, v1, 1.0
	s_delay_alu instid0(VALU_DEP_1) | instskip(SKIP_1) | instid1(VALU_DEP_1)
	v_fmac_f32_e32 v1, v2, v1
	v_div_scale_f32 v2, vcc_lo, 1.0, v14, 1.0
	v_mul_f32_e32 v3, v2, v1
	s_delay_alu instid0(VALU_DEP_1) | instskip(NEXT) | instid1(VALU_DEP_1)
	v_fma_f32 v4, -v0, v3, v2
	v_fmac_f32_e32 v3, v4, v1
	s_delay_alu instid0(VALU_DEP_1) | instskip(SKIP_1) | instid1(VALU_DEP_1)
	v_fma_f32 v0, -v0, v3, v2
	s_wait_alu 0xfffd
	v_div_fmas_f32 v0, v0, v1, v3
	s_delay_alu instid0(VALU_DEP_1)
	v_div_fixup_f32 v2, v0, v14, 1.0
.LBB75_109:
	v_add_nc_u32_e32 v0, s3, v28
	v_lshrrev_b32_e32 v5, 16, v50
	v_cvt_f32_f16_e32 v9, v50
	v_cvt_f32_f16_e32 v8, v49
	s_delay_alu instid0(VALU_DEP_4) | instskip(NEXT) | instid1(VALU_DEP_4)
	v_mad_co_u64_u32 v[0:1], null, v0, s23, s[6:7]
	v_cvt_f32_f16_e32 v5, v5
	v_mov_b32_e32 v4, 0
	v_mul_f32_e32 v10, v2, v9
	v_mul_f32_e32 v8, v2, v8
	s_delay_alu instid0(VALU_DEP_4) | instskip(SKIP_2) | instid1(VALU_DEP_1)
	v_mul_f32_e32 v11, v2, v5
	v_mad_co_u64_u32 v[0:1], null, s1, v0, s[4:5]
	v_lshrrev_b32_e32 v1, 16, v49
	v_cvt_f32_f16_e32 v1, v1
	s_delay_alu instid0(VALU_DEP_3) | instskip(NEXT) | instid1(VALU_DEP_2)
	v_lshl_add_u32 v3, v0, 7, v33
	v_mul_f32_e32 v9, v2, v1
	s_delay_alu instid0(VALU_DEP_2) | instskip(NEXT) | instid1(VALU_DEP_1)
	v_lshlrev_b64_e32 v[3:4], 2, v[3:4]
	v_add_co_u32 v1, vcc_lo, s16, v3
	s_wait_alu 0xfffd
	s_delay_alu instid0(VALU_DEP_2)
	v_add_co_ci_u32_e64 v2, null, s17, v4, vcc_lo
	global_store_b128 v[1:2], v[8:11], off
	s_and_saveexec_b32 s2, s5
	s_cbranch_execz .LBB75_111
; %bb.110:
	v_ashrrev_i32_e32 v1, 31, v0
	v_mov_b32_e32 v21, v6
	s_delay_alu instid0(VALU_DEP_2) | instskip(NEXT) | instid1(VALU_DEP_1)
	v_lshlrev_b64_e32 v[0:1], 3, v[0:1]
	v_add_co_u32 v0, vcc_lo, s18, v0
	s_wait_alu 0xfffd
	s_delay_alu instid0(VALU_DEP_2)
	v_add_co_ci_u32_e64 v1, null, s19, v1, vcc_lo
	global_store_b64 v[0:1], v[21:22], off
.LBB75_111:
	s_wait_alu 0xfffe
	s_or_b32 exec_lo, exec_lo, s2
	v_cmp_gt_i32_e32 vcc_lo, s22, v27
	s_and_b32 exec_lo, exec_lo, vcc_lo
	s_cbranch_execz .LBB75_78
; %bb.112:
	v_cmp_ne_u32_e32 vcc_lo, 1, v24
	v_mov_b32_e32 v2, 1.0
	s_cbranch_vccnz .LBB75_114
; %bb.113:
	v_div_scale_f32 v0, null, v15, v15, 1.0
	s_delay_alu instid0(VALU_DEP_1) | instskip(NEXT) | instid1(TRANS32_DEP_1)
	v_rcp_f32_e32 v1, v0
	v_fma_f32 v2, -v0, v1, 1.0
	s_delay_alu instid0(VALU_DEP_1) | instskip(SKIP_1) | instid1(VALU_DEP_1)
	v_fmac_f32_e32 v1, v2, v1
	v_div_scale_f32 v2, vcc_lo, 1.0, v15, 1.0
	v_mul_f32_e32 v3, v2, v1
	s_delay_alu instid0(VALU_DEP_1) | instskip(NEXT) | instid1(VALU_DEP_1)
	v_fma_f32 v4, -v0, v3, v2
	v_fmac_f32_e32 v3, v4, v1
	s_delay_alu instid0(VALU_DEP_1) | instskip(SKIP_1) | instid1(VALU_DEP_1)
	v_fma_f32 v0, -v0, v3, v2
	s_wait_alu 0xfffd
	v_div_fmas_f32 v0, v0, v1, v3
	s_delay_alu instid0(VALU_DEP_1)
	v_div_fixup_f32 v2, v0, v15, 1.0
.LBB75_114:
	v_add_nc_u32_e32 v0, s3, v26
	v_cvt_f32_f16_e32 v6, v48
	v_mov_b32_e32 v4, 0
	v_lshrrev_b32_e32 v5, 16, v47
	v_cvt_f32_f16_e32 v10, v47
	v_mad_co_u64_u32 v[0:1], null, v0, s23, s[0:1]
	s_delay_alu instid0(VALU_DEP_3) | instskip(NEXT) | instid1(VALU_DEP_3)
	v_cvt_f32_f16_e32 v11, v5
	v_mul_f32_e32 v5, v2, v10
	s_delay_alu instid0(VALU_DEP_3) | instskip(SKIP_1) | instid1(VALU_DEP_1)
	v_mad_co_u64_u32 v[0:1], null, s1, v0, s[4:5]
	v_lshrrev_b32_e32 v1, 16, v48
	v_cvt_f32_f16_e32 v1, v1
	s_delay_alu instid0(VALU_DEP_3) | instskip(NEXT) | instid1(VALU_DEP_1)
	v_lshl_add_u32 v3, v0, 7, v33
	v_lshlrev_b64_e32 v[8:9], 2, v[3:4]
	s_delay_alu instid0(VALU_DEP_3) | instskip(SKIP_2) | instid1(VALU_DEP_4)
	v_mul_f32_e32 v4, v2, v1
	v_mul_f32_e32 v3, v2, v6
	;; [unrolled: 1-line block ×3, first 2 shown]
	v_add_co_u32 v1, vcc_lo, s16, v8
	s_wait_alu 0xfffd
	v_add_co_ci_u32_e64 v2, null, s17, v9, vcc_lo
	global_store_b128 v[1:2], v[3:6], off
	s_and_b32 exec_lo, exec_lo, s5
	s_cbranch_execz .LBB75_78
; %bb.115:
	v_ashrrev_i32_e32 v1, 31, v0
	v_mov_b32_e32 v22, v7
	s_delay_alu instid0(VALU_DEP_2) | instskip(NEXT) | instid1(VALU_DEP_1)
	v_lshlrev_b64_e32 v[0:1], 3, v[0:1]
	v_add_co_u32 v0, vcc_lo, s18, v0
	s_wait_alu 0xfffd
	s_delay_alu instid0(VALU_DEP_2)
	v_add_co_ci_u32_e64 v1, null, s19, v1, vcc_lo
	global_store_b64 v[0:1], v[22:23], off
	s_nop 0
	s_sendmsg sendmsg(MSG_DEALLOC_VGPRS)
	s_endpgm
	.section	.rodata,"a",@progbits
	.p2align	6, 0x0
	.amdhsa_kernel _ZL15flash_attn_tileILi128ELi128ELi16ELi4ELb1EEvPKcS1_S1_S1_S1_PKiPfP15HIP_vector_typeIfLj2EEffffjfiS5_IjLj3EEiiiiiiiiiiiliiliiiiil
		.amdhsa_group_segment_fixed_size 33792
		.amdhsa_private_segment_fixed_size 0
		.amdhsa_kernarg_size 464
		.amdhsa_user_sgpr_count 2
		.amdhsa_user_sgpr_dispatch_ptr 0
		.amdhsa_user_sgpr_queue_ptr 0
		.amdhsa_user_sgpr_kernarg_segment_ptr 1
		.amdhsa_user_sgpr_dispatch_id 0
		.amdhsa_user_sgpr_private_segment_size 0
		.amdhsa_wavefront_size32 1
		.amdhsa_uses_dynamic_stack 0
		.amdhsa_enable_private_segment 0
		.amdhsa_system_sgpr_workgroup_id_x 1
		.amdhsa_system_sgpr_workgroup_id_y 1
		.amdhsa_system_sgpr_workgroup_id_z 1
		.amdhsa_system_sgpr_workgroup_info 0
		.amdhsa_system_vgpr_workitem_id 1
		.amdhsa_next_free_vgpr 217
		.amdhsa_next_free_sgpr 50
		.amdhsa_reserve_vcc 1
		.amdhsa_float_round_mode_32 0
		.amdhsa_float_round_mode_16_64 0
		.amdhsa_float_denorm_mode_32 3
		.amdhsa_float_denorm_mode_16_64 3
		.amdhsa_fp16_overflow 0
		.amdhsa_workgroup_processor_mode 1
		.amdhsa_memory_ordered 1
		.amdhsa_forward_progress 1
		.amdhsa_inst_pref_size 255
		.amdhsa_round_robin_scheduling 0
		.amdhsa_exception_fp_ieee_invalid_op 0
		.amdhsa_exception_fp_denorm_src 0
		.amdhsa_exception_fp_ieee_div_zero 0
		.amdhsa_exception_fp_ieee_overflow 0
		.amdhsa_exception_fp_ieee_underflow 0
		.amdhsa_exception_fp_ieee_inexact 0
		.amdhsa_exception_int_div_zero 0
	.end_amdhsa_kernel
	.section	.text._ZL15flash_attn_tileILi128ELi128ELi16ELi4ELb1EEvPKcS1_S1_S1_S1_PKiPfP15HIP_vector_typeIfLj2EEffffjfiS5_IjLj3EEiiiiiiiiiiiliiliiiiil,"axG",@progbits,_ZL15flash_attn_tileILi128ELi128ELi16ELi4ELb1EEvPKcS1_S1_S1_S1_PKiPfP15HIP_vector_typeIfLj2EEffffjfiS5_IjLj3EEiiiiiiiiiiiliiliiiiil,comdat
.Lfunc_end75:
	.size	_ZL15flash_attn_tileILi128ELi128ELi16ELi4ELb1EEvPKcS1_S1_S1_S1_PKiPfP15HIP_vector_typeIfLj2EEffffjfiS5_IjLj3EEiiiiiiiiiiiliiliiiiil, .Lfunc_end75-_ZL15flash_attn_tileILi128ELi128ELi16ELi4ELb1EEvPKcS1_S1_S1_S1_PKiPfP15HIP_vector_typeIfLj2EEffffjfiS5_IjLj3EEiiiiiiiiiiiliiliiiiil
                                        ; -- End function
	.set _ZL15flash_attn_tileILi128ELi128ELi16ELi4ELb1EEvPKcS1_S1_S1_S1_PKiPfP15HIP_vector_typeIfLj2EEffffjfiS5_IjLj3EEiiiiiiiiiiiliiliiiiil.num_vgpr, 155
	.set _ZL15flash_attn_tileILi128ELi128ELi16ELi4ELb1EEvPKcS1_S1_S1_S1_PKiPfP15HIP_vector_typeIfLj2EEffffjfiS5_IjLj3EEiiiiiiiiiiiliiliiiiil.num_agpr, 0
	.set _ZL15flash_attn_tileILi128ELi128ELi16ELi4ELb1EEvPKcS1_S1_S1_S1_PKiPfP15HIP_vector_typeIfLj2EEffffjfiS5_IjLj3EEiiiiiiiiiiiliiliiiiil.numbered_sgpr, 50
	.set _ZL15flash_attn_tileILi128ELi128ELi16ELi4ELb1EEvPKcS1_S1_S1_S1_PKiPfP15HIP_vector_typeIfLj2EEffffjfiS5_IjLj3EEiiiiiiiiiiiliiliiiiil.num_named_barrier, 0
	.set _ZL15flash_attn_tileILi128ELi128ELi16ELi4ELb1EEvPKcS1_S1_S1_S1_PKiPfP15HIP_vector_typeIfLj2EEffffjfiS5_IjLj3EEiiiiiiiiiiiliiliiiiil.private_seg_size, 0
	.set _ZL15flash_attn_tileILi128ELi128ELi16ELi4ELb1EEvPKcS1_S1_S1_S1_PKiPfP15HIP_vector_typeIfLj2EEffffjfiS5_IjLj3EEiiiiiiiiiiiliiliiiiil.uses_vcc, 1
	.set _ZL15flash_attn_tileILi128ELi128ELi16ELi4ELb1EEvPKcS1_S1_S1_S1_PKiPfP15HIP_vector_typeIfLj2EEffffjfiS5_IjLj3EEiiiiiiiiiiiliiliiiiil.uses_flat_scratch, 0
	.set _ZL15flash_attn_tileILi128ELi128ELi16ELi4ELb1EEvPKcS1_S1_S1_S1_PKiPfP15HIP_vector_typeIfLj2EEffffjfiS5_IjLj3EEiiiiiiiiiiiliiliiiiil.has_dyn_sized_stack, 0
	.set _ZL15flash_attn_tileILi128ELi128ELi16ELi4ELb1EEvPKcS1_S1_S1_S1_PKiPfP15HIP_vector_typeIfLj2EEffffjfiS5_IjLj3EEiiiiiiiiiiiliiliiiiil.has_recursion, 0
	.set _ZL15flash_attn_tileILi128ELi128ELi16ELi4ELb1EEvPKcS1_S1_S1_S1_PKiPfP15HIP_vector_typeIfLj2EEffffjfiS5_IjLj3EEiiiiiiiiiiiliiliiiiil.has_indirect_call, 0
	.section	.AMDGPU.csdata,"",@progbits
; Kernel info:
; codeLenInByte = 36604
; TotalNumSgprs: 52
; NumVgprs: 155
; ScratchSize: 0
; MemoryBound: 0
; FloatMode: 240
; IeeeMode: 1
; LDSByteSize: 33792 bytes/workgroup (compile time only)
; SGPRBlocks: 0
; VGPRBlocks: 27
; NumSGPRsForWavesPerEU: 52
; NumVGPRsForWavesPerEU: 217
; Occupancy: 6
; WaveLimiterHint : 1
; COMPUTE_PGM_RSRC2:SCRATCH_EN: 0
; COMPUTE_PGM_RSRC2:USER_SGPR: 2
; COMPUTE_PGM_RSRC2:TRAP_HANDLER: 0
; COMPUTE_PGM_RSRC2:TGID_X_EN: 1
; COMPUTE_PGM_RSRC2:TGID_Y_EN: 1
; COMPUTE_PGM_RSRC2:TGID_Z_EN: 1
; COMPUTE_PGM_RSRC2:TIDIG_COMP_CNT: 1
	.section	.text._ZL15flash_attn_tileILi128ELi128ELi8ELi4ELb1EEvPKcS1_S1_S1_S1_PKiPfP15HIP_vector_typeIfLj2EEffffjfiS5_IjLj3EEiiiiiiiiiiiliiliiiiil,"axG",@progbits,_ZL15flash_attn_tileILi128ELi128ELi8ELi4ELb1EEvPKcS1_S1_S1_S1_PKiPfP15HIP_vector_typeIfLj2EEffffjfiS5_IjLj3EEiiiiiiiiiiiliiliiiiil,comdat
	.globl	_ZL15flash_attn_tileILi128ELi128ELi8ELi4ELb1EEvPKcS1_S1_S1_S1_PKiPfP15HIP_vector_typeIfLj2EEffffjfiS5_IjLj3EEiiiiiiiiiiiliiliiiiil ; -- Begin function _ZL15flash_attn_tileILi128ELi128ELi8ELi4ELb1EEvPKcS1_S1_S1_S1_PKiPfP15HIP_vector_typeIfLj2EEffffjfiS5_IjLj3EEiiiiiiiiiiiliiliiiiil
	.p2align	8
	.type	_ZL15flash_attn_tileILi128ELi128ELi8ELi4ELb1EEvPKcS1_S1_S1_S1_PKiPfP15HIP_vector_typeIfLj2EEffffjfiS5_IjLj3EEiiiiiiiiiiiliiliiiiil,@function
_ZL15flash_attn_tileILi128ELi128ELi8ELi4ELb1EEvPKcS1_S1_S1_S1_PKiPfP15HIP_vector_typeIfLj2EEffffjfiS5_IjLj3EEiiiiiiiiiiiliiliiiiil: ; @_ZL15flash_attn_tileILi128ELi128ELi8ELi4ELb1EEvPKcS1_S1_S1_S1_PKiPfP15HIP_vector_typeIfLj2EEffffjfiS5_IjLj3EEiiiiiiiiiiiliiliiiiil
; %bb.0:
	s_clause 0x1
	s_load_b128 s[20:23], s[0:1], 0x5c
	s_load_b64 s[30:31], s[0:1], 0x80
	s_lshr_b32 s5, ttmp7, 16
	s_load_b64 s[38:39], s[0:1], 0xb8
	s_mov_b32 s37, 0
	s_mov_b64 s[34:35], 0
	s_wait_kmcnt 0x0
	s_ashr_i32 s2, s23, 31
	s_delay_alu instid0(SALU_CYCLE_1) | instskip(NEXT) | instid1(SALU_CYCLE_1)
	s_lshr_b32 s2, s2, 30
	s_add_co_i32 s2, s23, s2
	s_delay_alu instid0(SALU_CYCLE_1) | instskip(NEXT) | instid1(SALU_CYCLE_1)
	s_ashr_i32 s2, s2, 2
	s_cvt_f32_u32 s3, s2
	s_sub_co_i32 s4, 0, s2
	s_delay_alu instid0(SALU_CYCLE_2) | instskip(NEXT) | instid1(TRANS32_DEP_1)
	v_rcp_iflag_f32_e32 v1, s3
	v_readfirstlane_b32 s3, v1
	s_mul_f32 s3, s3, 0x4f7ffffe
	s_wait_alu 0xfffe
	s_delay_alu instid0(SALU_CYCLE_2) | instskip(SKIP_1) | instid1(SALU_CYCLE_2)
	s_cvt_u32_f32 s3, s3
	s_wait_alu 0xfffe
	s_mul_i32 s4, s4, s3
	s_delay_alu instid0(SALU_CYCLE_1) | instskip(NEXT) | instid1(SALU_CYCLE_1)
	s_mul_hi_u32 s4, s3, s4
	s_add_co_i32 s3, s3, s4
	s_wait_alu 0xfffe
	s_mul_hi_u32 s3, s5, s3
	s_wait_alu 0xfffe
	s_mul_i32 s4, s3, s2
	s_add_co_i32 s6, s3, 1
	s_sub_co_i32 s4, s5, s4
	s_delay_alu instid0(SALU_CYCLE_1)
	s_sub_co_i32 s7, s4, s2
	s_cmp_ge_u32 s4, s2
	s_cselect_b32 s3, s6, s3
	s_cselect_b32 s4, s7, s4
	s_wait_alu 0xfffe
	s_add_co_i32 s6, s3, 1
	s_cmp_ge_u32 s4, s2
	s_cselect_b32 s2, s6, s3
	s_abs_i32 s3, s31
	s_abs_i32 s8, s23
	s_wait_alu 0xfffe
	s_cvt_f32_u32 s4, s3
	s_sub_co_i32 s6, 0, s3
	s_lshl_b32 s5, s5, 2
	s_mul_i32 s7, s2, s23
	v_rcp_iflag_f32_e32 v1, s4
	s_sub_co_i32 s28, s5, s7
	s_xor_b32 s5, s23, s31
	s_wait_alu 0xfffe
	s_ashr_i32 s24, s5, 31
	s_delay_alu instid0(TRANS32_DEP_1) | instskip(SKIP_2) | instid1(SALU_CYCLE_2)
	v_readfirstlane_b32 s4, v1
	s_mul_f32 s4, s4, 0x4f7ffffe
	s_wait_alu 0xfffe
	s_cvt_u32_f32 s4, s4
	s_wait_alu 0xfffe
	s_delay_alu instid0(SALU_CYCLE_2) | instskip(NEXT) | instid1(SALU_CYCLE_1)
	s_mul_i32 s6, s6, s4
	s_mul_hi_u32 s6, s4, s6
	s_delay_alu instid0(SALU_CYCLE_1) | instskip(SKIP_4) | instid1(SALU_CYCLE_1)
	s_add_co_i32 s4, s4, s6
	s_wait_alu 0xfffe
	s_mul_hi_u32 s4, s8, s4
	s_wait_alu 0xfffe
	s_mul_i32 s6, s4, s3
	s_sub_co_i32 s5, s8, s6
	s_add_co_i32 s6, s4, 1
	s_wait_alu 0xfffe
	s_sub_co_i32 s7, s5, s3
	s_cmp_ge_u32 s5, s3
	s_cselect_b32 s4, s6, s4
	s_cselect_b32 s5, s7, s5
	s_wait_alu 0xfffe
	s_add_co_i32 s6, s4, 1
	s_cmp_ge_u32 s5, s3
	s_cselect_b32 s3, s6, s4
	s_load_b512 s[4:19], s[0:1], 0x0
	s_xor_b32 s3, s3, s24
	s_wait_alu 0xfffe
	s_sub_co_i32 s31, s3, s24
	s_delay_alu instid0(SALU_CYCLE_1) | instskip(NEXT) | instid1(SALU_CYCLE_1)
	s_abs_i32 s29, s31
	s_cvt_f32_u32 s3, s29
	s_wait_alu 0xfffe
	s_delay_alu instid0(SALU_CYCLE_2) | instskip(SKIP_2) | instid1(TRANS32_DEP_1)
	v_rcp_iflag_f32_e32 v1, s3
	s_wait_kmcnt 0x0
	s_cmp_eq_u64 s[10:11], 0
	v_readfirstlane_b32 s27, v1
	s_cbranch_scc1 .LBB76_2
; %bb.1:
	s_abs_i32 s3, s38
	s_wait_alu 0xfffe
	s_cvt_f32_u32 s24, s3
	s_delay_alu instid0(SALU_CYCLE_3) | instskip(NEXT) | instid1(TRANS32_DEP_1)
	v_rcp_iflag_f32_e32 v1, s24
	v_readfirstlane_b32 s24, v1
	s_mul_f32 s24, s24, 0x4f7ffffe
	s_wait_alu 0xfffe
	s_delay_alu instid0(SALU_CYCLE_2) | instskip(SKIP_2) | instid1(SALU_CYCLE_1)
	s_cvt_u32_f32 s26, s24
	s_sub_co_i32 s24, 0, s3
	s_wait_alu 0xfffe
	s_mul_i32 s24, s24, s26
	s_wait_alu 0xfffe
	s_mul_hi_u32 s33, s26, s24
	s_load_b64 s[24:25], s[0:1], 0xc8
	s_add_co_i32 s26, s26, s33
	s_delay_alu instid0(SALU_CYCLE_1) | instskip(NEXT) | instid1(SALU_CYCLE_1)
	s_mul_hi_u32 s26, s2, s26
	s_mul_i32 s26, s26, s3
	s_delay_alu instid0(SALU_CYCLE_1) | instskip(NEXT) | instid1(SALU_CYCLE_1)
	s_sub_co_i32 s26, s2, s26
	s_sub_co_i32 s33, s26, s3
	s_cmp_ge_u32 s26, s3
	s_cselect_b32 s26, s33, s26
	s_delay_alu instid0(SALU_CYCLE_1) | instskip(SKIP_2) | instid1(SALU_CYCLE_1)
	s_sub_co_i32 s33, s26, s3
	s_cmp_ge_u32 s26, s3
	s_cselect_b32 s34, s33, s26
	s_ashr_i32 s35, s34, 31
	s_wait_kmcnt 0x0
	s_mul_u64 s[24:25], s[24:25], s[34:35]
	s_wait_alu 0xfffe
	s_add_nc_u64 s[34:35], s[10:11], s[24:25]
.LBB76_2:
	v_bfe_u32 v2, v0, 10, 10
	s_load_b96 s[24:26], s[0:1], 0x70
	v_and_b32_e32 v13, 0x3ff, v0
	s_delay_alu instid0(VALU_DEP_2) | instskip(NEXT) | instid1(VALU_DEP_2)
	v_lshl_add_u32 v12, ttmp9, 3, v2
	v_lshlrev_b32_e32 v0, 4, v13
	v_lshlrev_b32_e32 v11, 3, v13
	s_delay_alu instid0(VALU_DEP_3) | instskip(NEXT) | instid1(VALU_DEP_1)
	v_mul_hi_u32 v1, s20, v12
	v_add_nc_u32_e32 v1, v12, v1
	s_wait_kmcnt 0x0
	s_ashr_i32 s11, s24, 31
	s_mov_b32 s10, s24
	s_delay_alu instid0(VALU_DEP_1) | instskip(SKIP_3) | instid1(SALU_CYCLE_1)
	v_lshrrev_b32_e32 v1, s21, v1
	s_lshr_b64 s[20:21], s[10:11], 2
	s_lshr_b32 s3, s11, 2
	s_mul_i32 s10, s2, s26
	s_ashr_i32 s11, s10, 31
	v_mul_lo_u32 v1, v1, s22
	s_add_nc_u64 s[4:5], s[4:5], s[10:11]
	s_ashr_i32 s11, s25, 31
	s_mov_b32 s10, s25
	s_delay_alu instid0(VALU_DEP_1) | instskip(SKIP_1) | instid1(VALU_DEP_1)
	v_sub_nc_u32_e32 v1, v12, v1
	s_wait_alu 0xfffe
	v_mad_co_u64_u32 v[3:4], null, s20, v1, 0
	s_mul_i32 s20, s28, s25
	s_wait_alu 0xfffe
	s_ashr_i32 s21, s20, 31
	s_wait_alu 0xfffe
	s_add_nc_u64 s[4:5], s[4:5], s[20:21]
	v_mad_co_u64_u32 v[4:5], null, s3, v1, v[4:5]
	s_and_b32 s3, s25, -4
	v_lshlrev_b64_e32 v[3:4], 2, v[3:4]
	s_wait_alu 0xfffe
	s_delay_alu instid0(VALU_DEP_1) | instskip(NEXT) | instid1(VALU_DEP_1)
	v_add_co_u32 v3, vcc_lo, s4, v3
	v_add_co_ci_u32_e64 v4, null, s5, v4, vcc_lo
	s_lshr_b64 s[4:5], s[10:11], 2
	v_add_co_u32 v7, vcc_lo, v3, v0
	s_wait_alu 0xfffd
	v_add_co_ci_u32_e64 v8, null, 0, v4, vcc_lo
	s_wait_alu 0xfffe
	s_lshl_b64 s[20:21], s[4:5], 3
	v_add_co_u32 v9, vcc_lo, v7, s3
	s_delay_alu instid0(VALU_DEP_2)
	v_mad_co_u64_u32 v[18:19], null, s4, 12, v[7:8]
	s_wait_alu 0xfffd
	v_add_co_ci_u32_e64 v10, null, s11, v8, vcc_lo
	s_wait_alu 0xfffe
	v_add_co_u32 v14, vcc_lo, v7, s20
	global_load_b128 v[3:6], v[7:8], off
	s_wait_alu 0xfffd
	v_add_co_ci_u32_e64 v15, null, s21, v8, vcc_lo
	v_mov_b32_e32 v0, v19
	s_load_b32 s3, s[0:1], 0x40
	s_cmp_eq_u64 s[14:15], 0
	s_clause 0x1
	global_load_b128 v[14:17], v[14:15], off
	global_load_b128 v[7:10], v[9:10], off
	v_mad_co_u64_u32 v[19:20], null, s11, 12, v[0:1]
	v_lshlrev_b32_e32 v0, 10, v2
	s_delay_alu instid0(VALU_DEP_1)
	v_add_nc_u32_e32 v29, 0x6800, v0
	global_load_b128 v[18:21], v[18:19], off
	v_add_nc_u32_e32 v22, v29, v11
	s_wait_loadcnt 0x3
	s_wait_kmcnt 0x0
	v_fma_mixlo_f16 v4, s3, v4, 0
	v_fma_mixlo_f16 v3, s3, v3, 0
	;; [unrolled: 1-line block ×4, first 2 shown]
	s_delay_alu instid0(VALU_DEP_4) | instskip(NEXT) | instid1(VALU_DEP_4)
	v_lshlrev_b32_e32 v4, 16, v4
	v_and_b32_e32 v3, 0xffff, v3
	s_delay_alu instid0(VALU_DEP_4) | instskip(NEXT) | instid1(VALU_DEP_4)
	v_lshlrev_b32_e32 v6, 16, v6
	v_and_b32_e32 v5, 0xffff, v5
	s_wait_loadcnt 0x1
	v_fma_mixlo_f16 v7, s3, v7, 0
	v_fma_mixlo_f16 v8, s3, v8, 0
	;; [unrolled: 1-line block ×8, first 2 shown]
	v_or_b32_e32 v3, v4, v3
	v_or3_b32 v4, v6, v5, 0
	v_lshlrev_b32_e32 v5, 16, v8
	v_and_b32_e32 v6, 0xffff, v7
	v_lshlrev_b32_e32 v7, 16, v10
	v_and_b32_e32 v8, 0xffff, v9
	;; [unrolled: 2-line block ×4, first 2 shown]
	s_wait_loadcnt 0x0
	v_fma_mixlo_f16 v16, s3, v19, 0
	v_fma_mixlo_f16 v17, s3, v18, 0
	;; [unrolled: 1-line block ×4, first 2 shown]
	v_or_b32_e32 v5, v5, v6
	v_lshlrev_b32_e32 v16, 16, v16
	v_and_b32_e32 v17, 0xffff, v17
	v_or3_b32 v6, v7, v8, 0
	v_or_b32_e32 v7, v9, v10
	v_lshlrev_b32_e32 v9, 16, v19
	v_and_b32_e32 v10, 0xffff, v18
	v_or_b32_e32 v16, v16, v17
	v_or3_b32 v3, 0, 0, v3
	v_or3_b32 v5, 0, 0, v5
	;; [unrolled: 1-line block ×6, first 2 shown]
	ds_store_2addr_b64 v22, v[3:4], v[5:6] offset1:32
	ds_store_2addr_b64 v22, v[7:8], v[9:10] offset0:64 offset1:96
	s_wait_dscnt 0x0
	s_barrier_signal -1
	s_barrier_wait -1
	global_inv scope:SCOPE_SE
	s_cbranch_scc1 .LBB76_4
; %bb.3:
	s_load_b32 s3, s[0:1], 0xd0
	s_mov_b32 s5, 0
	s_wait_kmcnt 0x0
	s_mul_i32 s3, s3, s2
	s_wait_alu 0xfffe
	s_add_co_i32 s4, s3, ttmp9
	s_wait_alu 0xfffe
	s_lshl_b64 s[4:5], s[4:5], 2
	s_wait_alu 0xfffe
	s_add_nc_u64 s[4:5], s[14:15], s[4:5]
	s_load_b32 s30, s[4:5], 0x0
.LBB76_4:
	s_and_b32 s4, ttmp7, 0xffff
	v_mbcnt_lo_u32_b32 v30, -1, 0
	s_wait_alu 0xfffe
	s_lshl_b32 s10, s4, 7
	s_wait_kmcnt 0x0
	s_wait_alu 0xfffe
	s_cmp_lt_i32 s10, s30
	s_cbranch_scc1 .LBB76_7
; %bb.5:
	v_mbcnt_lo_u32_b32 v4, -1, 0
	v_mov_b32_e32 v31, 32
	s_delay_alu instid0(VALU_DEP_2)
	v_xor_b32_e32 v60, 16, v4
	v_xor_b32_e32 v27, 8, v4
	;; [unrolled: 1-line block ×5, first 2 shown]
	v_lshlrev_b32_e32 v28, 2, v13
	s_mov_b32 s3, 0
	s_cbranch_execz .LBB76_8
; %bb.6:
	v_dual_mov_b32 v50, 0 :: v_dual_mov_b32 v63, 0
	v_dual_mov_b32 v3, 0xfeffffff :: v_dual_mov_b32 v2, 0xfeffffff
	;; [unrolled: 1-line block ×8, first 2 shown]
	s_branch .LBB76_76
.LBB76_7:
                                        ; implicit-def: $vgpr4
                                        ; implicit-def: $vgpr31
                                        ; implicit-def: $vgpr60
                                        ; implicit-def: $vgpr27
                                        ; implicit-def: $vgpr26
                                        ; implicit-def: $vgpr25
                                        ; implicit-def: $vgpr24
	v_lshlrev_b32_e32 v28, 2, v13
	s_mov_b32 s3, 0
.LBB76_8:
	s_mul_f32 s5, s27, 0x4f7ffffe
	s_clause 0x1
	s_load_b128 s[24:27], s[0:1], 0x98
	s_load_b64 s[20:21], s[0:1], 0x8c
	s_sub_co_i32 s14, 0, s29
	s_abs_i32 s36, s28
	s_cvt_u32_f32 s11, s5
	s_clause 0x1
	s_load_b32 s5, s[0:1], 0x54
	s_load_b64 s[40:41], s[0:1], 0xa8
	s_mov_b32 s15, s37
	s_mul_i32 s14, s14, s11
	s_ashr_i32 s33, s28, 31
	s_mul_hi_u32 s14, s11, s14
	v_lshrrev_b32_e32 v3, 3, v13
	s_add_co_i32 s14, s11, s14
	s_ashr_i32 s11, s31, 31
	s_mul_u64 s[14:15], s[36:37], s[14:15]
	s_wait_alu 0xfffe
	s_xor_b32 s11, s33, s11
	s_mul_i32 s33, s15, s29
	s_ashr_i32 s31, s39, 1
	s_add_co_i32 s37, s15, 1
	v_lshl_add_u32 v3, v2, 2, v3
	s_wait_kmcnt 0x0
	s_ashr_i32 s14, s26, 2
	s_sub_co_i32 s26, s36, s33
	s_ashr_i32 s20, s20, 2
	s_sub_co_i32 s33, s26, s29
	s_cmp_ge_u32 s26, s29
	v_dual_mov_b32 v59, 0xfeffffff :: v_dual_and_b32 v10, 28, v28
	s_cselect_b32 s15, s37, s15
	s_cselect_b32 s26, s33, s26
	s_add_co_i32 s33, s15, 1
	s_cmp_ge_u32 s26, s29
	s_wait_alu 0xfffe
	v_mul_lo_u32 v6, s20, v3
	s_cselect_b32 s15, s33, s15
	v_dual_mov_b32 v31, 32 :: v_dual_lshlrev_b32 v4, 2, v10
	s_xor_b32 s15, s15, s11
	v_lshrrev_b32_e32 v5, 4, v13
	s_mul_u64 s[24:25], s[24:25], s[2:3]
	s_mul_u64 s[36:37], s[40:41], s[2:3]
	s_sub_co_i32 s3, s15, s11
	s_wait_alu 0xfffe
	s_add_nc_u64 s[6:7], s[6:7], s[24:25]
	s_mul_i32 s24, s3, s21
	s_mul_i32 s26, s3, s27
	s_lshl_b32 s3, s20, 5
	v_mad_u32_u24 v32, 0x90, v3, v4
	v_lshl_add_u32 v4, v2, 1, v5
	s_wait_alu 0xfffe
	v_dual_mov_b32 v45, 0 :: v_dual_add_nc_u32 v8, s3, v6
	v_dual_mov_b32 v47, 0 :: v_dual_and_b32 v22, 60, v28
	v_mov_b32_e32 v49, 0
	v_mul_lo_u32 v16, s14, v4
	s_delay_alu instid0(VALU_DEP_4) | instskip(NEXT) | instid1(VALU_DEP_4)
	v_dual_mov_b32 v55, 0xfeffffff :: v_dual_add_nc_u32 v2, s3, v8
	v_dual_mov_b32 v46, 0 :: v_dual_lshlrev_b32 v5, 2, v22
	v_add_nc_u32_e32 v38, 0x4800, v0
	s_delay_alu instid0(VALU_DEP_3)
	v_dual_mov_b32 v57, 0xfeffffff :: v_dual_add_nc_u32 v14, s3, v2
	s_lshl_b32 s3, s14, 4
	s_wait_alu 0xfffe
	v_dual_mov_b32 v53, 0 :: v_dual_add_nc_u32 v18, s3, v16
	v_ashrrev_i32_e32 v7, 31, v6
	v_ashrrev_i32_e32 v9, 31, v8
	;; [unrolled: 1-line block ×4, first 2 shown]
	v_add_nc_u32_e32 v20, s3, v18
	v_lshl_or_b32 v37, v4, 8, v5
	v_mad_co_u64_u32 v[4:5], null, v1, s31, v[13:14]
	v_ashrrev_i32_e32 v17, 31, v16
	s_delay_alu instid0(VALU_DEP_4)
	v_add_nc_u32_e32 v0, s3, v20
	v_ashrrev_i32_e32 v19, 31, v18
	v_ashrrev_i32_e32 v21, 31, v20
	v_lshlrev_b64_e32 v[5:6], 2, v[6:7]
	v_lshlrev_b32_e32 v42, 2, v10
	v_ashrrev_i32_e32 v1, 31, v0
	v_lshlrev_b64_e32 v[7:8], 2, v[8:9]
	v_lshlrev_b64_e32 v[9:10], 2, v[2:3]
	;; [unrolled: 1-line block ×4, first 2 shown]
	v_dual_mov_b32 v54, 0xfeffffff :: v_dual_lshlrev_b32 v43, 2, v22
	v_lshlrev_b64_e32 v[18:19], 2, v[18:19]
	v_lshlrev_b64_e32 v[20:21], 2, v[20:21]
	;; [unrolled: 1-line block ×3, first 2 shown]
	v_dual_mov_b32 v44, 0 :: v_dual_add_nc_u32 v33, 0x1200, v32
	v_dual_mov_b32 v51, 0 :: v_dual_add_nc_u32 v34, 0x2400, v32
	;; [unrolled: 1-line block ×3, first 2 shown]
	v_mul_u32_u24_e32 v36, 0x90, v13
	v_dual_mov_b32 v50, 0 :: v_dual_add_nc_u32 v39, 0x1000, v37
	v_add_nc_u32_e32 v40, 0x2000, v37
	v_dual_mov_b32 v58, 0 :: v_dual_add_nc_u32 v41, 0x3000, v37
	v_mov_b32_e32 v56, 0
	v_mov_b32_e32 v52, 0
	s_add_nc_u64 s[8:9], s[8:9], s[36:37]
	s_ashr_i32 s25, s24, 31
	s_ashr_i32 s27, s26, 31
	s_wait_alu 0xfffe
	s_add_nc_u64 s[6:7], s[6:7], s[24:25]
	s_add_nc_u64 s[8:9], s[8:9], s[26:27]
	s_ashr_i32 s21, s20, 31
	s_ashr_i32 s15, s14, 31
	s_add_nc_u64 s[24:25], s[0:1], 0xd0
	s_mov_b32 s3, 0xbbbac73d
.LBB76_9:                               ; =>This Inner Loop Header: Depth=1
	s_ashr_i32 s11, s10, 31
	v_dual_mov_b32 v60, 0 :: v_dual_mov_b32 v69, 0
	s_wait_alu 0xfffe
	s_mul_u64 s[26:27], s[10:11], s[20:21]
	v_mov_b32_e32 v65, 0
	s_wait_alu 0xfffe
	s_lshl_b64 s[26:27], s[26:27], 2
	v_mov_b32_e32 v67, 0
	s_wait_alu 0xfffe
	s_add_nc_u64 s[26:27], s[6:7], s[26:27]
	v_mov_b32_e32 v66, 0
	s_wait_alu 0xfffe
	v_add_co_u32 v0, vcc_lo, s26, v5
	s_wait_alu 0xfffd
	v_add_co_ci_u32_e64 v1, null, s27, v6, vcc_lo
	v_add_co_u32 v2, vcc_lo, s26, v7
	s_wait_alu 0xfffd
	v_add_co_ci_u32_e64 v3, null, s27, v8, vcc_lo
	;; [unrolled: 3-line block ×8, first 2 shown]
	s_clause 0x3
	global_load_b128 v[61:64], v[0:1], off
	global_load_b128 v[70:73], v[2:3], off
	;; [unrolled: 1-line block ×4, first 2 shown]
	s_wait_loadcnt 0x3
	ds_store_b128 v32, v[61:64]
	s_wait_loadcnt 0x2
	ds_store_b128 v33, v[70:73]
	;; [unrolled: 2-line block ×4, first 2 shown]
	s_wait_dscnt 0x0
	s_barrier_signal -1
	s_barrier_wait -1
	global_inv scope:SCOPE_SE
	ds_load_b128 v[76:79], v36
	ds_load_b128 v[80:83], v29
	ds_load_b128 v[84:87], v29 offset:256
	ds_load_b128 v[88:91], v29 offset:512
	;; [unrolled: 1-line block ×6, first 2 shown]
	s_wait_dscnt 0x6
	;;#ASMSTART
	v_dot2_f32_f16 v60, v76, v80, v60
	;;#ASMEND
	;;#ASMSTART
	v_dot2_f32_f16 v60, v77, v81, v60
	;;#ASMEND
	;; [unrolled: 3-line block ×4, first 2 shown]
	s_wait_dscnt 0x5
	;;#ASMSTART
	v_dot2_f32_f16 v69, v76, v84, v69
	;;#ASMEND
	;;#ASMSTART
	v_dot2_f32_f16 v69, v77, v85, v69
	;;#ASMEND
	;; [unrolled: 3-line block ×3, first 2 shown]
	v_mov_b32_e32 v70, 0
	;;#ASMSTART
	v_dot2_f32_f16 v69, v79, v87, v69
	;;#ASMEND
	s_wait_dscnt 0x4
	;;#ASMSTART
	v_dot2_f32_f16 v65, v76, v88, v65
	;;#ASMEND
	;;#ASMSTART
	v_dot2_f32_f16 v65, v77, v89, v65
	;;#ASMEND
	v_mov_b32_e32 v61, 0
	;;#ASMSTART
	v_dot2_f32_f16 v65, v78, v90, v65
	;;#ASMEND
	;;#ASMSTART
	v_dot2_f32_f16 v65, v79, v91, v65
	;;#ASMEND
	s_wait_dscnt 0x3
	;;#ASMSTART
	v_dot2_f32_f16 v61, v76, v92, v61
	;;#ASMEND
	;;#ASMSTART
	v_dot2_f32_f16 v61, v77, v93, v61
	;;#ASMEND
	v_dual_mov_b32 v73, 0 :: v_dual_mov_b32 v62, 0
	;;#ASMSTART
	v_dot2_f32_f16 v61, v78, v94, v61
	;;#ASMEND
	;;#ASMSTART
	v_dot2_f32_f16 v61, v79, v95, v61
	;;#ASMEND
	s_wait_dscnt 0x2
	;;#ASMSTART
	v_dot2_f32_f16 v73, v96, v80, v73
	;;#ASMEND
	;;#ASMSTART
	v_dot2_f32_f16 v73, v97, v81, v73
	;;#ASMEND
	;; [unrolled: 3-line block ×14, first 2 shown]
	v_dual_mov_b32 v74, 0 :: v_dual_mov_b32 v71, 0
	;;#ASMSTART
	v_dot2_f32_f16 v62, v98, v94, v62
	;;#ASMEND
	;;#ASMSTART
	v_dot2_f32_f16 v62, v99, v95, v62
	;;#ASMEND
	s_wait_dscnt 0x1
	;;#ASMSTART
	v_dot2_f32_f16 v74, v100, v80, v74
	;;#ASMEND
	;;#ASMSTART
	v_dot2_f32_f16 v74, v101, v81, v74
	;;#ASMEND
	;; [unrolled: 3-line block ×7, first 2 shown]
	v_mov_b32_e32 v72, 0
	;;#ASMSTART
	v_dot2_f32_f16 v71, v103, v87, v71
	;;#ASMEND
	;;#ASMSTART
	v_dot2_f32_f16 v67, v100, v88, v67
	;;#ASMEND
	;; [unrolled: 3-line block ×3, first 2 shown]
	v_dual_mov_b32 v63, 0 :: v_dual_mov_b32 v68, 0
	;;#ASMSTART
	v_dot2_f32_f16 v67, v102, v90, v67
	;;#ASMEND
	;;#ASMSTART
	v_dot2_f32_f16 v67, v103, v91, v67
	;;#ASMEND
	;; [unrolled: 3-line block ×4, first 2 shown]
	v_dual_mov_b32 v75, 0 :: v_dual_mov_b32 v64, 0
	;;#ASMSTART
	v_dot2_f32_f16 v63, v102, v94, v63
	;;#ASMEND
	;;#ASMSTART
	v_dot2_f32_f16 v63, v103, v95, v63
	;;#ASMEND
	s_wait_dscnt 0x0
	;;#ASMSTART
	v_dot2_f32_f16 v75, v104, v80, v75
	;;#ASMEND
	;;#ASMSTART
	v_dot2_f32_f16 v75, v105, v81, v75
	;;#ASMEND
	;; [unrolled: 3-line block ×16, first 2 shown]
	ds_load_b128 v[76:79], v36 offset:16
	ds_load_b128 v[80:83], v29 offset:16
	;; [unrolled: 1-line block ×8, first 2 shown]
	s_wait_dscnt 0x6
	;;#ASMSTART
	v_dot2_f32_f16 v60, v76, v80, v60
	;;#ASMEND
	;;#ASMSTART
	v_dot2_f32_f16 v60, v77, v81, v60
	;;#ASMEND
	;;#ASMSTART
	v_dot2_f32_f16 v60, v78, v82, v60
	;;#ASMEND
	;;#ASMSTART
	v_dot2_f32_f16 v60, v79, v83, v60
	;;#ASMEND
	s_wait_dscnt 0x5
	;;#ASMSTART
	v_dot2_f32_f16 v69, v76, v84, v69
	;;#ASMEND
	;;#ASMSTART
	v_dot2_f32_f16 v69, v77, v85, v69
	;;#ASMEND
	;;#ASMSTART
	v_dot2_f32_f16 v69, v78, v86, v69
	;;#ASMEND
	;;#ASMSTART
	v_dot2_f32_f16 v69, v79, v87, v69
	;;#ASMEND
	;; [unrolled: 13-line block ×5, first 2 shown]
	;;#ASMSTART
	v_dot2_f32_f16 v70, v96, v84, v70
	;;#ASMEND
	;;#ASMSTART
	v_dot2_f32_f16 v70, v97, v85, v70
	;;#ASMEND
	;; [unrolled: 3-line block ×12, first 2 shown]
	s_wait_dscnt 0x1
	;;#ASMSTART
	v_dot2_f32_f16 v74, v100, v80, v74
	;;#ASMEND
	;;#ASMSTART
	v_dot2_f32_f16 v74, v101, v81, v74
	;;#ASMEND
	;; [unrolled: 3-line block ×16, first 2 shown]
	s_wait_dscnt 0x0
	;;#ASMSTART
	v_dot2_f32_f16 v75, v104, v80, v75
	;;#ASMEND
	;;#ASMSTART
	v_dot2_f32_f16 v75, v105, v81, v75
	;;#ASMEND
	;; [unrolled: 3-line block ×16, first 2 shown]
	ds_load_b128 v[76:79], v36 offset:32
	ds_load_b128 v[80:83], v29 offset:32
	;; [unrolled: 1-line block ×8, first 2 shown]
	s_wait_dscnt 0x6
	;;#ASMSTART
	v_dot2_f32_f16 v60, v76, v80, v60
	;;#ASMEND
	;;#ASMSTART
	v_dot2_f32_f16 v60, v77, v81, v60
	;;#ASMEND
	;;#ASMSTART
	v_dot2_f32_f16 v60, v78, v82, v60
	;;#ASMEND
	;;#ASMSTART
	v_dot2_f32_f16 v60, v79, v83, v60
	;;#ASMEND
	s_wait_dscnt 0x5
	;;#ASMSTART
	v_dot2_f32_f16 v69, v76, v84, v69
	;;#ASMEND
	;;#ASMSTART
	v_dot2_f32_f16 v69, v77, v85, v69
	;;#ASMEND
	;;#ASMSTART
	v_dot2_f32_f16 v69, v78, v86, v69
	;;#ASMEND
	;;#ASMSTART
	v_dot2_f32_f16 v69, v79, v87, v69
	;;#ASMEND
	;; [unrolled: 13-line block ×5, first 2 shown]
	;;#ASMSTART
	v_dot2_f32_f16 v70, v96, v84, v70
	;;#ASMEND
	;;#ASMSTART
	v_dot2_f32_f16 v70, v97, v85, v70
	;;#ASMEND
	;; [unrolled: 3-line block ×12, first 2 shown]
	s_wait_dscnt 0x1
	;;#ASMSTART
	v_dot2_f32_f16 v74, v100, v80, v74
	;;#ASMEND
	;;#ASMSTART
	v_dot2_f32_f16 v74, v101, v81, v74
	;;#ASMEND
	;; [unrolled: 3-line block ×16, first 2 shown]
	s_wait_dscnt 0x0
	;;#ASMSTART
	v_dot2_f32_f16 v75, v104, v80, v75
	;;#ASMEND
	;;#ASMSTART
	v_dot2_f32_f16 v75, v105, v81, v75
	;;#ASMEND
	;; [unrolled: 3-line block ×16, first 2 shown]
	ds_load_b128 v[76:79], v36 offset:48
	ds_load_b128 v[80:83], v29 offset:48
	;; [unrolled: 1-line block ×8, first 2 shown]
	s_wait_dscnt 0x6
	;;#ASMSTART
	v_dot2_f32_f16 v60, v76, v80, v60
	;;#ASMEND
	;;#ASMSTART
	v_dot2_f32_f16 v60, v77, v81, v60
	;;#ASMEND
	;;#ASMSTART
	v_dot2_f32_f16 v60, v78, v82, v60
	;;#ASMEND
	;;#ASMSTART
	v_dot2_f32_f16 v60, v79, v83, v60
	;;#ASMEND
	s_wait_dscnt 0x5
	;;#ASMSTART
	v_dot2_f32_f16 v69, v76, v84, v69
	;;#ASMEND
	;;#ASMSTART
	v_dot2_f32_f16 v69, v77, v85, v69
	;;#ASMEND
	;;#ASMSTART
	v_dot2_f32_f16 v69, v78, v86, v69
	;;#ASMEND
	;;#ASMSTART
	v_dot2_f32_f16 v69, v79, v87, v69
	;;#ASMEND
	;; [unrolled: 13-line block ×5, first 2 shown]
	;;#ASMSTART
	v_dot2_f32_f16 v70, v96, v84, v70
	;;#ASMEND
	;;#ASMSTART
	v_dot2_f32_f16 v70, v97, v85, v70
	;;#ASMEND
	;; [unrolled: 3-line block ×12, first 2 shown]
	s_wait_dscnt 0x1
	;;#ASMSTART
	v_dot2_f32_f16 v74, v100, v80, v74
	;;#ASMEND
	;;#ASMSTART
	v_dot2_f32_f16 v74, v101, v81, v74
	;;#ASMEND
	;; [unrolled: 3-line block ×16, first 2 shown]
	s_wait_dscnt 0x0
	;;#ASMSTART
	v_dot2_f32_f16 v75, v104, v80, v75
	;;#ASMEND
	;;#ASMSTART
	v_dot2_f32_f16 v75, v105, v81, v75
	;;#ASMEND
	;; [unrolled: 3-line block ×16, first 2 shown]
	ds_load_b128 v[76:79], v36 offset:64
	ds_load_b128 v[80:83], v29 offset:64
	;; [unrolled: 1-line block ×8, first 2 shown]
	s_wait_dscnt 0x6
	;;#ASMSTART
	v_dot2_f32_f16 v60, v76, v80, v60
	;;#ASMEND
	;;#ASMSTART
	v_dot2_f32_f16 v60, v77, v81, v60
	;;#ASMEND
	;;#ASMSTART
	v_dot2_f32_f16 v60, v78, v82, v60
	;;#ASMEND
	;;#ASMSTART
	v_dot2_f32_f16 v60, v79, v83, v60
	;;#ASMEND
	s_wait_dscnt 0x5
	;;#ASMSTART
	v_dot2_f32_f16 v69, v76, v84, v69
	;;#ASMEND
	;;#ASMSTART
	v_dot2_f32_f16 v69, v77, v85, v69
	;;#ASMEND
	;;#ASMSTART
	v_dot2_f32_f16 v69, v78, v86, v69
	;;#ASMEND
	;;#ASMSTART
	v_dot2_f32_f16 v69, v79, v87, v69
	;;#ASMEND
	;; [unrolled: 13-line block ×5, first 2 shown]
	;;#ASMSTART
	v_dot2_f32_f16 v70, v96, v84, v70
	;;#ASMEND
	;;#ASMSTART
	v_dot2_f32_f16 v70, v97, v85, v70
	;;#ASMEND
	;; [unrolled: 3-line block ×12, first 2 shown]
	s_wait_dscnt 0x1
	;;#ASMSTART
	v_dot2_f32_f16 v74, v100, v80, v74
	;;#ASMEND
	;;#ASMSTART
	v_dot2_f32_f16 v74, v101, v81, v74
	;;#ASMEND
	;; [unrolled: 3-line block ×16, first 2 shown]
	s_wait_dscnt 0x0
	;;#ASMSTART
	v_dot2_f32_f16 v75, v104, v80, v75
	;;#ASMEND
	;;#ASMSTART
	v_dot2_f32_f16 v75, v105, v81, v75
	;;#ASMEND
	;; [unrolled: 3-line block ×16, first 2 shown]
	ds_load_b128 v[76:79], v36 offset:80
	ds_load_b128 v[80:83], v29 offset:80
	;; [unrolled: 1-line block ×8, first 2 shown]
	s_wait_dscnt 0x6
	;;#ASMSTART
	v_dot2_f32_f16 v60, v76, v80, v60
	;;#ASMEND
	;;#ASMSTART
	v_dot2_f32_f16 v60, v77, v81, v60
	;;#ASMEND
	;;#ASMSTART
	v_dot2_f32_f16 v60, v78, v82, v60
	;;#ASMEND
	;;#ASMSTART
	v_dot2_f32_f16 v60, v79, v83, v60
	;;#ASMEND
	s_wait_dscnt 0x5
	;;#ASMSTART
	v_dot2_f32_f16 v69, v76, v84, v69
	;;#ASMEND
	;;#ASMSTART
	v_dot2_f32_f16 v69, v77, v85, v69
	;;#ASMEND
	;;#ASMSTART
	v_dot2_f32_f16 v69, v78, v86, v69
	;;#ASMEND
	;;#ASMSTART
	v_dot2_f32_f16 v69, v79, v87, v69
	;;#ASMEND
	;; [unrolled: 13-line block ×5, first 2 shown]
	;;#ASMSTART
	v_dot2_f32_f16 v70, v96, v84, v70
	;;#ASMEND
	;;#ASMSTART
	v_dot2_f32_f16 v70, v97, v85, v70
	;;#ASMEND
	;; [unrolled: 3-line block ×12, first 2 shown]
	s_wait_dscnt 0x1
	;;#ASMSTART
	v_dot2_f32_f16 v74, v100, v80, v74
	;;#ASMEND
	;;#ASMSTART
	v_dot2_f32_f16 v74, v101, v81, v74
	;;#ASMEND
	;; [unrolled: 3-line block ×16, first 2 shown]
	s_wait_dscnt 0x0
	;;#ASMSTART
	v_dot2_f32_f16 v75, v104, v80, v75
	;;#ASMEND
	;;#ASMSTART
	v_dot2_f32_f16 v75, v105, v81, v75
	;;#ASMEND
	;; [unrolled: 3-line block ×16, first 2 shown]
	ds_load_b128 v[76:79], v36 offset:96
	ds_load_b128 v[80:83], v29 offset:96
	ds_load_b128 v[84:87], v29 offset:352
	ds_load_b128 v[88:91], v29 offset:608
	ds_load_b128 v[92:95], v29 offset:864
	ds_load_b128 v[96:99], v36 offset:4704
	ds_load_b128 v[100:103], v36 offset:9312
	ds_load_b128 v[104:107], v36 offset:13920
	s_wait_dscnt 0x6
	;;#ASMSTART
	v_dot2_f32_f16 v60, v76, v80, v60
	;;#ASMEND
	;;#ASMSTART
	v_dot2_f32_f16 v60, v77, v81, v60
	;;#ASMEND
	;;#ASMSTART
	v_dot2_f32_f16 v60, v78, v82, v60
	;;#ASMEND
	;;#ASMSTART
	v_dot2_f32_f16 v60, v79, v83, v60
	;;#ASMEND
	s_wait_dscnt 0x5
	;;#ASMSTART
	v_dot2_f32_f16 v69, v76, v84, v69
	;;#ASMEND
	;;#ASMSTART
	v_dot2_f32_f16 v69, v77, v85, v69
	;;#ASMEND
	;;#ASMSTART
	v_dot2_f32_f16 v69, v78, v86, v69
	;;#ASMEND
	;;#ASMSTART
	v_dot2_f32_f16 v69, v79, v87, v69
	;;#ASMEND
	;; [unrolled: 13-line block ×5, first 2 shown]
	;;#ASMSTART
	v_dot2_f32_f16 v70, v96, v84, v70
	;;#ASMEND
	;;#ASMSTART
	v_dot2_f32_f16 v70, v97, v85, v70
	;;#ASMEND
	;; [unrolled: 3-line block ×12, first 2 shown]
	s_wait_dscnt 0x1
	;;#ASMSTART
	v_dot2_f32_f16 v74, v100, v80, v74
	;;#ASMEND
	;;#ASMSTART
	v_dot2_f32_f16 v74, v101, v81, v74
	;;#ASMEND
	;; [unrolled: 3-line block ×16, first 2 shown]
	s_wait_dscnt 0x0
	;;#ASMSTART
	v_dot2_f32_f16 v75, v104, v80, v75
	;;#ASMEND
	;;#ASMSTART
	v_dot2_f32_f16 v75, v105, v81, v75
	;;#ASMEND
	;; [unrolled: 3-line block ×16, first 2 shown]
	ds_load_b128 v[76:79], v36 offset:112
	ds_load_b128 v[80:83], v29 offset:112
	;; [unrolled: 1-line block ×8, first 2 shown]
	s_wait_dscnt 0x6
	;;#ASMSTART
	v_dot2_f32_f16 v60, v76, v80, v60
	;;#ASMEND
	;;#ASMSTART
	v_dot2_f32_f16 v60, v77, v81, v60
	;;#ASMEND
	;;#ASMSTART
	v_dot2_f32_f16 v60, v78, v82, v60
	;;#ASMEND
	;;#ASMSTART
	v_dot2_f32_f16 v60, v79, v83, v60
	;;#ASMEND
	s_wait_dscnt 0x5
	;;#ASMSTART
	v_dot2_f32_f16 v69, v76, v84, v69
	;;#ASMEND
	;;#ASMSTART
	v_dot2_f32_f16 v69, v77, v85, v69
	;;#ASMEND
	;;#ASMSTART
	v_dot2_f32_f16 v69, v78, v86, v69
	;;#ASMEND
	;;#ASMSTART
	v_dot2_f32_f16 v69, v79, v87, v69
	;;#ASMEND
	;; [unrolled: 13-line block ×5, first 2 shown]
	;;#ASMSTART
	v_dot2_f32_f16 v70, v96, v84, v70
	;;#ASMEND
	;;#ASMSTART
	v_dot2_f32_f16 v70, v97, v85, v70
	;;#ASMEND
	;;#ASMSTART
	v_dot2_f32_f16 v70, v98, v86, v70
	;;#ASMEND
	;;#ASMSTART
	v_dot2_f32_f16 v70, v99, v87, v70
	;;#ASMEND
	;;#ASMSTART
	v_dot2_f32_f16 v66, v96, v88, v66
	;;#ASMEND
	;;#ASMSTART
	v_dot2_f32_f16 v66, v97, v89, v66
	;;#ASMEND
	;;#ASMSTART
	v_dot2_f32_f16 v66, v98, v90, v66
	;;#ASMEND
	;;#ASMSTART
	v_dot2_f32_f16 v66, v99, v91, v66
	;;#ASMEND
	;;#ASMSTART
	v_dot2_f32_f16 v62, v96, v92, v62
	;;#ASMEND
	;;#ASMSTART
	v_dot2_f32_f16 v62, v97, v93, v62
	;;#ASMEND
	;;#ASMSTART
	v_dot2_f32_f16 v62, v98, v94, v62
	;;#ASMEND
	;;#ASMSTART
	v_dot2_f32_f16 v62, v99, v95, v62
	;;#ASMEND
	s_wait_dscnt 0x1
	;;#ASMSTART
	v_dot2_f32_f16 v74, v100, v80, v74
	;;#ASMEND
	;;#ASMSTART
	v_dot2_f32_f16 v74, v101, v81, v74
	;;#ASMEND
	;; [unrolled: 3-line block ×16, first 2 shown]
	s_wait_dscnt 0x0
	;;#ASMSTART
	v_dot2_f32_f16 v75, v104, v80, v75
	;;#ASMEND
	;;#ASMSTART
	v_dot2_f32_f16 v75, v105, v81, v75
	;;#ASMEND
	;; [unrolled: 3-line block ×16, first 2 shown]
	s_wait_loadcnt 0x0
	s_barrier_signal -1
	s_barrier_wait -1
	global_inv scope:SCOPE_SE
	s_clause 0x3
	global_load_b128 v[76:79], v[0:1], off offset:128
	global_load_b128 v[0:3], v[2:3], off offset:128
	;; [unrolled: 1-line block ×4, first 2 shown]
	s_wait_loadcnt 0x3
	ds_store_b128 v32, v[76:79]
	s_wait_loadcnt 0x2
	ds_store_b128 v33, v[0:3]
	;; [unrolled: 2-line block ×4, first 2 shown]
	s_wait_dscnt 0x0
	s_barrier_signal -1
	s_barrier_wait -1
	global_inv scope:SCOPE_SE
	ds_load_b128 v[0:3], v36
	ds_load_b128 v[24:27], v29 offset:128
	ds_load_b128 v[76:79], v29 offset:384
	;; [unrolled: 1-line block ×7, first 2 shown]
	s_wait_dscnt 0x6
	;;#ASMSTART
	v_dot2_f32_f16 v60, v0, v24, v60
	;;#ASMEND
	;;#ASMSTART
	v_dot2_f32_f16 v60, v1, v25, v60
	;;#ASMEND
	;;#ASMSTART
	v_dot2_f32_f16 v60, v2, v26, v60
	;;#ASMEND
	;;#ASMSTART
	v_dot2_f32_f16 v60, v3, v27, v60
	;;#ASMEND
	s_wait_dscnt 0x5
	;;#ASMSTART
	v_dot2_f32_f16 v69, v0, v76, v69
	;;#ASMEND
	;;#ASMSTART
	v_dot2_f32_f16 v69, v1, v77, v69
	;;#ASMEND
	;;#ASMSTART
	v_dot2_f32_f16 v69, v2, v78, v69
	;;#ASMEND
	;;#ASMSTART
	v_dot2_f32_f16 v69, v3, v79, v69
	;;#ASMEND
	;; [unrolled: 13-line block ×5, first 2 shown]
	;;#ASMSTART
	v_dot2_f32_f16 v70, v88, v76, v70
	;;#ASMEND
	;;#ASMSTART
	v_dot2_f32_f16 v70, v89, v77, v70
	;;#ASMEND
	;; [unrolled: 3-line block ×12, first 2 shown]
	s_wait_dscnt 0x1
	;;#ASMSTART
	v_dot2_f32_f16 v74, v92, v24, v74
	;;#ASMEND
	;;#ASMSTART
	v_dot2_f32_f16 v74, v93, v25, v74
	;;#ASMEND
	;;#ASMSTART
	v_dot2_f32_f16 v74, v94, v26, v74
	;;#ASMEND
	;;#ASMSTART
	v_dot2_f32_f16 v74, v95, v27, v74
	;;#ASMEND
	;;#ASMSTART
	v_dot2_f32_f16 v71, v92, v76, v71
	;;#ASMEND
	;;#ASMSTART
	v_dot2_f32_f16 v71, v93, v77, v71
	;;#ASMEND
	;;#ASMSTART
	v_dot2_f32_f16 v71, v94, v78, v71
	;;#ASMEND
	;;#ASMSTART
	v_dot2_f32_f16 v71, v95, v79, v71
	;;#ASMEND
	;;#ASMSTART
	v_dot2_f32_f16 v67, v92, v80, v67
	;;#ASMEND
	;;#ASMSTART
	v_dot2_f32_f16 v67, v93, v81, v67
	;;#ASMEND
	;;#ASMSTART
	v_dot2_f32_f16 v67, v94, v82, v67
	;;#ASMEND
	;;#ASMSTART
	v_dot2_f32_f16 v67, v95, v83, v67
	;;#ASMEND
	;;#ASMSTART
	v_dot2_f32_f16 v63, v92, v84, v63
	;;#ASMEND
	;;#ASMSTART
	v_dot2_f32_f16 v63, v93, v85, v63
	;;#ASMEND
	;;#ASMSTART
	v_dot2_f32_f16 v63, v94, v86, v63
	;;#ASMEND
	;;#ASMSTART
	v_dot2_f32_f16 v63, v95, v87, v63
	;;#ASMEND
	s_wait_dscnt 0x0
	;;#ASMSTART
	v_dot2_f32_f16 v75, v96, v24, v75
	;;#ASMEND
	;;#ASMSTART
	v_dot2_f32_f16 v75, v97, v25, v75
	;;#ASMEND
	;; [unrolled: 3-line block ×16, first 2 shown]
	ds_load_b128 v[0:3], v36 offset:16
	ds_load_b128 v[24:27], v29 offset:144
	;; [unrolled: 1-line block ×8, first 2 shown]
	s_wait_dscnt 0x6
	;;#ASMSTART
	v_dot2_f32_f16 v60, v0, v24, v60
	;;#ASMEND
	;;#ASMSTART
	v_dot2_f32_f16 v60, v1, v25, v60
	;;#ASMEND
	;;#ASMSTART
	v_dot2_f32_f16 v60, v2, v26, v60
	;;#ASMEND
	;;#ASMSTART
	v_dot2_f32_f16 v60, v3, v27, v60
	;;#ASMEND
	s_wait_dscnt 0x5
	;;#ASMSTART
	v_dot2_f32_f16 v69, v0, v76, v69
	;;#ASMEND
	;;#ASMSTART
	v_dot2_f32_f16 v69, v1, v77, v69
	;;#ASMEND
	;;#ASMSTART
	v_dot2_f32_f16 v69, v2, v78, v69
	;;#ASMEND
	;;#ASMSTART
	v_dot2_f32_f16 v69, v3, v79, v69
	;;#ASMEND
	;; [unrolled: 13-line block ×5, first 2 shown]
	;;#ASMSTART
	v_dot2_f32_f16 v70, v88, v76, v70
	;;#ASMEND
	;;#ASMSTART
	v_dot2_f32_f16 v70, v89, v77, v70
	;;#ASMEND
	;; [unrolled: 3-line block ×12, first 2 shown]
	s_wait_dscnt 0x1
	;;#ASMSTART
	v_dot2_f32_f16 v74, v92, v24, v74
	;;#ASMEND
	;;#ASMSTART
	v_dot2_f32_f16 v74, v93, v25, v74
	;;#ASMEND
	;; [unrolled: 3-line block ×16, first 2 shown]
	s_wait_dscnt 0x0
	;;#ASMSTART
	v_dot2_f32_f16 v75, v96, v24, v75
	;;#ASMEND
	;;#ASMSTART
	v_dot2_f32_f16 v75, v97, v25, v75
	;;#ASMEND
	;;#ASMSTART
	v_dot2_f32_f16 v75, v98, v26, v75
	;;#ASMEND
	;;#ASMSTART
	v_dot2_f32_f16 v75, v99, v27, v75
	;;#ASMEND
	;;#ASMSTART
	v_dot2_f32_f16 v72, v96, v76, v72
	;;#ASMEND
	;;#ASMSTART
	v_dot2_f32_f16 v72, v97, v77, v72
	;;#ASMEND
	;;#ASMSTART
	v_dot2_f32_f16 v72, v98, v78, v72
	;;#ASMEND
	;;#ASMSTART
	v_dot2_f32_f16 v72, v99, v79, v72
	;;#ASMEND
	;;#ASMSTART
	v_dot2_f32_f16 v68, v96, v80, v68
	;;#ASMEND
	;;#ASMSTART
	v_dot2_f32_f16 v68, v97, v81, v68
	;;#ASMEND
	;;#ASMSTART
	v_dot2_f32_f16 v68, v98, v82, v68
	;;#ASMEND
	;;#ASMSTART
	v_dot2_f32_f16 v68, v99, v83, v68
	;;#ASMEND
	;;#ASMSTART
	v_dot2_f32_f16 v64, v96, v84, v64
	;;#ASMEND
	;;#ASMSTART
	v_dot2_f32_f16 v64, v97, v85, v64
	;;#ASMEND
	;;#ASMSTART
	v_dot2_f32_f16 v64, v98, v86, v64
	;;#ASMEND
	;;#ASMSTART
	v_dot2_f32_f16 v64, v99, v87, v64
	;;#ASMEND
	ds_load_b128 v[0:3], v36 offset:32
	ds_load_b128 v[24:27], v29 offset:160
	;; [unrolled: 1-line block ×8, first 2 shown]
	s_wait_dscnt 0x6
	;;#ASMSTART
	v_dot2_f32_f16 v60, v0, v24, v60
	;;#ASMEND
	;;#ASMSTART
	v_dot2_f32_f16 v60, v1, v25, v60
	;;#ASMEND
	;;#ASMSTART
	v_dot2_f32_f16 v60, v2, v26, v60
	;;#ASMEND
	;;#ASMSTART
	v_dot2_f32_f16 v60, v3, v27, v60
	;;#ASMEND
	s_wait_dscnt 0x5
	;;#ASMSTART
	v_dot2_f32_f16 v69, v0, v76, v69
	;;#ASMEND
	;;#ASMSTART
	v_dot2_f32_f16 v69, v1, v77, v69
	;;#ASMEND
	;;#ASMSTART
	v_dot2_f32_f16 v69, v2, v78, v69
	;;#ASMEND
	;;#ASMSTART
	v_dot2_f32_f16 v69, v3, v79, v69
	;;#ASMEND
	;; [unrolled: 13-line block ×5, first 2 shown]
	;;#ASMSTART
	v_dot2_f32_f16 v70, v88, v76, v70
	;;#ASMEND
	;;#ASMSTART
	v_dot2_f32_f16 v70, v89, v77, v70
	;;#ASMEND
	;; [unrolled: 3-line block ×12, first 2 shown]
	s_wait_dscnt 0x1
	;;#ASMSTART
	v_dot2_f32_f16 v74, v92, v24, v74
	;;#ASMEND
	;;#ASMSTART
	v_dot2_f32_f16 v74, v93, v25, v74
	;;#ASMEND
	;; [unrolled: 3-line block ×16, first 2 shown]
	s_wait_dscnt 0x0
	;;#ASMSTART
	v_dot2_f32_f16 v75, v96, v24, v75
	;;#ASMEND
	;;#ASMSTART
	v_dot2_f32_f16 v75, v97, v25, v75
	;;#ASMEND
	;; [unrolled: 3-line block ×16, first 2 shown]
	ds_load_b128 v[0:3], v36 offset:48
	ds_load_b128 v[24:27], v29 offset:176
	;; [unrolled: 1-line block ×8, first 2 shown]
	s_wait_dscnt 0x6
	;;#ASMSTART
	v_dot2_f32_f16 v60, v0, v24, v60
	;;#ASMEND
	;;#ASMSTART
	v_dot2_f32_f16 v60, v1, v25, v60
	;;#ASMEND
	;;#ASMSTART
	v_dot2_f32_f16 v60, v2, v26, v60
	;;#ASMEND
	;;#ASMSTART
	v_dot2_f32_f16 v60, v3, v27, v60
	;;#ASMEND
	s_wait_dscnt 0x5
	;;#ASMSTART
	v_dot2_f32_f16 v69, v0, v76, v69
	;;#ASMEND
	;;#ASMSTART
	v_dot2_f32_f16 v69, v1, v77, v69
	;;#ASMEND
	;;#ASMSTART
	v_dot2_f32_f16 v69, v2, v78, v69
	;;#ASMEND
	;;#ASMSTART
	v_dot2_f32_f16 v69, v3, v79, v69
	;;#ASMEND
	s_wait_dscnt 0x4
	;;#ASMSTART
	v_dot2_f32_f16 v65, v0, v80, v65
	;;#ASMEND
	;;#ASMSTART
	v_dot2_f32_f16 v65, v1, v81, v65
	;;#ASMEND
	;;#ASMSTART
	v_dot2_f32_f16 v65, v2, v82, v65
	;;#ASMEND
	;;#ASMSTART
	v_dot2_f32_f16 v65, v3, v83, v65
	;;#ASMEND
	s_wait_dscnt 0x3
	;;#ASMSTART
	v_dot2_f32_f16 v61, v0, v84, v61
	;;#ASMEND
	;;#ASMSTART
	v_dot2_f32_f16 v61, v1, v85, v61
	;;#ASMEND
	;;#ASMSTART
	v_dot2_f32_f16 v61, v2, v86, v61
	;;#ASMEND
	;;#ASMSTART
	v_dot2_f32_f16 v61, v3, v87, v61
	;;#ASMEND
	s_wait_dscnt 0x2
	;;#ASMSTART
	v_dot2_f32_f16 v73, v88, v24, v73
	;;#ASMEND
	;;#ASMSTART
	v_dot2_f32_f16 v73, v89, v25, v73
	;;#ASMEND
	;;#ASMSTART
	v_dot2_f32_f16 v73, v90, v26, v73
	;;#ASMEND
	;;#ASMSTART
	v_dot2_f32_f16 v73, v91, v27, v73
	;;#ASMEND
	;;#ASMSTART
	v_dot2_f32_f16 v70, v88, v76, v70
	;;#ASMEND
	;;#ASMSTART
	v_dot2_f32_f16 v70, v89, v77, v70
	;;#ASMEND
	;; [unrolled: 3-line block ×12, first 2 shown]
	s_wait_dscnt 0x1
	;;#ASMSTART
	v_dot2_f32_f16 v74, v92, v24, v74
	;;#ASMEND
	;;#ASMSTART
	v_dot2_f32_f16 v74, v93, v25, v74
	;;#ASMEND
	;; [unrolled: 3-line block ×16, first 2 shown]
	s_wait_dscnt 0x0
	;;#ASMSTART
	v_dot2_f32_f16 v75, v96, v24, v75
	;;#ASMEND
	;;#ASMSTART
	v_dot2_f32_f16 v75, v97, v25, v75
	;;#ASMEND
	;; [unrolled: 3-line block ×16, first 2 shown]
	ds_load_b128 v[0:3], v36 offset:64
	ds_load_b128 v[24:27], v29 offset:192
	;; [unrolled: 1-line block ×8, first 2 shown]
	s_wait_dscnt 0x6
	;;#ASMSTART
	v_dot2_f32_f16 v60, v0, v24, v60
	;;#ASMEND
	;;#ASMSTART
	v_dot2_f32_f16 v60, v1, v25, v60
	;;#ASMEND
	;;#ASMSTART
	v_dot2_f32_f16 v60, v2, v26, v60
	;;#ASMEND
	;;#ASMSTART
	v_dot2_f32_f16 v60, v3, v27, v60
	;;#ASMEND
	s_wait_dscnt 0x5
	;;#ASMSTART
	v_dot2_f32_f16 v69, v0, v76, v69
	;;#ASMEND
	;;#ASMSTART
	v_dot2_f32_f16 v69, v1, v77, v69
	;;#ASMEND
	;;#ASMSTART
	v_dot2_f32_f16 v69, v2, v78, v69
	;;#ASMEND
	;;#ASMSTART
	v_dot2_f32_f16 v69, v3, v79, v69
	;;#ASMEND
	;; [unrolled: 13-line block ×5, first 2 shown]
	;;#ASMSTART
	v_dot2_f32_f16 v70, v88, v76, v70
	;;#ASMEND
	;;#ASMSTART
	v_dot2_f32_f16 v70, v89, v77, v70
	;;#ASMEND
	;; [unrolled: 3-line block ×12, first 2 shown]
	s_wait_dscnt 0x1
	;;#ASMSTART
	v_dot2_f32_f16 v74, v92, v24, v74
	;;#ASMEND
	;;#ASMSTART
	v_dot2_f32_f16 v74, v93, v25, v74
	;;#ASMEND
	;; [unrolled: 3-line block ×16, first 2 shown]
	s_wait_dscnt 0x0
	;;#ASMSTART
	v_dot2_f32_f16 v75, v96, v24, v75
	;;#ASMEND
	;;#ASMSTART
	v_dot2_f32_f16 v75, v97, v25, v75
	;;#ASMEND
	;; [unrolled: 3-line block ×16, first 2 shown]
	ds_load_b128 v[0:3], v36 offset:80
	ds_load_b128 v[24:27], v29 offset:208
	;; [unrolled: 1-line block ×8, first 2 shown]
	s_wait_dscnt 0x6
	;;#ASMSTART
	v_dot2_f32_f16 v60, v0, v24, v60
	;;#ASMEND
	;;#ASMSTART
	v_dot2_f32_f16 v60, v1, v25, v60
	;;#ASMEND
	;;#ASMSTART
	v_dot2_f32_f16 v60, v2, v26, v60
	;;#ASMEND
	;;#ASMSTART
	v_dot2_f32_f16 v60, v3, v27, v60
	;;#ASMEND
	s_wait_dscnt 0x5
	;;#ASMSTART
	v_dot2_f32_f16 v69, v0, v76, v69
	;;#ASMEND
	;;#ASMSTART
	v_dot2_f32_f16 v69, v1, v77, v69
	;;#ASMEND
	;;#ASMSTART
	v_dot2_f32_f16 v69, v2, v78, v69
	;;#ASMEND
	;;#ASMSTART
	v_dot2_f32_f16 v69, v3, v79, v69
	;;#ASMEND
	;; [unrolled: 13-line block ×5, first 2 shown]
	;;#ASMSTART
	v_dot2_f32_f16 v70, v88, v76, v70
	;;#ASMEND
	;;#ASMSTART
	v_dot2_f32_f16 v70, v89, v77, v70
	;;#ASMEND
	;; [unrolled: 3-line block ×12, first 2 shown]
	s_wait_dscnt 0x1
	;;#ASMSTART
	v_dot2_f32_f16 v74, v92, v24, v74
	;;#ASMEND
	;;#ASMSTART
	v_dot2_f32_f16 v74, v93, v25, v74
	;;#ASMEND
	;;#ASMSTART
	v_dot2_f32_f16 v74, v94, v26, v74
	;;#ASMEND
	;;#ASMSTART
	v_dot2_f32_f16 v74, v95, v27, v74
	;;#ASMEND
	;;#ASMSTART
	v_dot2_f32_f16 v71, v92, v76, v71
	;;#ASMEND
	;;#ASMSTART
	v_dot2_f32_f16 v71, v93, v77, v71
	;;#ASMEND
	;;#ASMSTART
	v_dot2_f32_f16 v71, v94, v78, v71
	;;#ASMEND
	;;#ASMSTART
	v_dot2_f32_f16 v71, v95, v79, v71
	;;#ASMEND
	;;#ASMSTART
	v_dot2_f32_f16 v67, v92, v80, v67
	;;#ASMEND
	;;#ASMSTART
	v_dot2_f32_f16 v67, v93, v81, v67
	;;#ASMEND
	;;#ASMSTART
	v_dot2_f32_f16 v67, v94, v82, v67
	;;#ASMEND
	;;#ASMSTART
	v_dot2_f32_f16 v67, v95, v83, v67
	;;#ASMEND
	;;#ASMSTART
	v_dot2_f32_f16 v63, v92, v84, v63
	;;#ASMEND
	;;#ASMSTART
	v_dot2_f32_f16 v63, v93, v85, v63
	;;#ASMEND
	;;#ASMSTART
	v_dot2_f32_f16 v63, v94, v86, v63
	;;#ASMEND
	;;#ASMSTART
	v_dot2_f32_f16 v63, v95, v87, v63
	;;#ASMEND
	s_wait_dscnt 0x0
	;;#ASMSTART
	v_dot2_f32_f16 v75, v96, v24, v75
	;;#ASMEND
	;;#ASMSTART
	v_dot2_f32_f16 v75, v97, v25, v75
	;;#ASMEND
	;;#ASMSTART
	v_dot2_f32_f16 v75, v98, v26, v75
	;;#ASMEND
	;;#ASMSTART
	v_dot2_f32_f16 v75, v99, v27, v75
	;;#ASMEND
	;;#ASMSTART
	v_dot2_f32_f16 v72, v96, v76, v72
	;;#ASMEND
	;;#ASMSTART
	v_dot2_f32_f16 v72, v97, v77, v72
	;;#ASMEND
	;;#ASMSTART
	v_dot2_f32_f16 v72, v98, v78, v72
	;;#ASMEND
	;;#ASMSTART
	v_dot2_f32_f16 v72, v99, v79, v72
	;;#ASMEND
	;;#ASMSTART
	v_dot2_f32_f16 v68, v96, v80, v68
	;;#ASMEND
	;;#ASMSTART
	v_dot2_f32_f16 v68, v97, v81, v68
	;;#ASMEND
	;;#ASMSTART
	v_dot2_f32_f16 v68, v98, v82, v68
	;;#ASMEND
	;;#ASMSTART
	v_dot2_f32_f16 v68, v99, v83, v68
	;;#ASMEND
	;;#ASMSTART
	v_dot2_f32_f16 v64, v96, v84, v64
	;;#ASMEND
	;;#ASMSTART
	v_dot2_f32_f16 v64, v97, v85, v64
	;;#ASMEND
	;;#ASMSTART
	v_dot2_f32_f16 v64, v98, v86, v64
	;;#ASMEND
	;;#ASMSTART
	v_dot2_f32_f16 v64, v99, v87, v64
	;;#ASMEND
	ds_load_b128 v[0:3], v36 offset:96
	ds_load_b128 v[24:27], v29 offset:224
	;; [unrolled: 1-line block ×8, first 2 shown]
	s_wait_dscnt 0x6
	;;#ASMSTART
	v_dot2_f32_f16 v60, v0, v24, v60
	;;#ASMEND
	;;#ASMSTART
	v_dot2_f32_f16 v60, v1, v25, v60
	;;#ASMEND
	;;#ASMSTART
	v_dot2_f32_f16 v60, v2, v26, v60
	;;#ASMEND
	;;#ASMSTART
	v_dot2_f32_f16 v60, v3, v27, v60
	;;#ASMEND
	s_wait_dscnt 0x5
	;;#ASMSTART
	v_dot2_f32_f16 v69, v0, v76, v69
	;;#ASMEND
	;;#ASMSTART
	v_dot2_f32_f16 v69, v1, v77, v69
	;;#ASMEND
	;;#ASMSTART
	v_dot2_f32_f16 v69, v2, v78, v69
	;;#ASMEND
	;;#ASMSTART
	v_dot2_f32_f16 v69, v3, v79, v69
	;;#ASMEND
	;; [unrolled: 13-line block ×5, first 2 shown]
	;;#ASMSTART
	v_dot2_f32_f16 v70, v88, v76, v70
	;;#ASMEND
	;;#ASMSTART
	v_dot2_f32_f16 v70, v89, v77, v70
	;;#ASMEND
	;; [unrolled: 3-line block ×12, first 2 shown]
	s_wait_dscnt 0x1
	;;#ASMSTART
	v_dot2_f32_f16 v74, v92, v24, v74
	;;#ASMEND
	;;#ASMSTART
	v_dot2_f32_f16 v74, v93, v25, v74
	;;#ASMEND
	;; [unrolled: 3-line block ×16, first 2 shown]
	s_wait_dscnt 0x0
	;;#ASMSTART
	v_dot2_f32_f16 v75, v96, v24, v75
	;;#ASMEND
	;;#ASMSTART
	v_dot2_f32_f16 v75, v97, v25, v75
	;;#ASMEND
	;; [unrolled: 3-line block ×16, first 2 shown]
	ds_load_b128 v[0:3], v36 offset:112
	ds_load_b128 v[24:27], v29 offset:240
	ds_load_b128 v[76:79], v29 offset:496
	ds_load_b128 v[80:83], v29 offset:752
	ds_load_b128 v[84:87], v29 offset:1008
	ds_load_b128 v[88:91], v36 offset:4720
	ds_load_b128 v[92:95], v36 offset:9328
	ds_load_b128 v[96:99], v36 offset:13936
	s_wait_dscnt 0x6
	;;#ASMSTART
	v_dot2_f32_f16 v60, v0, v24, v60
	;;#ASMEND
	;;#ASMSTART
	v_dot2_f32_f16 v60, v1, v25, v60
	;;#ASMEND
	;;#ASMSTART
	v_dot2_f32_f16 v60, v2, v26, v60
	;;#ASMEND
	;;#ASMSTART
	v_dot2_f32_f16 v60, v3, v27, v60
	;;#ASMEND
	s_wait_dscnt 0x5
	;;#ASMSTART
	v_dot2_f32_f16 v69, v0, v76, v69
	;;#ASMEND
	;;#ASMSTART
	v_dot2_f32_f16 v69, v1, v77, v69
	;;#ASMEND
	;;#ASMSTART
	v_dot2_f32_f16 v69, v2, v78, v69
	;;#ASMEND
	;;#ASMSTART
	v_dot2_f32_f16 v69, v3, v79, v69
	;;#ASMEND
	;; [unrolled: 13-line block ×5, first 2 shown]
	;;#ASMSTART
	v_dot2_f32_f16 v70, v88, v76, v70
	;;#ASMEND
	;;#ASMSTART
	v_dot2_f32_f16 v70, v89, v77, v70
	;;#ASMEND
	;; [unrolled: 3-line block ×12, first 2 shown]
	s_wait_dscnt 0x1
	;;#ASMSTART
	v_dot2_f32_f16 v74, v92, v24, v74
	;;#ASMEND
	;;#ASMSTART
	v_dot2_f32_f16 v74, v93, v25, v74
	;;#ASMEND
	;; [unrolled: 3-line block ×16, first 2 shown]
	s_wait_dscnt 0x0
	;;#ASMSTART
	v_dot2_f32_f16 v75, v96, v24, v75
	;;#ASMEND
	;;#ASMSTART
	v_dot2_f32_f16 v75, v97, v25, v75
	;;#ASMEND
	;; [unrolled: 3-line block ×9, first 2 shown]
	v_cmp_ngt_f32_e64 s26, 0x3f200000, |v60|
	;;#ASMSTART
	v_dot2_f32_f16 v68, v97, v81, v68
	;;#ASMEND
	;;#ASMSTART
	v_dot2_f32_f16 v68, v98, v82, v68
	;;#ASMEND
	;; [unrolled: 3-line block ×7, first 2 shown]
                                        ; implicit-def: $vgpr2
	s_and_saveexec_b32 s27, s26
	s_wait_alu 0xfffe
	s_xor_b32 s26, exec_lo, s27
	s_cbranch_execz .LBB76_11
; %bb.10:                               ;   in Loop: Header=BB76_9 Depth=1
	v_add_f32_e64 v0, |v60|, |v60|
	s_delay_alu instid0(VALU_DEP_1) | instskip(SKIP_1) | instid1(VALU_DEP_2)
	v_mul_f32_e32 v1, 0x3fb8aa3b, v0
	v_cmp_ngt_f32_e32 vcc_lo, 0xc2ce8ed0, v0
	v_rndne_f32_e32 v2, v1
	v_fma_f32 v3, 0x3fb8aa3b, v0, -v1
	s_delay_alu instid0(VALU_DEP_2) | instskip(NEXT) | instid1(VALU_DEP_2)
	v_sub_f32_e32 v1, v1, v2
	v_fmac_f32_e32 v3, 0x32a5705f, v0
	v_cvt_i32_f32_e32 v2, v2
	s_delay_alu instid0(VALU_DEP_2) | instskip(NEXT) | instid1(VALU_DEP_1)
	v_add_f32_e32 v1, v1, v3
	v_exp_f32_e32 v1, v1
	s_delay_alu instid0(TRANS32_DEP_1) | instskip(SKIP_1) | instid1(VALU_DEP_1)
	v_ldexp_f32 v1, v1, v2
	s_wait_alu 0xfffd
	v_cndmask_b32_e32 v1, 0, v1, vcc_lo
	v_cmp_nlt_f32_e32 vcc_lo, 0x42b17218, v0
	s_wait_alu 0xfffd
	s_delay_alu instid0(VALU_DEP_2) | instskip(NEXT) | instid1(VALU_DEP_1)
	v_cndmask_b32_e32 v0, 0x7f800000, v1, vcc_lo
	v_add_f32_e32 v0, 1.0, v0
	s_delay_alu instid0(VALU_DEP_1) | instskip(NEXT) | instid1(TRANS32_DEP_1)
	v_rcp_f32_e32 v0, v0
	v_fma_f32 v2, v0, -2.0, 1.0
.LBB76_11:                              ;   in Loop: Header=BB76_9 Depth=1
	s_wait_alu 0xfffe
	s_and_not1_saveexec_b32 s26, s26
	s_cbranch_execz .LBB76_13
; %bb.12:                               ;   in Loop: Header=BB76_9 Depth=1
	v_mul_f32_e32 v0, v60, v60
	s_delay_alu instid0(VALU_DEP_1) | instskip(NEXT) | instid1(VALU_DEP_1)
	v_fmaak_f32 v1, s3, v0, 0x3ca908c9
	v_fmaak_f32 v1, v0, v1, 0xbd5c1c4e
	s_delay_alu instid0(VALU_DEP_1) | instskip(NEXT) | instid1(VALU_DEP_1)
	v_fmaak_f32 v1, v0, v1, 0x3e088382
	v_fmaak_f32 v1, v0, v1, 0xbeaaaa99
	s_delay_alu instid0(VALU_DEP_1) | instskip(NEXT) | instid1(VALU_DEP_1)
	v_mul_f32_e64 v1, |v60|, v1
	v_fma_f32 v2, v0, v1, |v60|
.LBB76_13:                              ;   in Loop: Header=BB76_9 Depth=1
	s_wait_alu 0xfffe
	s_or_b32 exec_lo, exec_lo, s26
	v_add_nc_u32_e32 v0, s10, v4
	v_cmp_ngt_f32_e64 s26, 0x3f200000, |v73|
                                        ; implicit-def: $vgpr3
	s_delay_alu instid0(VALU_DEP_2) | instskip(NEXT) | instid1(VALU_DEP_1)
	v_ashrrev_i32_e32 v1, 31, v0
	v_lshlrev_b64_e32 v[0:1], 1, v[0:1]
	s_delay_alu instid0(VALU_DEP_1) | instskip(SKIP_1) | instid1(VALU_DEP_2)
	v_add_co_u32 v0, vcc_lo, s34, v0
	s_wait_alu 0xfffd
	v_add_co_ci_u32_e64 v1, null, s35, v1, vcc_lo
	global_load_u16 v82, v[0:1], off
	s_and_saveexec_b32 s27, s26
	s_wait_alu 0xfffe
	s_xor_b32 s26, exec_lo, s27
	s_cbranch_execz .LBB76_15
; %bb.14:                               ;   in Loop: Header=BB76_9 Depth=1
	v_add_f32_e64 v3, |v73|, |v73|
	s_delay_alu instid0(VALU_DEP_1) | instskip(SKIP_1) | instid1(VALU_DEP_2)
	v_mul_f32_e32 v24, 0x3fb8aa3b, v3
	v_cmp_ngt_f32_e32 vcc_lo, 0xc2ce8ed0, v3
	v_rndne_f32_e32 v25, v24
	v_fma_f32 v26, 0x3fb8aa3b, v3, -v24
	s_delay_alu instid0(VALU_DEP_2) | instskip(NEXT) | instid1(VALU_DEP_2)
	v_sub_f32_e32 v24, v24, v25
	v_fmac_f32_e32 v26, 0x32a5705f, v3
	v_cvt_i32_f32_e32 v25, v25
	s_delay_alu instid0(VALU_DEP_2) | instskip(NEXT) | instid1(VALU_DEP_1)
	v_add_f32_e32 v24, v24, v26
	v_exp_f32_e32 v24, v24
	s_delay_alu instid0(TRANS32_DEP_1) | instskip(SKIP_1) | instid1(VALU_DEP_1)
	v_ldexp_f32 v24, v24, v25
	s_wait_alu 0xfffd
	v_cndmask_b32_e32 v24, 0, v24, vcc_lo
	v_cmp_nlt_f32_e32 vcc_lo, 0x42b17218, v3
	s_wait_alu 0xfffd
	s_delay_alu instid0(VALU_DEP_2) | instskip(NEXT) | instid1(VALU_DEP_1)
	v_cndmask_b32_e32 v3, 0x7f800000, v24, vcc_lo
	v_add_f32_e32 v3, 1.0, v3
	s_delay_alu instid0(VALU_DEP_1) | instskip(NEXT) | instid1(TRANS32_DEP_1)
	v_rcp_f32_e32 v3, v3
	v_fma_f32 v3, v3, -2.0, 1.0
.LBB76_15:                              ;   in Loop: Header=BB76_9 Depth=1
	s_wait_alu 0xfffe
	s_and_not1_saveexec_b32 s26, s26
	s_cbranch_execz .LBB76_17
; %bb.16:                               ;   in Loop: Header=BB76_9 Depth=1
	v_mul_f32_e32 v3, v73, v73
	s_delay_alu instid0(VALU_DEP_1) | instskip(NEXT) | instid1(VALU_DEP_1)
	v_fmaak_f32 v24, s3, v3, 0x3ca908c9
	v_fmaak_f32 v24, v3, v24, 0xbd5c1c4e
	s_delay_alu instid0(VALU_DEP_1) | instskip(NEXT) | instid1(VALU_DEP_1)
	v_fmaak_f32 v24, v3, v24, 0x3e088382
	v_fmaak_f32 v24, v3, v24, 0xbeaaaa99
	s_delay_alu instid0(VALU_DEP_1) | instskip(NEXT) | instid1(VALU_DEP_1)
	v_mul_f32_e64 v24, |v73|, v24
	v_fma_f32 v3, v3, v24, |v73|
.LBB76_17:                              ;   in Loop: Header=BB76_9 Depth=1
	s_wait_alu 0xfffe
	s_or_b32 exec_lo, exec_lo, s26
	global_load_u16 v83, v[0:1], off offset:64
	v_cmp_ngt_f32_e64 s26, 0x3f200000, |v74|
                                        ; implicit-def: $vgpr24
	s_and_saveexec_b32 s27, s26
	s_wait_alu 0xfffe
	s_xor_b32 s26, exec_lo, s27
	s_cbranch_execz .LBB76_19
; %bb.18:                               ;   in Loop: Header=BB76_9 Depth=1
	v_add_f32_e64 v24, |v74|, |v74|
	s_delay_alu instid0(VALU_DEP_1) | instskip(SKIP_1) | instid1(VALU_DEP_2)
	v_mul_f32_e32 v25, 0x3fb8aa3b, v24
	v_cmp_ngt_f32_e32 vcc_lo, 0xc2ce8ed0, v24
	v_rndne_f32_e32 v26, v25
	v_fma_f32 v27, 0x3fb8aa3b, v24, -v25
	s_delay_alu instid0(VALU_DEP_2) | instskip(NEXT) | instid1(VALU_DEP_2)
	v_sub_f32_e32 v25, v25, v26
	v_fmac_f32_e32 v27, 0x32a5705f, v24
	v_cvt_i32_f32_e32 v26, v26
	s_delay_alu instid0(VALU_DEP_2) | instskip(NEXT) | instid1(VALU_DEP_1)
	v_add_f32_e32 v25, v25, v27
	v_exp_f32_e32 v25, v25
	s_delay_alu instid0(TRANS32_DEP_1) | instskip(SKIP_1) | instid1(VALU_DEP_1)
	v_ldexp_f32 v25, v25, v26
	s_wait_alu 0xfffd
	v_cndmask_b32_e32 v25, 0, v25, vcc_lo
	v_cmp_nlt_f32_e32 vcc_lo, 0x42b17218, v24
	s_wait_alu 0xfffd
	s_delay_alu instid0(VALU_DEP_2) | instskip(NEXT) | instid1(VALU_DEP_1)
	v_cndmask_b32_e32 v24, 0x7f800000, v25, vcc_lo
	v_add_f32_e32 v24, 1.0, v24
	s_delay_alu instid0(VALU_DEP_1) | instskip(NEXT) | instid1(TRANS32_DEP_1)
	v_rcp_f32_e32 v24, v24
	v_fma_f32 v24, v24, -2.0, 1.0
.LBB76_19:                              ;   in Loop: Header=BB76_9 Depth=1
	s_wait_alu 0xfffe
	s_and_not1_saveexec_b32 s26, s26
	s_cbranch_execz .LBB76_21
; %bb.20:                               ;   in Loop: Header=BB76_9 Depth=1
	v_mul_f32_e32 v24, v74, v74
	s_delay_alu instid0(VALU_DEP_1) | instskip(NEXT) | instid1(VALU_DEP_1)
	v_fmaak_f32 v25, s3, v24, 0x3ca908c9
	v_fmaak_f32 v25, v24, v25, 0xbd5c1c4e
	s_delay_alu instid0(VALU_DEP_1) | instskip(NEXT) | instid1(VALU_DEP_1)
	v_fmaak_f32 v25, v24, v25, 0x3e088382
	v_fmaak_f32 v25, v24, v25, 0xbeaaaa99
	s_delay_alu instid0(VALU_DEP_1) | instskip(NEXT) | instid1(VALU_DEP_1)
	v_mul_f32_e64 v25, |v74|, v25
	v_fma_f32 v24, v24, v25, |v74|
.LBB76_21:                              ;   in Loop: Header=BB76_9 Depth=1
	s_wait_alu 0xfffe
	s_or_b32 exec_lo, exec_lo, s26
	global_load_u16 v84, v[0:1], off offset:128
	v_cmp_ngt_f32_e64 s26, 0x3f200000, |v75|
                                        ; implicit-def: $vgpr25
	s_and_saveexec_b32 s27, s26
	s_wait_alu 0xfffe
	s_xor_b32 s26, exec_lo, s27
	s_cbranch_execz .LBB76_23
; %bb.22:                               ;   in Loop: Header=BB76_9 Depth=1
	v_add_f32_e64 v25, |v75|, |v75|
	s_delay_alu instid0(VALU_DEP_1) | instskip(SKIP_1) | instid1(VALU_DEP_2)
	v_mul_f32_e32 v26, 0x3fb8aa3b, v25
	v_cmp_ngt_f32_e32 vcc_lo, 0xc2ce8ed0, v25
	v_rndne_f32_e32 v27, v26
	v_fma_f32 v76, 0x3fb8aa3b, v25, -v26
	s_delay_alu instid0(VALU_DEP_2) | instskip(NEXT) | instid1(VALU_DEP_2)
	v_sub_f32_e32 v26, v26, v27
	v_fmac_f32_e32 v76, 0x32a5705f, v25
	v_cvt_i32_f32_e32 v27, v27
	s_delay_alu instid0(VALU_DEP_2) | instskip(NEXT) | instid1(VALU_DEP_1)
	v_add_f32_e32 v26, v26, v76
	v_exp_f32_e32 v26, v26
	s_delay_alu instid0(TRANS32_DEP_1) | instskip(SKIP_1) | instid1(VALU_DEP_1)
	v_ldexp_f32 v26, v26, v27
	s_wait_alu 0xfffd
	v_cndmask_b32_e32 v26, 0, v26, vcc_lo
	v_cmp_nlt_f32_e32 vcc_lo, 0x42b17218, v25
	s_wait_alu 0xfffd
	s_delay_alu instid0(VALU_DEP_2) | instskip(NEXT) | instid1(VALU_DEP_1)
	v_cndmask_b32_e32 v25, 0x7f800000, v26, vcc_lo
	v_add_f32_e32 v25, 1.0, v25
	s_delay_alu instid0(VALU_DEP_1) | instskip(NEXT) | instid1(TRANS32_DEP_1)
	v_rcp_f32_e32 v25, v25
	v_fma_f32 v25, v25, -2.0, 1.0
.LBB76_23:                              ;   in Loop: Header=BB76_9 Depth=1
	s_wait_alu 0xfffe
	s_and_not1_saveexec_b32 s26, s26
	s_cbranch_execz .LBB76_25
; %bb.24:                               ;   in Loop: Header=BB76_9 Depth=1
	v_mul_f32_e32 v25, v75, v75
	s_delay_alu instid0(VALU_DEP_1) | instskip(NEXT) | instid1(VALU_DEP_1)
	v_fmaak_f32 v26, s3, v25, 0x3ca908c9
	v_fmaak_f32 v26, v25, v26, 0xbd5c1c4e
	s_delay_alu instid0(VALU_DEP_1) | instskip(NEXT) | instid1(VALU_DEP_1)
	v_fmaak_f32 v26, v25, v26, 0x3e088382
	v_fmaak_f32 v26, v25, v26, 0xbeaaaa99
	s_delay_alu instid0(VALU_DEP_1) | instskip(NEXT) | instid1(VALU_DEP_1)
	v_mul_f32_e64 v26, |v75|, v26
	v_fma_f32 v25, v25, v26, |v75|
.LBB76_25:                              ;   in Loop: Header=BB76_9 Depth=1
	s_wait_alu 0xfffe
	s_or_b32 exec_lo, exec_lo, s26
	global_load_u16 v85, v[0:1], off offset:192
	v_bfi_b32 v0, 0x7fffffff, v2, v60
	v_bfi_b32 v1, 0x7fffffff, v3, v73
	v_bfi_b32 v2, 0x7fffffff, v25, v75
	v_xor_b32_e32 v60, 16, v30
	v_xor_b32_e32 v27, 8, v30
	s_wait_loadcnt 0x3
	v_fma_mix_f32 v78, s5, v0, v82 op_sel_hi:[0,0,1]
	s_wait_loadcnt 0x2
	v_fma_mix_f32 v77, s5, v1, v83 op_sel_hi:[0,0,1]
	v_bfi_b32 v0, 0x7fffffff, v24, v74
	v_cmp_gt_i32_e32 vcc_lo, 32, v60
	v_xor_b32_e32 v26, 4, v30
	v_xor_b32_e32 v25, 2, v30
	v_add_f32_e32 v3, 0x40051340, v77
	s_wait_loadcnt 0x1
	v_fma_mix_f32 v79, s5, v0, v84 op_sel_hi:[0,0,1]
	s_wait_alu 0xfffd
	v_dual_add_f32 v1, 0x40051340, v78 :: v_dual_cndmask_b32 v0, v30, v60
	v_cmp_gt_i32_e32 vcc_lo, 32, v27
	v_xor_b32_e32 v24, 1, v30
	v_cmp_ngt_f32_e64 s26, 0x3f200000, |v69|
                                        ; implicit-def: $vgpr74
	s_delay_alu instid0(VALU_DEP_4) | instskip(SKIP_4) | instid1(VALU_DEP_3)
	v_lshlrev_b32_e32 v0, 2, v0
	s_wait_loadcnt 0x0
	v_fma_mix_f32 v80, s5, v2, v85 op_sel_hi:[0,0,1]
	v_add_f32_e32 v2, 0x40051340, v79
	v_max3_num_f32 v1, v59, v1, v3
	v_add_f32_e32 v3, 0x40051340, v80
	s_delay_alu instid0(VALU_DEP_1)
	v_max3_num_f32 v1, v1, v2, v3
	s_wait_alu 0xfffd
	v_cndmask_b32_e32 v3, v30, v27, vcc_lo
	v_cmp_gt_i32_e32 vcc_lo, 32, v26
	ds_bpermute_b32 v2, v0, v1
	v_lshlrev_b32_e32 v81, 2, v3
	s_wait_alu 0xfffd
	v_cndmask_b32_e32 v3, v30, v26, vcc_lo
	v_cmp_gt_i32_e32 vcc_lo, 32, v25
	s_wait_alu 0xfffd
	s_delay_alu instid0(VALU_DEP_2) | instskip(SKIP_1) | instid1(VALU_DEP_2)
	v_dual_cndmask_b32 v3, v30, v25 :: v_dual_lshlrev_b32 v76, 2, v3
	v_cmp_gt_i32_e32 vcc_lo, 32, v24
	v_lshlrev_b32_e32 v73, 2, v3
	s_wait_alu 0xfffd
	v_cndmask_b32_e32 v3, v30, v24, vcc_lo
	s_wait_dscnt 0x0
	s_delay_alu instid0(VALU_DEP_1) | instskip(NEXT) | instid1(VALU_DEP_1)
	v_dual_max_num_f32 v2, v2, v2 :: v_dual_lshlrev_b32 v3, 2, v3
	v_max_num_f32_e32 v1, v1, v2
	ds_bpermute_b32 v2, v81, v1
	s_wait_dscnt 0x0
	v_max_num_f32_e32 v2, v2, v2
	s_delay_alu instid0(VALU_DEP_1) | instskip(SKIP_3) | instid1(VALU_DEP_1)
	v_max_num_f32_e32 v1, v1, v2
	ds_bpermute_b32 v2, v76, v1
	s_wait_dscnt 0x0
	v_max_num_f32_e32 v2, v2, v2
	v_max_num_f32_e32 v1, v1, v2
	ds_bpermute_b32 v2, v73, v1
	s_wait_dscnt 0x0
	v_max_num_f32_e32 v2, v2, v2
	s_delay_alu instid0(VALU_DEP_1)
	v_max_num_f32_e32 v1, v1, v2
	ds_bpermute_b32 v2, v3, v1
	s_and_saveexec_b32 s27, s26
	s_wait_alu 0xfffe
	s_xor_b32 s26, exec_lo, s27
	s_cbranch_execz .LBB76_27
; %bb.26:                               ;   in Loop: Header=BB76_9 Depth=1
	v_add_f32_e64 v74, |v69|, |v69|
	s_delay_alu instid0(VALU_DEP_1) | instskip(SKIP_1) | instid1(VALU_DEP_2)
	v_mul_f32_e32 v75, 0x3fb8aa3b, v74
	v_cmp_ngt_f32_e32 vcc_lo, 0xc2ce8ed0, v74
	v_rndne_f32_e32 v86, v75
	v_fma_f32 v87, 0x3fb8aa3b, v74, -v75
	s_delay_alu instid0(VALU_DEP_2) | instskip(NEXT) | instid1(VALU_DEP_2)
	v_sub_f32_e32 v75, v75, v86
	v_fmac_f32_e32 v87, 0x32a5705f, v74
	v_cvt_i32_f32_e32 v86, v86
	s_delay_alu instid0(VALU_DEP_2) | instskip(NEXT) | instid1(VALU_DEP_1)
	v_add_f32_e32 v75, v75, v87
	v_exp_f32_e32 v75, v75
	s_delay_alu instid0(TRANS32_DEP_1) | instskip(SKIP_1) | instid1(VALU_DEP_1)
	v_ldexp_f32 v75, v75, v86
	s_wait_alu 0xfffd
	v_cndmask_b32_e32 v75, 0, v75, vcc_lo
	v_cmp_nlt_f32_e32 vcc_lo, 0x42b17218, v74
	s_wait_alu 0xfffd
	s_delay_alu instid0(VALU_DEP_2) | instskip(NEXT) | instid1(VALU_DEP_1)
	v_cndmask_b32_e32 v74, 0x7f800000, v75, vcc_lo
	v_add_f32_e32 v74, 1.0, v74
	s_delay_alu instid0(VALU_DEP_1) | instskip(NEXT) | instid1(TRANS32_DEP_1)
	v_rcp_f32_e32 v74, v74
	v_fma_f32 v74, v74, -2.0, 1.0
.LBB76_27:                              ;   in Loop: Header=BB76_9 Depth=1
	s_wait_alu 0xfffe
	s_and_not1_saveexec_b32 s26, s26
	s_cbranch_execz .LBB76_29
; %bb.28:                               ;   in Loop: Header=BB76_9 Depth=1
	v_mul_f32_e32 v74, v69, v69
	s_delay_alu instid0(VALU_DEP_1) | instskip(NEXT) | instid1(VALU_DEP_1)
	v_fmaak_f32 v75, s3, v74, 0x3ca908c9
	v_fmaak_f32 v75, v74, v75, 0xbd5c1c4e
	s_delay_alu instid0(VALU_DEP_1) | instskip(NEXT) | instid1(VALU_DEP_1)
	v_fmaak_f32 v75, v74, v75, 0x3e088382
	v_fmaak_f32 v75, v74, v75, 0xbeaaaa99
	s_delay_alu instid0(VALU_DEP_1) | instskip(NEXT) | instid1(VALU_DEP_1)
	v_mul_f32_e64 v75, |v69|, v75
	v_fma_f32 v74, v74, v75, |v69|
.LBB76_29:                              ;   in Loop: Header=BB76_9 Depth=1
	s_wait_alu 0xfffe
	s_or_b32 exec_lo, exec_lo, s26
	v_cmp_ngt_f32_e64 s26, 0x3f200000, |v70|
                                        ; implicit-def: $vgpr86
	s_and_saveexec_b32 s27, s26
	s_wait_alu 0xfffe
	s_xor_b32 s26, exec_lo, s27
	s_cbranch_execz .LBB76_31
; %bb.30:                               ;   in Loop: Header=BB76_9 Depth=1
	v_add_f32_e64 v75, |v70|, |v70|
	s_delay_alu instid0(VALU_DEP_1) | instskip(SKIP_1) | instid1(VALU_DEP_2)
	v_mul_f32_e32 v86, 0x3fb8aa3b, v75
	v_cmp_ngt_f32_e32 vcc_lo, 0xc2ce8ed0, v75
	v_rndne_f32_e32 v87, v86
	v_fma_f32 v88, 0x3fb8aa3b, v75, -v86
	s_delay_alu instid0(VALU_DEP_2) | instskip(NEXT) | instid1(VALU_DEP_2)
	v_sub_f32_e32 v86, v86, v87
	v_fmac_f32_e32 v88, 0x32a5705f, v75
	v_cvt_i32_f32_e32 v87, v87
	s_delay_alu instid0(VALU_DEP_2) | instskip(NEXT) | instid1(VALU_DEP_1)
	v_add_f32_e32 v86, v86, v88
	v_exp_f32_e32 v86, v86
	s_delay_alu instid0(TRANS32_DEP_1) | instskip(SKIP_1) | instid1(VALU_DEP_1)
	v_ldexp_f32 v86, v86, v87
	s_wait_alu 0xfffd
	v_cndmask_b32_e32 v86, 0, v86, vcc_lo
	v_cmp_nlt_f32_e32 vcc_lo, 0x42b17218, v75
	s_wait_alu 0xfffd
	s_delay_alu instid0(VALU_DEP_2) | instskip(NEXT) | instid1(VALU_DEP_1)
	v_cndmask_b32_e32 v75, 0x7f800000, v86, vcc_lo
	v_add_f32_e32 v75, 1.0, v75
	s_delay_alu instid0(VALU_DEP_1) | instskip(NEXT) | instid1(TRANS32_DEP_1)
	v_rcp_f32_e32 v75, v75
	v_fma_f32 v86, v75, -2.0, 1.0
.LBB76_31:                              ;   in Loop: Header=BB76_9 Depth=1
	s_wait_alu 0xfffe
	s_and_not1_saveexec_b32 s26, s26
	s_cbranch_execz .LBB76_33
; %bb.32:                               ;   in Loop: Header=BB76_9 Depth=1
	v_mul_f32_e32 v75, v70, v70
	s_delay_alu instid0(VALU_DEP_1) | instskip(NEXT) | instid1(VALU_DEP_1)
	v_fmaak_f32 v86, s3, v75, 0x3ca908c9
	v_fmaak_f32 v86, v75, v86, 0xbd5c1c4e
	s_delay_alu instid0(VALU_DEP_1) | instskip(NEXT) | instid1(VALU_DEP_1)
	v_fmaak_f32 v86, v75, v86, 0x3e088382
	v_fmaak_f32 v86, v75, v86, 0xbeaaaa99
	s_delay_alu instid0(VALU_DEP_1) | instskip(NEXT) | instid1(VALU_DEP_1)
	v_mul_f32_e64 v86, |v70|, v86
	v_fma_f32 v86, v75, v86, |v70|
.LBB76_33:                              ;   in Loop: Header=BB76_9 Depth=1
	s_wait_alu 0xfffe
	s_or_b32 exec_lo, exec_lo, s26
	v_cmp_ngt_f32_e64 s26, 0x3f200000, |v71|
                                        ; implicit-def: $vgpr87
	s_and_saveexec_b32 s27, s26
	s_wait_alu 0xfffe
	s_xor_b32 s26, exec_lo, s27
	s_cbranch_execz .LBB76_35
; %bb.34:                               ;   in Loop: Header=BB76_9 Depth=1
	v_add_f32_e64 v75, |v71|, |v71|
	s_delay_alu instid0(VALU_DEP_1) | instskip(SKIP_1) | instid1(VALU_DEP_2)
	v_mul_f32_e32 v87, 0x3fb8aa3b, v75
	v_cmp_ngt_f32_e32 vcc_lo, 0xc2ce8ed0, v75
	v_rndne_f32_e32 v88, v87
	v_fma_f32 v89, 0x3fb8aa3b, v75, -v87
	s_delay_alu instid0(VALU_DEP_2) | instskip(NEXT) | instid1(VALU_DEP_2)
	v_sub_f32_e32 v87, v87, v88
	v_fmac_f32_e32 v89, 0x32a5705f, v75
	v_cvt_i32_f32_e32 v88, v88
	s_delay_alu instid0(VALU_DEP_2) | instskip(NEXT) | instid1(VALU_DEP_1)
	v_add_f32_e32 v87, v87, v89
	v_exp_f32_e32 v87, v87
	s_delay_alu instid0(TRANS32_DEP_1) | instskip(SKIP_1) | instid1(VALU_DEP_1)
	v_ldexp_f32 v87, v87, v88
	s_wait_alu 0xfffd
	v_cndmask_b32_e32 v87, 0, v87, vcc_lo
	v_cmp_nlt_f32_e32 vcc_lo, 0x42b17218, v75
	s_wait_alu 0xfffd
	s_delay_alu instid0(VALU_DEP_2) | instskip(NEXT) | instid1(VALU_DEP_1)
	v_cndmask_b32_e32 v75, 0x7f800000, v87, vcc_lo
	v_add_f32_e32 v75, 1.0, v75
	s_delay_alu instid0(VALU_DEP_1) | instskip(NEXT) | instid1(TRANS32_DEP_1)
	v_rcp_f32_e32 v75, v75
	v_fma_f32 v87, v75, -2.0, 1.0
.LBB76_35:                              ;   in Loop: Header=BB76_9 Depth=1
	s_wait_alu 0xfffe
	s_and_not1_saveexec_b32 s26, s26
	s_cbranch_execz .LBB76_37
; %bb.36:                               ;   in Loop: Header=BB76_9 Depth=1
	v_mul_f32_e32 v75, v71, v71
	s_delay_alu instid0(VALU_DEP_1) | instskip(NEXT) | instid1(VALU_DEP_1)
	v_fmaak_f32 v87, s3, v75, 0x3ca908c9
	v_fmaak_f32 v87, v75, v87, 0xbd5c1c4e
	s_delay_alu instid0(VALU_DEP_1) | instskip(NEXT) | instid1(VALU_DEP_1)
	v_fmaak_f32 v87, v75, v87, 0x3e088382
	v_fmaak_f32 v87, v75, v87, 0xbeaaaa99
	s_delay_alu instid0(VALU_DEP_1) | instskip(NEXT) | instid1(VALU_DEP_1)
	v_mul_f32_e64 v87, |v71|, v87
	v_fma_f32 v87, v75, v87, |v71|
.LBB76_37:                              ;   in Loop: Header=BB76_9 Depth=1
	s_wait_alu 0xfffe
	s_or_b32 exec_lo, exec_lo, s26
	v_cmp_ngt_f32_e64 s26, 0x3f200000, |v72|
                                        ; implicit-def: $vgpr88
	s_and_saveexec_b32 s27, s26
	s_wait_alu 0xfffe
	s_xor_b32 s26, exec_lo, s27
	s_cbranch_execz .LBB76_39
; %bb.38:                               ;   in Loop: Header=BB76_9 Depth=1
	v_add_f32_e64 v75, |v72|, |v72|
	s_delay_alu instid0(VALU_DEP_1) | instskip(SKIP_1) | instid1(VALU_DEP_2)
	v_mul_f32_e32 v88, 0x3fb8aa3b, v75
	v_cmp_ngt_f32_e32 vcc_lo, 0xc2ce8ed0, v75
	v_rndne_f32_e32 v89, v88
	v_fma_f32 v90, 0x3fb8aa3b, v75, -v88
	s_delay_alu instid0(VALU_DEP_2) | instskip(NEXT) | instid1(VALU_DEP_2)
	v_sub_f32_e32 v88, v88, v89
	v_fmac_f32_e32 v90, 0x32a5705f, v75
	v_cvt_i32_f32_e32 v89, v89
	s_delay_alu instid0(VALU_DEP_2) | instskip(NEXT) | instid1(VALU_DEP_1)
	v_add_f32_e32 v88, v88, v90
	v_exp_f32_e32 v88, v88
	s_delay_alu instid0(TRANS32_DEP_1) | instskip(SKIP_1) | instid1(VALU_DEP_1)
	v_ldexp_f32 v88, v88, v89
	s_wait_alu 0xfffd
	v_cndmask_b32_e32 v88, 0, v88, vcc_lo
	v_cmp_nlt_f32_e32 vcc_lo, 0x42b17218, v75
	s_wait_alu 0xfffd
	s_delay_alu instid0(VALU_DEP_2) | instskip(NEXT) | instid1(VALU_DEP_1)
	v_cndmask_b32_e32 v75, 0x7f800000, v88, vcc_lo
	v_add_f32_e32 v75, 1.0, v75
	s_delay_alu instid0(VALU_DEP_1) | instskip(NEXT) | instid1(TRANS32_DEP_1)
	v_rcp_f32_e32 v75, v75
	v_fma_f32 v88, v75, -2.0, 1.0
.LBB76_39:                              ;   in Loop: Header=BB76_9 Depth=1
	s_wait_alu 0xfffe
	s_and_not1_saveexec_b32 s26, s26
	s_cbranch_execz .LBB76_41
; %bb.40:                               ;   in Loop: Header=BB76_9 Depth=1
	v_mul_f32_e32 v75, v72, v72
	s_delay_alu instid0(VALU_DEP_1) | instskip(NEXT) | instid1(VALU_DEP_1)
	v_fmaak_f32 v88, s3, v75, 0x3ca908c9
	v_fmaak_f32 v88, v75, v88, 0xbd5c1c4e
	s_delay_alu instid0(VALU_DEP_1) | instskip(NEXT) | instid1(VALU_DEP_1)
	v_fmaak_f32 v88, v75, v88, 0x3e088382
	v_fmaak_f32 v88, v75, v88, 0xbeaaaa99
	s_delay_alu instid0(VALU_DEP_1) | instskip(NEXT) | instid1(VALU_DEP_1)
	v_mul_f32_e64 v88, |v72|, v88
	v_fma_f32 v88, v75, v88, |v72|
.LBB76_41:                              ;   in Loop: Header=BB76_9 Depth=1
	s_wait_alu 0xfffe
	s_or_b32 exec_lo, exec_lo, s26
	v_cvt_f32_f16_e32 v75, v82
	v_bfi_b32 v82, 0x7fffffff, v74, v69
	v_cvt_f32_f16_e32 v74, v83
	v_bfi_b32 v83, 0x7fffffff, v86, v70
	v_cvt_f32_f16_e32 v70, v84
	v_cvt_f32_f16_e32 v69, v85
	v_fma_f32 v82, s5, v82, v75
	v_bfi_b32 v71, 0x7fffffff, v87, v71
	v_fma_f32 v83, s5, v83, v74
	v_bfi_b32 v84, 0x7fffffff, v88, v72
	v_cmp_ngt_f32_e64 s26, 0x3f200000, |v65|
	v_add_f32_e32 v85, 0x40051340, v82
	v_fma_f32 v72, s5, v71, v70
	v_add_f32_e32 v86, 0x40051340, v83
	v_fma_f32 v71, s5, v84, v69
	s_delay_alu instid0(VALU_DEP_3) | instskip(NEXT) | instid1(VALU_DEP_3)
	v_add_f32_e32 v84, 0x40051340, v72
	v_max3_num_f32 v85, v57, v85, v86
	s_delay_alu instid0(VALU_DEP_3) | instskip(NEXT) | instid1(VALU_DEP_1)
	v_add_f32_e32 v86, 0x40051340, v71
	v_max3_num_f32 v84, v85, v84, v86
	ds_bpermute_b32 v85, v0, v84
	s_wait_dscnt 0x0
	v_max_num_f32_e32 v85, v85, v85
	s_delay_alu instid0(VALU_DEP_1) | instskip(SKIP_3) | instid1(VALU_DEP_1)
	v_max_num_f32_e32 v84, v84, v85
	ds_bpermute_b32 v85, v81, v84
	s_wait_dscnt 0x0
	v_max_num_f32_e32 v85, v85, v85
	v_max_num_f32_e32 v84, v84, v85
	ds_bpermute_b32 v85, v76, v84
	s_wait_dscnt 0x0
	v_max_num_f32_e32 v85, v85, v85
	s_delay_alu instid0(VALU_DEP_1) | instskip(SKIP_3) | instid1(VALU_DEP_1)
	v_max_num_f32_e32 v84, v84, v85
	ds_bpermute_b32 v85, v73, v84
	s_wait_dscnt 0x0
	v_max_num_f32_e32 v85, v85, v85
	v_max_num_f32_e32 v85, v84, v85
                                        ; implicit-def: $vgpr84
	ds_bpermute_b32 v86, v3, v85
	s_and_saveexec_b32 s27, s26
	s_wait_alu 0xfffe
	s_xor_b32 s26, exec_lo, s27
	s_cbranch_execz .LBB76_43
; %bb.42:                               ;   in Loop: Header=BB76_9 Depth=1
	v_add_f32_e64 v84, |v65|, |v65|
	s_delay_alu instid0(VALU_DEP_1) | instskip(SKIP_1) | instid1(VALU_DEP_2)
	v_mul_f32_e32 v87, 0x3fb8aa3b, v84
	v_cmp_ngt_f32_e32 vcc_lo, 0xc2ce8ed0, v84
	v_rndne_f32_e32 v88, v87
	v_fma_f32 v89, 0x3fb8aa3b, v84, -v87
	s_delay_alu instid0(VALU_DEP_2) | instskip(NEXT) | instid1(VALU_DEP_2)
	v_sub_f32_e32 v87, v87, v88
	v_fmac_f32_e32 v89, 0x32a5705f, v84
	v_cvt_i32_f32_e32 v88, v88
	s_delay_alu instid0(VALU_DEP_2) | instskip(NEXT) | instid1(VALU_DEP_1)
	v_add_f32_e32 v87, v87, v89
	v_exp_f32_e32 v87, v87
	s_delay_alu instid0(TRANS32_DEP_1) | instskip(SKIP_1) | instid1(VALU_DEP_1)
	v_ldexp_f32 v87, v87, v88
	s_wait_alu 0xfffd
	v_cndmask_b32_e32 v87, 0, v87, vcc_lo
	v_cmp_nlt_f32_e32 vcc_lo, 0x42b17218, v84
	s_wait_alu 0xfffd
	s_delay_alu instid0(VALU_DEP_2) | instskip(NEXT) | instid1(VALU_DEP_1)
	v_cndmask_b32_e32 v84, 0x7f800000, v87, vcc_lo
	v_add_f32_e32 v84, 1.0, v84
	s_delay_alu instid0(VALU_DEP_1) | instskip(NEXT) | instid1(TRANS32_DEP_1)
	v_rcp_f32_e32 v84, v84
	v_fma_f32 v84, v84, -2.0, 1.0
.LBB76_43:                              ;   in Loop: Header=BB76_9 Depth=1
	s_wait_alu 0xfffe
	s_and_not1_saveexec_b32 s26, s26
	s_cbranch_execz .LBB76_45
; %bb.44:                               ;   in Loop: Header=BB76_9 Depth=1
	v_mul_f32_e32 v84, v65, v65
	s_delay_alu instid0(VALU_DEP_1) | instskip(NEXT) | instid1(VALU_DEP_1)
	v_fmaak_f32 v87, s3, v84, 0x3ca908c9
	v_fmaak_f32 v87, v84, v87, 0xbd5c1c4e
	s_delay_alu instid0(VALU_DEP_1) | instskip(NEXT) | instid1(VALU_DEP_1)
	v_fmaak_f32 v87, v84, v87, 0x3e088382
	v_fmaak_f32 v87, v84, v87, 0xbeaaaa99
	s_delay_alu instid0(VALU_DEP_1) | instskip(NEXT) | instid1(VALU_DEP_1)
	v_mul_f32_e64 v87, |v65|, v87
	v_fma_f32 v84, v84, v87, |v65|
.LBB76_45:                              ;   in Loop: Header=BB76_9 Depth=1
	s_wait_alu 0xfffe
	s_or_b32 exec_lo, exec_lo, s26
	v_cmp_ngt_f32_e64 s26, 0x3f200000, |v66|
                                        ; implicit-def: $vgpr87
	s_and_saveexec_b32 s27, s26
	s_wait_alu 0xfffe
	s_xor_b32 s26, exec_lo, s27
	s_cbranch_execz .LBB76_47
; %bb.46:                               ;   in Loop: Header=BB76_9 Depth=1
	v_add_f32_e64 v87, |v66|, |v66|
	s_delay_alu instid0(VALU_DEP_1) | instskip(SKIP_1) | instid1(VALU_DEP_2)
	v_mul_f32_e32 v88, 0x3fb8aa3b, v87
	v_cmp_ngt_f32_e32 vcc_lo, 0xc2ce8ed0, v87
	v_rndne_f32_e32 v89, v88
	v_fma_f32 v90, 0x3fb8aa3b, v87, -v88
	s_delay_alu instid0(VALU_DEP_2) | instskip(NEXT) | instid1(VALU_DEP_2)
	v_sub_f32_e32 v88, v88, v89
	v_fmac_f32_e32 v90, 0x32a5705f, v87
	v_cvt_i32_f32_e32 v89, v89
	s_delay_alu instid0(VALU_DEP_2) | instskip(NEXT) | instid1(VALU_DEP_1)
	v_add_f32_e32 v88, v88, v90
	v_exp_f32_e32 v88, v88
	s_delay_alu instid0(TRANS32_DEP_1) | instskip(SKIP_1) | instid1(VALU_DEP_1)
	v_ldexp_f32 v88, v88, v89
	s_wait_alu 0xfffd
	v_cndmask_b32_e32 v88, 0, v88, vcc_lo
	v_cmp_nlt_f32_e32 vcc_lo, 0x42b17218, v87
	s_wait_alu 0xfffd
	s_delay_alu instid0(VALU_DEP_2) | instskip(NEXT) | instid1(VALU_DEP_1)
	v_cndmask_b32_e32 v87, 0x7f800000, v88, vcc_lo
	v_add_f32_e32 v87, 1.0, v87
	s_delay_alu instid0(VALU_DEP_1) | instskip(NEXT) | instid1(TRANS32_DEP_1)
	v_rcp_f32_e32 v87, v87
	v_fma_f32 v87, v87, -2.0, 1.0
.LBB76_47:                              ;   in Loop: Header=BB76_9 Depth=1
	s_wait_alu 0xfffe
	s_and_not1_saveexec_b32 s26, s26
	s_cbranch_execz .LBB76_49
; %bb.48:                               ;   in Loop: Header=BB76_9 Depth=1
	v_mul_f32_e32 v87, v66, v66
	s_delay_alu instid0(VALU_DEP_1) | instskip(NEXT) | instid1(VALU_DEP_1)
	v_fmaak_f32 v88, s3, v87, 0x3ca908c9
	v_fmaak_f32 v88, v87, v88, 0xbd5c1c4e
	s_delay_alu instid0(VALU_DEP_1) | instskip(NEXT) | instid1(VALU_DEP_1)
	v_fmaak_f32 v88, v87, v88, 0x3e088382
	v_fmaak_f32 v88, v87, v88, 0xbeaaaa99
	s_delay_alu instid0(VALU_DEP_1) | instskip(NEXT) | instid1(VALU_DEP_1)
	v_mul_f32_e64 v88, |v66|, v88
	v_fma_f32 v87, v87, v88, |v66|
.LBB76_49:                              ;   in Loop: Header=BB76_9 Depth=1
	s_wait_alu 0xfffe
	s_or_b32 exec_lo, exec_lo, s26
	v_cmp_ngt_f32_e64 s26, 0x3f200000, |v67|
                                        ; implicit-def: $vgpr88
	s_and_saveexec_b32 s27, s26
	s_wait_alu 0xfffe
	s_xor_b32 s26, exec_lo, s27
	s_cbranch_execz .LBB76_51
; %bb.50:                               ;   in Loop: Header=BB76_9 Depth=1
	v_add_f32_e64 v88, |v67|, |v67|
	s_delay_alu instid0(VALU_DEP_1) | instskip(SKIP_1) | instid1(VALU_DEP_2)
	v_mul_f32_e32 v89, 0x3fb8aa3b, v88
	v_cmp_ngt_f32_e32 vcc_lo, 0xc2ce8ed0, v88
	v_rndne_f32_e32 v90, v89
	v_fma_f32 v91, 0x3fb8aa3b, v88, -v89
	s_delay_alu instid0(VALU_DEP_2) | instskip(NEXT) | instid1(VALU_DEP_2)
	v_sub_f32_e32 v89, v89, v90
	v_fmac_f32_e32 v91, 0x32a5705f, v88
	v_cvt_i32_f32_e32 v90, v90
	s_delay_alu instid0(VALU_DEP_2) | instskip(NEXT) | instid1(VALU_DEP_1)
	v_add_f32_e32 v89, v89, v91
	v_exp_f32_e32 v89, v89
	s_delay_alu instid0(TRANS32_DEP_1) | instskip(SKIP_1) | instid1(VALU_DEP_1)
	v_ldexp_f32 v89, v89, v90
	s_wait_alu 0xfffd
	v_cndmask_b32_e32 v89, 0, v89, vcc_lo
	v_cmp_nlt_f32_e32 vcc_lo, 0x42b17218, v88
	s_wait_alu 0xfffd
	s_delay_alu instid0(VALU_DEP_2) | instskip(NEXT) | instid1(VALU_DEP_1)
	v_cndmask_b32_e32 v88, 0x7f800000, v89, vcc_lo
	v_add_f32_e32 v88, 1.0, v88
	s_delay_alu instid0(VALU_DEP_1) | instskip(NEXT) | instid1(TRANS32_DEP_1)
	v_rcp_f32_e32 v88, v88
	v_fma_f32 v88, v88, -2.0, 1.0
.LBB76_51:                              ;   in Loop: Header=BB76_9 Depth=1
	s_wait_alu 0xfffe
	s_and_not1_saveexec_b32 s26, s26
	s_cbranch_execz .LBB76_53
; %bb.52:                               ;   in Loop: Header=BB76_9 Depth=1
	v_mul_f32_e32 v88, v67, v67
	s_delay_alu instid0(VALU_DEP_1) | instskip(NEXT) | instid1(VALU_DEP_1)
	v_fmaak_f32 v89, s3, v88, 0x3ca908c9
	v_fmaak_f32 v89, v88, v89, 0xbd5c1c4e
	s_delay_alu instid0(VALU_DEP_1) | instskip(NEXT) | instid1(VALU_DEP_1)
	v_fmaak_f32 v89, v88, v89, 0x3e088382
	v_fmaak_f32 v89, v88, v89, 0xbeaaaa99
	s_delay_alu instid0(VALU_DEP_1) | instskip(NEXT) | instid1(VALU_DEP_1)
	v_mul_f32_e64 v89, |v67|, v89
	v_fma_f32 v88, v88, v89, |v67|
.LBB76_53:                              ;   in Loop: Header=BB76_9 Depth=1
	s_wait_alu 0xfffe
	s_or_b32 exec_lo, exec_lo, s26
	v_cmp_ngt_f32_e64 s26, 0x3f200000, |v68|
                                        ; implicit-def: $vgpr89
	s_and_saveexec_b32 s27, s26
	s_wait_alu 0xfffe
	s_xor_b32 s26, exec_lo, s27
	s_cbranch_execz .LBB76_55
; %bb.54:                               ;   in Loop: Header=BB76_9 Depth=1
	v_add_f32_e64 v89, |v68|, |v68|
	s_delay_alu instid0(VALU_DEP_1) | instskip(SKIP_1) | instid1(VALU_DEP_2)
	v_mul_f32_e32 v90, 0x3fb8aa3b, v89
	v_cmp_ngt_f32_e32 vcc_lo, 0xc2ce8ed0, v89
	v_rndne_f32_e32 v91, v90
	v_fma_f32 v92, 0x3fb8aa3b, v89, -v90
	s_delay_alu instid0(VALU_DEP_2) | instskip(NEXT) | instid1(VALU_DEP_2)
	v_sub_f32_e32 v90, v90, v91
	v_fmac_f32_e32 v92, 0x32a5705f, v89
	v_cvt_i32_f32_e32 v91, v91
	s_delay_alu instid0(VALU_DEP_2) | instskip(NEXT) | instid1(VALU_DEP_1)
	v_add_f32_e32 v90, v90, v92
	v_exp_f32_e32 v90, v90
	s_delay_alu instid0(TRANS32_DEP_1) | instskip(SKIP_1) | instid1(VALU_DEP_1)
	v_ldexp_f32 v90, v90, v91
	s_wait_alu 0xfffd
	v_cndmask_b32_e32 v90, 0, v90, vcc_lo
	v_cmp_nlt_f32_e32 vcc_lo, 0x42b17218, v89
	s_wait_alu 0xfffd
	s_delay_alu instid0(VALU_DEP_2) | instskip(NEXT) | instid1(VALU_DEP_1)
	v_cndmask_b32_e32 v89, 0x7f800000, v90, vcc_lo
	v_add_f32_e32 v89, 1.0, v89
	s_delay_alu instid0(VALU_DEP_1) | instskip(NEXT) | instid1(TRANS32_DEP_1)
	v_rcp_f32_e32 v89, v89
	v_fma_f32 v89, v89, -2.0, 1.0
.LBB76_55:                              ;   in Loop: Header=BB76_9 Depth=1
	s_wait_alu 0xfffe
	s_and_not1_saveexec_b32 s26, s26
	s_cbranch_execz .LBB76_57
; %bb.56:                               ;   in Loop: Header=BB76_9 Depth=1
	v_mul_f32_e32 v89, v68, v68
	s_delay_alu instid0(VALU_DEP_1) | instskip(NEXT) | instid1(VALU_DEP_1)
	v_fmaak_f32 v90, s3, v89, 0x3ca908c9
	v_fmaak_f32 v90, v89, v90, 0xbd5c1c4e
	s_delay_alu instid0(VALU_DEP_1) | instskip(NEXT) | instid1(VALU_DEP_1)
	v_fmaak_f32 v90, v89, v90, 0x3e088382
	v_fmaak_f32 v90, v89, v90, 0xbeaaaa99
	s_delay_alu instid0(VALU_DEP_1) | instskip(NEXT) | instid1(VALU_DEP_1)
	v_mul_f32_e64 v90, |v68|, v90
	v_fma_f32 v89, v89, v90, |v68|
.LBB76_57:                              ;   in Loop: Header=BB76_9 Depth=1
	s_wait_alu 0xfffe
	s_or_b32 exec_lo, exec_lo, s26
	v_bfi_b32 v65, 0x7fffffff, v84, v65
	v_bfi_b32 v66, 0x7fffffff, v87, v66
	;; [unrolled: 1-line block ×3, first 2 shown]
	v_cmp_ngt_f32_e64 s26, 0x3f200000, |v61|
	s_delay_alu instid0(VALU_DEP_4) | instskip(NEXT) | instid1(VALU_DEP_4)
	v_fma_f32 v84, s5, v65, v75
	v_fma_f32 v67, s5, v66, v74
	v_bfi_b32 v65, 0x7fffffff, v89, v68
	v_fma_f32 v66, s5, v87, v70
	s_delay_alu instid0(VALU_DEP_3) | instskip(NEXT) | instid1(VALU_DEP_3)
	v_dual_add_f32 v68, 0x40051340, v84 :: v_dual_add_f32 v87, 0x40051340, v67
	v_fma_f32 v65, s5, v65, v69
	s_delay_alu instid0(VALU_DEP_3) | instskip(NEXT) | instid1(VALU_DEP_3)
	v_add_f32_e32 v88, 0x40051340, v66
	v_max3_num_f32 v68, v55, v68, v87
	s_delay_alu instid0(VALU_DEP_3) | instskip(NEXT) | instid1(VALU_DEP_1)
	v_add_f32_e32 v87, 0x40051340, v65
	v_max3_num_f32 v68, v68, v88, v87
                                        ; implicit-def: $vgpr88
	ds_bpermute_b32 v87, v0, v68
	s_wait_dscnt 0x0
	v_max_num_f32_e32 v87, v87, v87
	s_delay_alu instid0(VALU_DEP_1) | instskip(SKIP_3) | instid1(VALU_DEP_1)
	v_max_num_f32_e32 v68, v68, v87
	ds_bpermute_b32 v87, v81, v68
	s_wait_dscnt 0x0
	v_max_num_f32_e32 v87, v87, v87
	v_max_num_f32_e32 v68, v68, v87
	ds_bpermute_b32 v87, v76, v68
	s_wait_dscnt 0x0
	v_max_num_f32_e32 v87, v87, v87
	s_delay_alu instid0(VALU_DEP_1) | instskip(SKIP_3) | instid1(VALU_DEP_1)
	v_max_num_f32_e32 v68, v68, v87
	ds_bpermute_b32 v87, v73, v68
	s_wait_dscnt 0x0
	v_max_num_f32_e32 v87, v87, v87
	v_max_num_f32_e32 v68, v68, v87
	ds_bpermute_b32 v87, v3, v68
	s_and_saveexec_b32 s27, s26
	s_wait_alu 0xfffe
	s_xor_b32 s26, exec_lo, s27
	s_cbranch_execz .LBB76_59
; %bb.58:                               ;   in Loop: Header=BB76_9 Depth=1
	v_add_f32_e64 v88, |v61|, |v61|
	s_delay_alu instid0(VALU_DEP_1) | instskip(SKIP_1) | instid1(VALU_DEP_2)
	v_mul_f32_e32 v89, 0x3fb8aa3b, v88
	v_cmp_ngt_f32_e32 vcc_lo, 0xc2ce8ed0, v88
	v_rndne_f32_e32 v90, v89
	v_fma_f32 v91, 0x3fb8aa3b, v88, -v89
	s_delay_alu instid0(VALU_DEP_2) | instskip(NEXT) | instid1(VALU_DEP_2)
	v_sub_f32_e32 v89, v89, v90
	v_fmac_f32_e32 v91, 0x32a5705f, v88
	v_cvt_i32_f32_e32 v90, v90
	s_delay_alu instid0(VALU_DEP_2) | instskip(NEXT) | instid1(VALU_DEP_1)
	v_add_f32_e32 v89, v89, v91
	v_exp_f32_e32 v89, v89
	s_delay_alu instid0(TRANS32_DEP_1) | instskip(SKIP_1) | instid1(VALU_DEP_1)
	v_ldexp_f32 v89, v89, v90
	s_wait_alu 0xfffd
	v_cndmask_b32_e32 v89, 0, v89, vcc_lo
	v_cmp_nlt_f32_e32 vcc_lo, 0x42b17218, v88
	s_wait_alu 0xfffd
	s_delay_alu instid0(VALU_DEP_2) | instskip(NEXT) | instid1(VALU_DEP_1)
	v_cndmask_b32_e32 v88, 0x7f800000, v89, vcc_lo
	v_add_f32_e32 v88, 1.0, v88
	s_delay_alu instid0(VALU_DEP_1) | instskip(NEXT) | instid1(TRANS32_DEP_1)
	v_rcp_f32_e32 v88, v88
	v_fma_f32 v88, v88, -2.0, 1.0
.LBB76_59:                              ;   in Loop: Header=BB76_9 Depth=1
	s_wait_alu 0xfffe
	s_and_not1_saveexec_b32 s26, s26
	s_cbranch_execz .LBB76_61
; %bb.60:                               ;   in Loop: Header=BB76_9 Depth=1
	v_mul_f32_e32 v88, v61, v61
	s_delay_alu instid0(VALU_DEP_1) | instskip(NEXT) | instid1(VALU_DEP_1)
	v_fmaak_f32 v89, s3, v88, 0x3ca908c9
	v_fmaak_f32 v89, v88, v89, 0xbd5c1c4e
	s_delay_alu instid0(VALU_DEP_1) | instskip(NEXT) | instid1(VALU_DEP_1)
	v_fmaak_f32 v89, v88, v89, 0x3e088382
	v_fmaak_f32 v89, v88, v89, 0xbeaaaa99
	s_delay_alu instid0(VALU_DEP_1) | instskip(NEXT) | instid1(VALU_DEP_1)
	v_mul_f32_e64 v89, |v61|, v89
	v_fma_f32 v88, v88, v89, |v61|
.LBB76_61:                              ;   in Loop: Header=BB76_9 Depth=1
	s_wait_alu 0xfffe
	s_or_b32 exec_lo, exec_lo, s26
	v_cmp_ngt_f32_e64 s26, 0x3f200000, |v62|
                                        ; implicit-def: $vgpr89
	s_and_saveexec_b32 s27, s26
	s_wait_alu 0xfffe
	s_xor_b32 s26, exec_lo, s27
	s_cbranch_execz .LBB76_63
; %bb.62:                               ;   in Loop: Header=BB76_9 Depth=1
	v_add_f32_e64 v89, |v62|, |v62|
	s_delay_alu instid0(VALU_DEP_1) | instskip(SKIP_1) | instid1(VALU_DEP_2)
	v_mul_f32_e32 v90, 0x3fb8aa3b, v89
	v_cmp_ngt_f32_e32 vcc_lo, 0xc2ce8ed0, v89
	v_rndne_f32_e32 v91, v90
	v_fma_f32 v92, 0x3fb8aa3b, v89, -v90
	s_delay_alu instid0(VALU_DEP_2) | instskip(NEXT) | instid1(VALU_DEP_2)
	v_sub_f32_e32 v90, v90, v91
	v_fmac_f32_e32 v92, 0x32a5705f, v89
	v_cvt_i32_f32_e32 v91, v91
	s_delay_alu instid0(VALU_DEP_2) | instskip(NEXT) | instid1(VALU_DEP_1)
	v_add_f32_e32 v90, v90, v92
	v_exp_f32_e32 v90, v90
	s_delay_alu instid0(TRANS32_DEP_1) | instskip(SKIP_1) | instid1(VALU_DEP_1)
	v_ldexp_f32 v90, v90, v91
	s_wait_alu 0xfffd
	v_cndmask_b32_e32 v90, 0, v90, vcc_lo
	v_cmp_nlt_f32_e32 vcc_lo, 0x42b17218, v89
	s_wait_alu 0xfffd
	s_delay_alu instid0(VALU_DEP_2) | instskip(NEXT) | instid1(VALU_DEP_1)
	v_cndmask_b32_e32 v89, 0x7f800000, v90, vcc_lo
	v_add_f32_e32 v89, 1.0, v89
	s_delay_alu instid0(VALU_DEP_1) | instskip(NEXT) | instid1(TRANS32_DEP_1)
	v_rcp_f32_e32 v89, v89
	v_fma_f32 v89, v89, -2.0, 1.0
.LBB76_63:                              ;   in Loop: Header=BB76_9 Depth=1
	s_wait_alu 0xfffe
	s_and_not1_saveexec_b32 s26, s26
	s_cbranch_execz .LBB76_65
; %bb.64:                               ;   in Loop: Header=BB76_9 Depth=1
	v_mul_f32_e32 v89, v62, v62
	s_delay_alu instid0(VALU_DEP_1) | instskip(NEXT) | instid1(VALU_DEP_1)
	v_fmaak_f32 v90, s3, v89, 0x3ca908c9
	v_fmaak_f32 v90, v89, v90, 0xbd5c1c4e
	s_delay_alu instid0(VALU_DEP_1) | instskip(NEXT) | instid1(VALU_DEP_1)
	v_fmaak_f32 v90, v89, v90, 0x3e088382
	v_fmaak_f32 v90, v89, v90, 0xbeaaaa99
	s_delay_alu instid0(VALU_DEP_1) | instskip(NEXT) | instid1(VALU_DEP_1)
	v_mul_f32_e64 v90, |v62|, v90
	v_fma_f32 v89, v89, v90, |v62|
.LBB76_65:                              ;   in Loop: Header=BB76_9 Depth=1
	s_wait_alu 0xfffe
	s_or_b32 exec_lo, exec_lo, s26
	v_cmp_ngt_f32_e64 s26, 0x3f200000, |v63|
                                        ; implicit-def: $vgpr90
	s_and_saveexec_b32 s27, s26
	s_wait_alu 0xfffe
	s_xor_b32 s26, exec_lo, s27
	s_cbranch_execz .LBB76_67
; %bb.66:                               ;   in Loop: Header=BB76_9 Depth=1
	v_add_f32_e64 v90, |v63|, |v63|
	s_delay_alu instid0(VALU_DEP_1) | instskip(SKIP_1) | instid1(VALU_DEP_2)
	v_mul_f32_e32 v91, 0x3fb8aa3b, v90
	v_cmp_ngt_f32_e32 vcc_lo, 0xc2ce8ed0, v90
	v_rndne_f32_e32 v92, v91
	v_fma_f32 v93, 0x3fb8aa3b, v90, -v91
	s_delay_alu instid0(VALU_DEP_2) | instskip(NEXT) | instid1(VALU_DEP_2)
	v_sub_f32_e32 v91, v91, v92
	v_fmac_f32_e32 v93, 0x32a5705f, v90
	v_cvt_i32_f32_e32 v92, v92
	s_delay_alu instid0(VALU_DEP_2) | instskip(NEXT) | instid1(VALU_DEP_1)
	v_add_f32_e32 v91, v91, v93
	v_exp_f32_e32 v91, v91
	s_delay_alu instid0(TRANS32_DEP_1) | instskip(SKIP_1) | instid1(VALU_DEP_1)
	v_ldexp_f32 v91, v91, v92
	s_wait_alu 0xfffd
	v_cndmask_b32_e32 v91, 0, v91, vcc_lo
	v_cmp_nlt_f32_e32 vcc_lo, 0x42b17218, v90
	s_wait_alu 0xfffd
	s_delay_alu instid0(VALU_DEP_2) | instskip(NEXT) | instid1(VALU_DEP_1)
	v_cndmask_b32_e32 v90, 0x7f800000, v91, vcc_lo
	v_add_f32_e32 v90, 1.0, v90
	s_delay_alu instid0(VALU_DEP_1) | instskip(NEXT) | instid1(TRANS32_DEP_1)
	v_rcp_f32_e32 v90, v90
	v_fma_f32 v90, v90, -2.0, 1.0
.LBB76_67:                              ;   in Loop: Header=BB76_9 Depth=1
	s_wait_alu 0xfffe
	s_and_not1_saveexec_b32 s26, s26
	s_cbranch_execz .LBB76_69
; %bb.68:                               ;   in Loop: Header=BB76_9 Depth=1
	v_mul_f32_e32 v90, v63, v63
	s_delay_alu instid0(VALU_DEP_1) | instskip(NEXT) | instid1(VALU_DEP_1)
	v_fmaak_f32 v91, s3, v90, 0x3ca908c9
	v_fmaak_f32 v91, v90, v91, 0xbd5c1c4e
	s_delay_alu instid0(VALU_DEP_1) | instskip(NEXT) | instid1(VALU_DEP_1)
	v_fmaak_f32 v91, v90, v91, 0x3e088382
	v_fmaak_f32 v91, v90, v91, 0xbeaaaa99
	s_delay_alu instid0(VALU_DEP_1) | instskip(NEXT) | instid1(VALU_DEP_1)
	v_mul_f32_e64 v91, |v63|, v91
	v_fma_f32 v90, v90, v91, |v63|
.LBB76_69:                              ;   in Loop: Header=BB76_9 Depth=1
	s_wait_alu 0xfffe
	s_or_b32 exec_lo, exec_lo, s26
	v_cmp_ngt_f32_e64 s26, 0x3f200000, |v64|
                                        ; implicit-def: $vgpr91
	s_and_saveexec_b32 s27, s26
	s_wait_alu 0xfffe
	s_xor_b32 s26, exec_lo, s27
	s_cbranch_execz .LBB76_71
; %bb.70:                               ;   in Loop: Header=BB76_9 Depth=1
	v_add_f32_e64 v91, |v64|, |v64|
	s_delay_alu instid0(VALU_DEP_1) | instskip(SKIP_1) | instid1(VALU_DEP_2)
	v_mul_f32_e32 v92, 0x3fb8aa3b, v91
	v_cmp_ngt_f32_e32 vcc_lo, 0xc2ce8ed0, v91
	v_rndne_f32_e32 v93, v92
	v_fma_f32 v94, 0x3fb8aa3b, v91, -v92
	s_delay_alu instid0(VALU_DEP_2) | instskip(NEXT) | instid1(VALU_DEP_2)
	v_sub_f32_e32 v92, v92, v93
	v_fmac_f32_e32 v94, 0x32a5705f, v91
	v_cvt_i32_f32_e32 v93, v93
	s_delay_alu instid0(VALU_DEP_2) | instskip(NEXT) | instid1(VALU_DEP_1)
	v_add_f32_e32 v92, v92, v94
	v_exp_f32_e32 v92, v92
	s_delay_alu instid0(TRANS32_DEP_1) | instskip(SKIP_1) | instid1(VALU_DEP_1)
	v_ldexp_f32 v92, v92, v93
	s_wait_alu 0xfffd
	v_cndmask_b32_e32 v92, 0, v92, vcc_lo
	v_cmp_nlt_f32_e32 vcc_lo, 0x42b17218, v91
	s_wait_alu 0xfffd
	s_delay_alu instid0(VALU_DEP_2) | instskip(NEXT) | instid1(VALU_DEP_1)
	v_cndmask_b32_e32 v91, 0x7f800000, v92, vcc_lo
	v_add_f32_e32 v91, 1.0, v91
	s_delay_alu instid0(VALU_DEP_1) | instskip(NEXT) | instid1(TRANS32_DEP_1)
	v_rcp_f32_e32 v91, v91
	v_fma_f32 v91, v91, -2.0, 1.0
.LBB76_71:                              ;   in Loop: Header=BB76_9 Depth=1
	s_wait_alu 0xfffe
	s_and_not1_saveexec_b32 s26, s26
	s_cbranch_execz .LBB76_73
; %bb.72:                               ;   in Loop: Header=BB76_9 Depth=1
	v_mul_f32_e32 v91, v64, v64
	s_delay_alu instid0(VALU_DEP_1) | instskip(NEXT) | instid1(VALU_DEP_1)
	v_fmaak_f32 v92, s3, v91, 0x3ca908c9
	v_fmaak_f32 v92, v91, v92, 0xbd5c1c4e
	s_delay_alu instid0(VALU_DEP_1) | instskip(NEXT) | instid1(VALU_DEP_1)
	v_fmaak_f32 v92, v91, v92, 0x3e088382
	v_fmaak_f32 v92, v91, v92, 0xbeaaaa99
	s_delay_alu instid0(VALU_DEP_1) | instskip(NEXT) | instid1(VALU_DEP_1)
	v_mul_f32_e64 v92, |v64|, v92
	v_fma_f32 v91, v91, v92, |v64|
.LBB76_73:                              ;   in Loop: Header=BB76_9 Depth=1
	s_wait_alu 0xfffe
	s_or_b32 exec_lo, exec_lo, s26
	v_bfi_b32 v61, 0x7fffffff, v88, v61
	v_bfi_b32 v62, 0x7fffffff, v89, v62
	v_bfi_b32 v63, 0x7fffffff, v90, v63
	v_bfi_b32 v64, 0x7fffffff, v91, v64
	s_mul_u64 s[26:27], s[10:11], s[14:15]
	s_delay_alu instid0(VALU_DEP_3) | instskip(NEXT) | instid1(VALU_DEP_2)
	v_dual_fmac_f32 v75, s5, v61 :: v_dual_fmac_f32 v74, s5, v62
	v_dual_fmac_f32 v70, s5, v63 :: v_dual_fmac_f32 v69, s5, v64
	s_wait_dscnt 0x0
	v_max_num_f32_e32 v63, v87, v87
	s_delay_alu instid0(VALU_DEP_3) | instskip(NEXT) | instid1(VALU_DEP_3)
	v_dual_add_f32 v61, 0x40051340, v75 :: v_dual_add_f32 v62, 0x40051340, v74
	v_dual_add_f32 v64, 0x40051340, v70 :: v_dual_add_f32 v87, 0x40051340, v69
	s_wait_alu 0xfffe
	s_lshl_b64 s[26:27], s[26:27], 2
	v_max_num_f32_e32 v85, v85, v85
	v_max3_num_f32 v61, v54, v61, v62
	v_max_num_f32_e32 v62, v68, v68
	v_max_num_f32_e32 v68, v86, v86
	;; [unrolled: 1-line block ×3, first 2 shown]
	s_wait_alu 0xfffe
	s_add_nc_u64 s[26:27], s[8:9], s[26:27]
	v_max3_num_f32 v61, v61, v64, v87
	s_barrier_signal -1
	s_barrier_wait -1
	global_inv scope:SCOPE_SE
	ds_bpermute_b32 v87, v0, v61
	v_max_num_f32_e32 v64, v1, v1
	v_max_num_f32_e32 v1, v85, v68
	s_delay_alu instid0(VALU_DEP_1)
	v_sub_f32_e32 v101, v82, v1
	v_sub_f32_e32 v83, v83, v1
	;; [unrolled: 1-line block ×3, first 2 shown]
	s_wait_dscnt 0x0
	v_dual_max_num_f32 v87, v87, v87 :: v_dual_max_num_f32 v0, v64, v86
	v_max_num_f32_e32 v2, v62, v63
	s_wait_alu 0xfffe
	v_add_co_u32 v62, vcc_lo, s26, v16
	s_wait_alu 0xfffd
	v_add_co_ci_u32_e64 v63, null, s27, v17, vcc_lo
	v_dual_sub_f32 v97, v78, v0 :: v_dual_max_num_f32 v78, v61, v87
	v_sub_f32_e32 v98, v77, v0
	v_add_co_u32 v64, vcc_lo, s26, v18
	s_wait_alu 0xfffd
	v_add_co_ci_u32_e64 v68, null, s27, v19, vcc_lo
	ds_bpermute_b32 v77, v81, v78
	v_add_co_u32 v85, vcc_lo, s26, v20
	s_wait_alu 0xfffd
	v_add_co_ci_u32_e64 v86, null, s27, v21, vcc_lo
	v_add_co_u32 v88, vcc_lo, s26, v22
	s_wait_alu 0xfffd
	v_add_co_ci_u32_e64 v89, null, s27, v23, vcc_lo
	v_sub_f32_e32 v100, v80, v0
	v_add_co_u32 v61, vcc_lo, v62, v43
	s_wait_alu 0xfffd
	v_add_co_ci_u32_e64 v62, null, 0, v63, vcc_lo
	v_add_co_u32 v63, vcc_lo, v64, v43
	s_wait_alu 0xfffd
	v_add_co_ci_u32_e64 v64, null, 0, v68, vcc_lo
	v_add_co_u32 v81, vcc_lo, v85, v43
	s_wait_dscnt 0x0
	v_max_num_f32_e32 v77, v77, v77
	s_wait_alu 0xfffd
	v_add_co_ci_u32_e64 v82, null, 0, v86, vcc_lo
	v_add_co_u32 v93, vcc_lo, v88, v43
	s_delay_alu instid0(VALU_DEP_3)
	v_max_num_f32_e32 v107, v78, v77
	s_wait_alu 0xfffd
	v_add_co_ci_u32_e64 v94, null, 0, v89, vcc_lo
	v_dual_sub_f32 v99, v79, v0 :: v_dual_mul_f32 v68, 0x3fb8aa3b, v97
	s_clause 0x3
	global_load_b128 v[77:80], v[61:62], off
	global_load_b128 v[85:88], v[63:64], off
	global_load_b128 v[89:92], v[81:82], off
	global_load_b128 v[93:96], v[93:94], off
	v_mul_f32_e32 v62, 0x3fb8aa3b, v83
	ds_bpermute_b32 v61, v76, v107
	v_dual_mul_f32 v102, 0x3fb8aa3b, v98 :: v_dual_mul_f32 v103, 0x3fb8aa3b, v99
	v_sub_f32_e32 v59, v59, v0
	v_mul_f32_e32 v104, 0x3fb8aa3b, v100
	v_fma_f32 v63, 0x3fb8aa3b, v97, -v68
	s_delay_alu instid0(VALU_DEP_4)
	v_fma_f32 v76, 0x3fb8aa3b, v98, -v102
	v_rndne_f32_e32 v64, v68
	v_mul_f32_e32 v105, 0x3fb8aa3b, v59
	v_fma_f32 v82, 0x3fb8aa3b, v99, -v103
	v_rndne_f32_e32 v108, v103
	v_mul_f32_e32 v106, 0x3fb8aa3b, v101
	v_fmac_f32_e32 v76, 0x32a5705f, v98
	v_rndne_f32_e32 v81, v102
	v_rndne_f32_e32 v112, v105
	v_dual_fmac_f32 v63, 0x32a5705f, v97 :: v_dual_sub_f32 v68, v68, v64
	v_sub_f32_e32 v103, v103, v108
	v_fma_f32 v113, 0x3fb8aa3b, v101, -v106
	v_rndne_f32_e32 v114, v106
	s_wait_dscnt 0x0
	v_dual_max_num_f32 v61, v61, v61 :: v_dual_fmac_f32 v82, 0x32a5705f, v99
	v_fma_f32 v109, 0x3fb8aa3b, v100, -v104
	v_rndne_f32_e32 v110, v104
	v_fma_f32 v111, 0x3fb8aa3b, v59, -v105
	s_delay_alu instid0(VALU_DEP_4) | instskip(NEXT) | instid1(VALU_DEP_4)
	v_max_num_f32_e32 v61, v107, v61
	v_dual_sub_f32 v102, v102, v81 :: v_dual_fmac_f32 v109, 0x32a5705f, v100
	v_dual_sub_f32 v105, v105, v112 :: v_dual_sub_f32 v106, v106, v114
	v_fmac_f32_e32 v113, 0x32a5705f, v101
	v_add_f32_e32 v63, v68, v63
	ds_bpermute_b32 v68, v73, v61
	v_dual_sub_f32 v104, v104, v110 :: v_dual_fmac_f32 v111, 0x32a5705f, v59
	v_dual_add_f32 v73, v102, v76 :: v_dual_add_f32 v76, v103, v82
	v_add_f32_e32 v106, v106, v113
	v_exp_f32_e32 v63, v63
	v_cvt_i32_f32_e32 v64, v64
	v_add_f32_e32 v82, v104, v109
	v_exp_f32_e32 v73, v73
	v_exp_f32_e32 v76, v76
	v_cvt_i32_f32_e32 v81, v81
	v_cmp_ngt_f32_e32 vcc_lo, 0xc2ce8ed0, v97
	v_cvt_i32_f32_e32 v103, v108
	v_exp_f32_e32 v82, v82
	v_cvt_i32_f32_e32 v104, v110
	v_ldexp_f32 v63, v63, v64
	s_or_b32 s26, s10, 64
	v_sub_f32_e32 v84, v84, v2
	v_ldexp_f32 v64, v73, v81
	s_wait_dscnt 0x0
	s_wait_alu 0xfffd
	v_dual_max_num_f32 v68, v68, v68 :: v_dual_cndmask_b32 v63, 0, v63
	v_cmp_ngt_f32_e32 vcc_lo, 0xc2ce8ed0, v98
	v_ldexp_f32 v73, v76, v103
	v_ldexp_f32 v76, v82, v104
	s_delay_alu instid0(VALU_DEP_4)
	v_max_num_f32_e32 v68, v61, v68
	s_wait_alu 0xfffe
	s_ashr_i32 s27, s26, 31
	s_wait_alu 0xfffd
	v_cndmask_b32_e32 v64, 0, v64, vcc_lo
	v_cmp_ngt_f32_e32 vcc_lo, 0xc2ce8ed0, v99
	v_add_f32_e32 v102, v105, v111
	v_cvt_i32_f32_e32 v105, v112
	s_wait_alu 0xfffe
	s_mul_u64 s[26:27], s[26:27], s[14:15]
	v_sub_f32_e32 v67, v67, v2
	s_wait_alu 0xfffd
	v_cndmask_b32_e32 v61, 0, v73, vcc_lo
	v_exp_f32_e32 v102, v102
	v_cmp_ngt_f32_e32 vcc_lo, 0xc2ce8ed0, v100
	s_wait_alu 0xfffe
	s_lshl_b64 s[26:27], s[26:27], 2
	v_sub_f32_e32 v55, v55, v2
	s_wait_alu 0xfffe
	s_add_nc_u64 s[26:27], s[8:9], s[26:27]
	v_sub_f32_e32 v65, v65, v2
	s_delay_alu instid0(TRANS32_DEP_1)
	v_ldexp_f32 v81, v102, v105
	s_wait_alu 0xfffd
	v_cndmask_b32_e32 v73, 0, v76, vcc_lo
	v_cmp_nlt_f32_e32 vcc_lo, 0x42b17218, v97
	s_wait_alu 0xfffd
	v_cndmask_b32_e32 v63, 0x7f800000, v63, vcc_lo
	v_cmp_nlt_f32_e32 vcc_lo, 0x42b17218, v98
	ds_bpermute_b32 v3, v3, v68
	s_wait_alu 0xfffd
	v_cndmask_b32_e32 v64, 0x7f800000, v64, vcc_lo
	v_cmp_ngt_f32_e32 vcc_lo, 0xc2ce8ed0, v59
	s_wait_alu 0xfffd
	v_cndmask_b32_e32 v76, 0, v81, vcc_lo
	v_cmp_nlt_f32_e32 vcc_lo, 0x42b17218, v99
	s_wait_alu 0xfffd
	v_cndmask_b32_e32 v81, 0x7f800000, v61, vcc_lo
	v_cmp_nlt_f32_e32 vcc_lo, 0x42b17218, v100
	s_wait_dscnt 0x0
	v_max_num_f32_e32 v3, v3, v3
	s_wait_alu 0xfffd
	v_cndmask_b32_e32 v73, 0x7f800000, v73, vcc_lo
	v_cmp_nlt_f32_e32 vcc_lo, 0x42b17218, v59
	s_delay_alu instid0(VALU_DEP_3)
	v_max_num_f32_e32 v3, v68, v3
	v_sub_f32_e32 v68, v72, v1
	v_cvt_i32_f32_e32 v72, v114
	s_wait_alu 0xfffd
	v_cndmask_b32_e32 v59, 0x7f800000, v76, vcc_lo
	v_exp_f32_e32 v76, v106
	v_cmp_ngt_f32_e32 vcc_lo, 0xc2ce8ed0, v101
	v_mul_f32_e32 v97, 0x3fb8aa3b, v68
	s_delay_alu instid0(VALU_DEP_3) | instskip(SKIP_2) | instid1(VALU_DEP_2)
	v_cvt_f16_f32_e32 v82, v59
	v_add_f32_e32 v61, v63, v64
	v_cvt_f16_f32_e32 v63, v63
	v_dual_add_f32 v61, v81, v61 :: v_dual_and_b32 v82, 0xffff, v82
	s_delay_alu instid0(VALU_DEP_1) | instskip(NEXT) | instid1(VALU_DEP_2)
	v_mul_u32_u24_e32 v82, 0x10001, v82
	v_add_f32_e32 v61, v73, v61
	v_cvt_f16_f32_e32 v64, v64
	s_delay_alu instid0(VALU_DEP_3)
	v_pk_mul_f16 v98, v51, v82
	v_sub_f32_e32 v51, v57, v1
	v_ldexp_f32 v57, v76, v72
	v_rndne_f32_e32 v72, v97
	v_fmac_f32_e32 v61, v58, v59
	v_fma_f32 v58, 0x3fb8aa3b, v83, -v62
	v_rndne_f32_e32 v59, v62
	s_delay_alu instid0(VALU_DEP_4) | instskip(SKIP_1) | instid1(VALU_DEP_4)
	v_sub_f32_e32 v76, v97, v72
	v_cvt_i32_f32_e32 v72, v72
	v_fmac_f32_e32 v58, 0x32a5705f, v83
	s_delay_alu instid0(VALU_DEP_4) | instskip(SKIP_2) | instid1(VALU_DEP_3)
	v_sub_f32_e32 v62, v62, v59
	v_cvt_i32_f32_e32 v59, v59
	v_cvt_f16_f32_e32 v81, v81
	v_add_f32_e32 v58, v62, v58
	v_fma_f32 v62, 0x3fb8aa3b, v68, -v97
	v_mul_f32_e32 v97, 0x3fb8aa3b, v71
	v_cvt_f16_f32_e32 v73, v73
	s_delay_alu instid0(VALU_DEP_4) | instskip(NEXT) | instid1(VALU_DEP_3)
	v_exp_f32_e32 v58, v58
	v_fmac_f32_e32 v62, 0x32a5705f, v68
	s_delay_alu instid0(VALU_DEP_3) | instskip(NEXT) | instid1(VALU_DEP_2)
	v_rndne_f32_e32 v99, v97
	v_add_f32_e32 v62, v76, v62
	v_fma_f32 v76, 0x3fb8aa3b, v71, -v97
	s_delay_alu instid0(TRANS32_DEP_1) | instskip(NEXT) | instid1(VALU_DEP_3)
	v_ldexp_f32 v58, v58, v59
	v_exp_f32_e32 v59, v62
	s_wait_alu 0xfffd
	s_delay_alu instid0(VALU_DEP_2) | instskip(SKIP_3) | instid1(VALU_DEP_3)
	v_dual_fmac_f32 v76, 0x32a5705f, v71 :: v_dual_cndmask_b32 v57, 0, v57
	v_mul_f32_e32 v100, 0x3fb8aa3b, v51
	v_cmp_nlt_f32_e32 vcc_lo, 0x42b17218, v101
	v_sub_f32_e32 v62, v97, v99
	v_fma_f32 v97, 0x3fb8aa3b, v51, -v100
	s_wait_alu 0xfffd
	v_cndmask_b32_e32 v57, 0x7f800000, v57, vcc_lo
	v_rndne_f32_e32 v101, v100
	v_cmp_ngt_f32_e32 vcc_lo, 0xc2ce8ed0, v83
	v_dual_add_f32 v62, v62, v76 :: v_dual_fmac_f32 v97, 0x32a5705f, v51
	v_ldexp_f32 v59, v59, v72
	s_delay_alu instid0(VALU_DEP_4)
	v_sub_f32_e32 v76, v100, v101
	s_wait_alu 0xfffd
	v_cndmask_b32_e32 v58, 0, v58, vcc_lo
	v_cmp_nlt_f32_e32 vcc_lo, 0x42b17218, v83
	v_exp_f32_e32 v62, v62
	v_cvt_f16_f32_e32 v83, v57
	v_sub_f32_e32 v74, v74, v3
	s_wait_alu 0xfffd
	v_dual_sub_f32 v75, v75, v3 :: v_dual_cndmask_b32 v58, 0x7f800000, v58
	v_add_f32_e32 v72, v76, v97
	v_cmp_ngt_f32_e32 vcc_lo, 0xc2ce8ed0, v68
	v_cvt_i32_f32_e32 v76, v99
	s_delay_alu instid0(VALU_DEP_4) | instskip(NEXT) | instid1(VALU_DEP_4)
	v_dual_sub_f32 v70, v70, v3 :: v_dual_add_f32 v57, v57, v58
	v_exp_f32_e32 v72, v72
	s_wait_alu 0xfffd
	v_cndmask_b32_e32 v59, 0, v59, vcc_lo
	v_cmp_nlt_f32_e32 vcc_lo, 0x42b17218, v68
	v_ldexp_f32 v62, v62, v76
	v_cvt_i32_f32_e32 v68, v101
	v_mul_f32_e32 v76, 0x3fb8aa3b, v84
	s_delay_alu instid0(TRANS32_DEP_1) | instid1(VALU_DEP_2)
	v_ldexp_f32 v68, v72, v68
	s_delay_alu instid0(VALU_DEP_2)
	v_fma_f32 v72, 0x3fb8aa3b, v84, -v76
	v_rndne_f32_e32 v97, v76
	s_wait_alu 0xfffd
	v_cndmask_b32_e32 v59, 0x7f800000, v59, vcc_lo
	v_cmp_ngt_f32_e32 vcc_lo, 0xc2ce8ed0, v71
	v_fmac_f32_e32 v72, 0x32a5705f, v84
	v_sub_f32_e32 v76, v76, v97
	s_wait_alu 0xfffd
	v_dual_add_f32 v57, v59, v57 :: v_dual_cndmask_b32 v62, 0, v62
	v_cmp_nlt_f32_e32 vcc_lo, 0x42b17218, v71
	v_cvt_f16_f32_e32 v58, v58
	s_wait_alu 0xfffd
	s_delay_alu instid0(VALU_DEP_3)
	v_cndmask_b32_e32 v71, 0x7f800000, v62, vcc_lo
	v_cmp_ngt_f32_e32 vcc_lo, 0xc2ce8ed0, v51
	s_wait_alu 0xfffd
	v_cndmask_b32_e32 v68, 0, v68, vcc_lo
	v_cmp_nlt_f32_e32 vcc_lo, 0x42b17218, v51
	v_dual_add_f32 v62, v71, v57 :: v_dual_add_f32 v57, v76, v72
	v_cvt_f16_f32_e32 v72, v59
	v_cvt_i32_f32_e32 v76, v97
	s_wait_alu 0xfffd
	v_cndmask_b32_e32 v51, 0x7f800000, v68, vcc_lo
	v_cmp_ngt_f32_e32 vcc_lo, 0xc2ce8ed0, v84
	s_delay_alu instid0(VALU_DEP_2) | instskip(SKIP_4) | instid1(VALU_DEP_3)
	v_fmac_f32_e32 v62, v56, v51
	v_cvt_f16_f32_e32 v51, v51
	v_sub_f32_e32 v66, v66, v2
	v_exp_f32_e32 v56, v57
	v_cvt_f16_f32_e32 v71, v71
	v_and_b32_e32 v51, 0xffff, v51
	s_delay_alu instid0(VALU_DEP_3) | instskip(NEXT) | instid1(VALU_DEP_1)
	v_dual_mul_f32 v68, 0x3fb8aa3b, v67 :: v_dual_mul_f32 v97, 0x3fb8aa3b, v66
	v_fma_f32 v57, 0x3fb8aa3b, v67, -v68
	v_rndne_f32_e32 v59, v68
	s_delay_alu instid0(TRANS32_DEP_1) | instskip(NEXT) | instid1(VALU_DEP_4)
	v_ldexp_f32 v56, v56, v76
	v_rndne_f32_e32 v76, v97
	s_delay_alu instid0(VALU_DEP_4) | instskip(NEXT) | instid1(VALU_DEP_4)
	v_fmac_f32_e32 v57, 0x32a5705f, v67
	v_sub_f32_e32 v68, v68, v59
	s_wait_alu 0xfffd
	v_cndmask_b32_e32 v56, 0, v56, vcc_lo
	v_cmp_nlt_f32_e32 vcc_lo, 0x42b17218, v84
	v_cvt_i32_f32_e32 v59, v59
	v_add_f32_e32 v57, v68, v57
	v_fma_f32 v68, 0x3fb8aa3b, v66, -v97
	v_sub_f32_e32 v97, v97, v76
	s_wait_alu 0xfffd
	v_cndmask_b32_e32 v56, 0x7f800000, v56, vcc_lo
	v_cmp_ngt_f32_e32 vcc_lo, 0xc2ce8ed0, v67
	v_exp_f32_e32 v57, v57
	v_fmac_f32_e32 v68, 0x32a5705f, v66
	v_mul_f32_e32 v99, 0x3fb8aa3b, v65
	v_cvt_i32_f32_e32 v76, v76
	v_cvt_f16_f32_e32 v100, v56
	s_delay_alu instid0(VALU_DEP_4) | instskip(NEXT) | instid1(VALU_DEP_4)
	v_add_f32_e32 v68, v97, v68
	v_fma_f32 v84, 0x3fb8aa3b, v65, -v99
	v_rndne_f32_e32 v97, v99
	s_delay_alu instid0(TRANS32_DEP_1) | instskip(NEXT) | instid1(VALU_DEP_4)
	v_ldexp_f32 v57, v57, v59
	v_exp_f32_e32 v59, v68
	s_delay_alu instid0(VALU_DEP_3) | instskip(NEXT) | instid1(VALU_DEP_3)
	v_fmac_f32_e32 v84, 0x32a5705f, v65
	v_dual_sub_f32 v68, v99, v97 :: v_dual_mul_f32 v99, 0x3fb8aa3b, v55
	s_wait_alu 0xfffd
	v_cndmask_b32_e32 v57, 0, v57, vcc_lo
	v_cmp_nlt_f32_e32 vcc_lo, 0x42b17218, v67
	s_delay_alu instid0(VALU_DEP_3) | instskip(SKIP_2) | instid1(TRANS32_DEP_1)
	v_add_f32_e32 v68, v68, v84
	v_fma_f32 v84, 0x3fb8aa3b, v55, -v99
	v_rndne_f32_e32 v101, v99
	v_ldexp_f32 v59, v59, v76
	s_delay_alu instid0(VALU_DEP_4) | instskip(NEXT) | instid1(VALU_DEP_3)
	v_exp_f32_e32 v67, v68
	v_fmac_f32_e32 v84, 0x32a5705f, v55
	s_delay_alu instid0(VALU_DEP_3) | instskip(SKIP_3) | instid1(VALU_DEP_3)
	v_sub_f32_e32 v68, v99, v101
	s_wait_alu 0xfffd
	v_cndmask_b32_e32 v57, 0x7f800000, v57, vcc_lo
	v_cmp_ngt_f32_e32 vcc_lo, 0xc2ce8ed0, v66
	v_add_f32_e32 v68, v68, v84
	s_delay_alu instid0(VALU_DEP_3)
	v_add_f32_e32 v76, v56, v57
	s_wait_alu 0xfffd
	v_cndmask_b32_e32 v56, 0, v59, vcc_lo
	v_cvt_i32_f32_e32 v59, v97
	v_cmp_nlt_f32_e32 vcc_lo, 0x42b17218, v66
	v_cvt_i32_f32_e32 v84, v101
	s_wait_alu 0xfffd
	v_cndmask_b32_e32 v66, 0x7f800000, v56, vcc_lo
	v_cvt_f16_f32_e32 v56, v57
	v_ldexp_f32 v57, v67, v59
	v_exp_f32_e32 v59, v68
	v_mul_f32_e32 v67, 0x3fb8aa3b, v75
	v_cmp_ngt_f32_e32 vcc_lo, 0xc2ce8ed0, v65
	s_delay_alu instid0(VALU_DEP_2)
	v_fma_f32 v97, 0x3fb8aa3b, v75, -v67
	s_wait_alu 0xfffd
	v_cndmask_b32_e32 v57, 0, v57, vcc_lo
	v_rndne_f32_e32 v99, v67
	v_cmp_nlt_f32_e32 vcc_lo, 0x42b17218, v65
	v_fmac_f32_e32 v97, 0x32a5705f, v75
	s_wait_alu 0xfffd
	v_cndmask_b32_e32 v65, 0x7f800000, v57, vcc_lo
	v_ldexp_f32 v57, v59, v84
	v_sub_f32_e32 v59, v67, v99
	v_mul_f32_e32 v67, 0x3fb8aa3b, v74
	v_cmp_ngt_f32_e32 vcc_lo, 0xc2ce8ed0, v55
	v_cvt_f16_f32_e32 v84, v65
	s_delay_alu instid0(VALU_DEP_4) | instskip(NEXT) | instid1(VALU_DEP_4)
	v_add_f32_e32 v59, v59, v97
	v_fma_f32 v97, 0x3fb8aa3b, v74, -v67
	s_wait_alu 0xfffd
	v_cndmask_b32_e32 v57, 0, v57, vcc_lo
	v_rndne_f32_e32 v101, v67
	v_cmp_nlt_f32_e32 vcc_lo, 0x42b17218, v55
	v_exp_f32_e32 v55, v59
	v_fmac_f32_e32 v97, 0x32a5705f, v74
	v_cvt_f16_f32_e32 v68, v66
	s_wait_alu 0xfffd
	v_cndmask_b32_e32 v102, 0x7f800000, v57, vcc_lo
	v_sub_f32_e32 v57, v67, v101
	v_mul_f32_e32 v59, 0x3fb8aa3b, v70
	v_sub_f32_e32 v67, v69, v3
	v_cvt_i32_f32_e32 v69, v99
	s_delay_alu instid0(VALU_DEP_4) | instskip(NEXT) | instid1(VALU_DEP_4)
	v_dual_sub_f32 v99, v54, v3 :: v_dual_add_f32 v54, v57, v97
	v_fma_f32 v57, 0x3fb8aa3b, v70, -v59
	v_cmp_ngt_f32_e32 vcc_lo, 0xc2ce8ed0, v75
	s_delay_alu instid0(VALU_DEP_4)
	v_ldexp_f32 v55, v55, v69
	v_rndne_f32_e32 v69, v59
	v_exp_f32_e32 v54, v54
	v_fmac_f32_e32 v57, 0x32a5705f, v70
	v_cvt_i32_f32_e32 v101, v101
	s_wait_alu 0xfffd
	v_cndmask_b32_e32 v55, 0, v55, vcc_lo
	v_sub_f32_e32 v59, v59, v69
	v_cmp_nlt_f32_e32 vcc_lo, 0x42b17218, v75
	v_cvt_i32_f32_e32 v69, v69
	s_delay_alu instid0(VALU_DEP_3)
	v_add_f32_e32 v57, v59, v57
	s_wait_alu 0xfffd
	v_cndmask_b32_e32 v75, 0x7f800000, v55, vcc_lo
	v_ldexp_f32 v54, v54, v101
	v_cmp_ngt_f32_e32 vcc_lo, 0xc2ce8ed0, v74
	v_exp_f32_e32 v57, v57
	s_wait_alu 0xfffd
	s_delay_alu instid0(VALU_DEP_2) | instskip(SKIP_1) | instid1(TRANS32_DEP_1)
	v_cndmask_b32_e32 v54, 0, v54, vcc_lo
	v_cmp_nlt_f32_e32 vcc_lo, 0x42b17218, v74
	v_ldexp_f32 v57, v57, v69
	s_wait_alu 0xfffd
	s_delay_alu instid0(VALU_DEP_3) | instskip(SKIP_2) | instid1(VALU_DEP_2)
	v_cndmask_b32_e32 v69, 0x7f800000, v54, vcc_lo
	v_mul_f32_e32 v97, 0x3fb8aa3b, v67
	v_cmp_ngt_f32_e32 vcc_lo, 0xc2ce8ed0, v70
	v_fma_f32 v103, 0x3fb8aa3b, v67, -v97
	v_rndne_f32_e32 v104, v97
	s_wait_alu 0xfffd
	v_cndmask_b32_e32 v57, 0, v57, vcc_lo
	v_cmp_ngt_f32_e32 vcc_lo, 0xc2ce8ed0, v67
	v_fmac_f32_e32 v103, 0x32a5705f, v67
	v_sub_f32_e32 v97, v97, v104
	s_delay_alu instid0(VALU_DEP_1) | instskip(SKIP_1) | instid1(VALU_DEP_2)
	v_add_f32_e32 v55, v97, v103
	v_cvt_i32_f32_e32 v103, v104
	v_exp_f32_e32 v55, v55
	s_delay_alu instid0(TRANS32_DEP_1) | instskip(SKIP_1) | instid1(VALU_DEP_1)
	v_ldexp_f32 v54, v55, v103
	s_wait_alu 0xfffd
	v_dual_cndmask_b32 v54, 0, v54 :: v_dual_add_nc_u32 v103, v38, v11
	v_mul_f32_e32 v59, 0x3fb8aa3b, v99
	v_cmp_nlt_f32_e32 vcc_lo, 0x42b17218, v70
	s_delay_alu instid0(VALU_DEP_2)
	v_fma_f32 v97, 0x3fb8aa3b, v99, -v59
	v_rndne_f32_e32 v101, v59
	s_wait_alu 0xfffd
	v_cndmask_b32_e32 v70, 0x7f800000, v57, vcc_lo
	v_cmp_nlt_f32_e32 vcc_lo, 0x42b17218, v67
	v_cvt_f16_f32_e32 v57, v75
	v_fmac_f32_e32 v97, 0x32a5705f, v99
	v_sub_f32_e32 v59, v59, v101
	v_cvt_f16_f32_e32 v67, v70
	s_wait_alu 0xfffd
	v_cndmask_b32_e32 v74, 0x7f800000, v54, vcc_lo
	v_cvt_i32_f32_e32 v54, v101
	v_cmp_ngt_f32_e32 vcc_lo, 0xc2ce8ed0, v99
	v_add_f32_e32 v55, v59, v97
	v_cvt_f16_f32_e32 v59, v69
	v_cvt_f16_f32_e32 v97, v74
	s_delay_alu instid0(VALU_DEP_3) | instskip(NEXT) | instid1(TRANS32_DEP_1)
	v_exp_f32_e32 v55, v55
	v_ldexp_f32 v101, v55, v54
	v_pack_b32_f16 v55, v100, v57
	v_pack_b32_f16 v54, v63, v83
	;; [unrolled: 1-line block ×8, first 2 shown]
	ds_store_2addr_b64 v103, v[54:55], v[56:57] offset1:32
	ds_store_2addr_b64 v103, v[58:59], v[63:64] offset0:64 offset1:96
	s_wait_loadcnt 0x3
	ds_store_b128 v37, v[77:80]
	s_wait_loadcnt 0x2
	ds_store_b128 v39, v[85:88]
	;; [unrolled: 2-line block ×4, first 2 shown]
	s_wait_dscnt 0x0
	s_barrier_signal -1
	s_barrier_wait -1
	global_inv scope:SCOPE_SE
	ds_load_b128 v[54:57], v38
	v_cvt_f16_f32_e32 v67, v102
	s_wait_alu 0xfffd
	v_cndmask_b32_e32 v68, 0, v101, vcc_lo
	v_cmp_nlt_f32_e32 vcc_lo, 0x42b17218, v99
	v_dual_add_f32 v63, v66, v76 :: v_dual_add_f32 v58, v75, v69
	v_mul_u32_u24_e32 v77, 0x10001, v51
	v_and_b32_e32 v51, 0xffff, v67
	s_wait_alu 0xfffd
	s_delay_alu instid0(VALU_DEP_3)
	v_dual_cndmask_b32 v59, 0x7f800000, v68 :: v_dual_add_f32 v64, v65, v63
	ds_load_2addr_b64 v[65:68], v11 offset1:32
	v_add_f32_e32 v58, v70, v58
	v_mul_u32_u24_e32 v78, 0x10001, v51
	v_cvt_f16_f32_e32 v69, v59
	v_fmac_f32_e32 v64, v52, v102
	v_pk_mul_f16 v49, v49, v77
	v_add_f32_e32 v63, v74, v58
	v_pk_mul_f16 v47, v47, v78
	v_and_b32_e32 v51, 0xffff, v69
	ds_load_b128 v[69:72], v38 offset:16
	s_wait_dscnt 0x2
	v_dual_fmac_f32 v63, v53, v59 :: v_dual_and_b32 v52, 0xffff, v54
	v_lshrrev_b32_e32 v53, 16, v54
	v_mul_u32_u24_e32 v51, 0x10001, v51
	v_and_b32_e32 v54, 0xffff, v55
	v_lshrrev_b32_e32 v55, 16, v55
	v_mul_u32_u24_e32 v58, 0x10001, v52
	v_mul_u32_u24_e32 v59, 0x10001, v53
	v_pk_mul_f16 v45, v45, v51
	v_mul_u32_u24_e32 v79, 0x10001, v54
	v_pk_mul_f16 v80, v44, v51
	v_mul_u32_u24_e32 v55, 0x10001, v55
	s_wait_dscnt 0x1
	v_pk_mul_f16 v44, v65, v58
	v_pk_mul_f16 v81, v65, v59
	;; [unrolled: 1-line block ×3, first 2 shown]
	ds_load_b128 v[51:54], v38 offset:32
	ds_load_b128 v[73:76], v38 offset:48
	v_pk_fma_f16 v65, v65, v55, v45
	v_pk_fma_f16 v50, v50, v82, v44
	v_and_b32_e32 v44, 0xffff, v56
	v_lshrrev_b32_e32 v45, 16, v56
	v_pk_fma_f16 v48, v48, v77, v81
	v_pk_fma_f16 v77, v46, v78, v83
	;; [unrolled: 1-line block ×4, first 2 shown]
	v_and_b32_e32 v59, 0xffff, v57
	v_lshrrev_b32_e32 v57, 16, v57
	v_mul_u32_u24_e32 v78, 0x10001, v44
	v_mul_u32_u24_e32 v79, 0x10001, v45
	ds_load_2addr_b64 v[44:47], v11 offset0:64 offset1:96
	v_mul_u32_u24_e32 v59, 0x10001, v59
	v_mul_u32_u24_e32 v57, 0x10001, v57
	v_pk_fma_f16 v58, v66, v58, v98
	v_pk_fma_f16 v55, v66, v55, v80
	;; [unrolled: 1-line block ×6, first 2 shown]
	s_wait_dscnt 0x3
	v_and_b32_e32 v67, 0xffff, v69
	v_lshrrev_b32_e32 v69, 16, v69
	v_and_b32_e32 v77, 0xffff, v70
	v_lshrrev_b32_e32 v70, 16, v70
	v_pk_fma_f16 v58, v68, v78, v58
	v_pk_fma_f16 v49, v68, v79, v49
	v_pk_fma_f16 v56, v68, v59, v56
	v_mul_u32_u24_e32 v59, 0x10001, v67
	v_mul_u32_u24_e32 v67, 0x10001, v69
	;; [unrolled: 1-line block ×4, first 2 shown]
	v_pk_fma_f16 v68, v68, v57, v55
	v_and_b32_e32 v55, 0xffff, v71
	v_lshrrev_b32_e32 v57, 16, v71
	s_wait_dscnt 0x0
	v_pk_fma_f16 v50, v44, v59, v50
	v_pk_fma_f16 v48, v44, v67, v48
	;; [unrolled: 1-line block ×7, first 2 shown]
	v_and_b32_e32 v67, 0xffff, v72
	v_lshrrev_b32_e32 v69, 16, v72
	v_mul_u32_u24_e32 v71, 0x10001, v55
	v_mul_u32_u24_e32 v72, 0x10001, v57
	ds_load_2addr_b64 v[55:58], v11 offset0:128 offset1:160
	v_mul_u32_u24_e32 v67, 0x10001, v67
	v_mul_u32_u24_e32 v69, 0x10001, v69
	v_pk_fma_f16 v45, v45, v70, v68
	v_pk_fma_f16 v50, v46, v71, v50
	v_pk_fma_f16 v48, v46, v72, v48
	v_pk_fma_f16 v66, v46, v67, v66
	v_pk_fma_f16 v44, v46, v69, v44
	v_pk_fma_f16 v46, v47, v71, v59
	v_and_b32_e32 v59, 0xffff, v51
	v_lshrrev_b32_e32 v51, 16, v51
	v_and_b32_e32 v68, 0xffff, v52
	v_lshrrev_b32_e32 v52, 16, v52
	v_pk_fma_f16 v65, v47, v67, v65
	v_mul_u32_u24_e32 v59, 0x10001, v59
	v_mul_u32_u24_e32 v51, 0x10001, v51
	;; [unrolled: 1-line block ×4, first 2 shown]
	v_pk_fma_f16 v49, v47, v72, v49
	v_pk_fma_f16 v45, v47, v69, v45
	s_wait_dscnt 0x0
	v_pk_fma_f16 v50, v55, v59, v50
	v_pk_fma_f16 v68, v55, v51, v48
	;; [unrolled: 1-line block ×5, first 2 shown]
	v_and_b32_e32 v46, 0xffff, v53
	v_lshrrev_b32_e32 v47, 16, v53
	v_pk_fma_f16 v51, v56, v51, v49
	v_pk_fma_f16 v53, v56, v67, v65
	v_and_b32_e32 v59, 0xffff, v54
	v_lshrrev_b32_e32 v54, 16, v54
	v_mul_u32_u24_e32 v65, 0x10001, v46
	v_mul_u32_u24_e32 v67, 0x10001, v47
	ds_load_2addr_b64 v[46:49], v11 offset0:192 offset1:224
	v_mul_u32_u24_e32 v59, 0x10001, v59
	v_mul_u32_u24_e32 v54, 0x10001, v54
	v_pk_fma_f16 v45, v56, v52, v45
	v_pk_fma_f16 v50, v57, v65, v50
	;; [unrolled: 1-line block ×6, first 2 shown]
	v_and_b32_e32 v57, 0xffff, v73
	v_lshrrev_b32_e32 v65, 16, v73
	v_pk_fma_f16 v51, v58, v67, v51
	v_and_b32_e32 v66, 0xffff, v74
	v_lshrrev_b32_e32 v67, 16, v74
	v_pk_fma_f16 v59, v58, v59, v53
	v_mul_u32_u24_e32 v53, 0x10001, v57
	v_mul_u32_u24_e32 v57, 0x10001, v65
	;; [unrolled: 1-line block ×4, first 2 shown]
	v_pk_fma_f16 v45, v58, v54, v45
	s_wait_dscnt 0x0
	v_pk_fma_f16 v58, v46, v53, v50
	v_pk_fma_f16 v67, v46, v57, v52
	;; [unrolled: 1-line block ×4, first 2 shown]
	ds_load_b128 v[50:53], v38 offset:64
	v_pk_fma_f16 v68, v46, v65, v56
	v_pk_fma_f16 v44, v46, v66, v44
	v_and_b32_e32 v54, 0xffff, v75
	v_lshrrev_b32_e32 v55, 16, v75
	v_and_b32_e32 v56, 0xffff, v76
	v_add_nc_u32_e32 v46, 0x800, v11
	v_pk_fma_f16 v59, v47, v65, v59
	v_lshrrev_b32_e32 v65, 16, v76
	v_mul_u32_u24_e32 v71, 0x10001, v54
	v_mul_u32_u24_e32 v72, 0x10001, v55
	v_mul_u32_u24_e32 v73, 0x10001, v56
	ds_load_2addr_b64 v[54:57], v46 offset1:32
	v_mul_u32_u24_e32 v74, 0x10001, v65
	v_pk_fma_f16 v45, v47, v66, v45
	v_pk_fma_f16 v47, v48, v71, v58
	;; [unrolled: 1-line block ×7, first 2 shown]
	ds_load_b128 v[65:68], v38 offset:80
	s_wait_dscnt 0x2
	v_and_b32_e32 v70, 0xffff, v50
	v_lshrrev_b32_e32 v50, 16, v50
	v_and_b32_e32 v71, 0xffff, v51
	v_lshrrev_b32_e32 v51, 16, v51
	v_pk_fma_f16 v59, v49, v73, v59
	v_mul_u32_u24_e32 v70, 0x10001, v70
	v_mul_u32_u24_e32 v50, 0x10001, v50
	;; [unrolled: 1-line block ×4, first 2 shown]
	v_pk_fma_f16 v45, v49, v74, v45
	s_wait_dscnt 0x1
	v_pk_fma_f16 v72, v54, v70, v47
	v_pk_fma_f16 v58, v54, v50, v58
	;; [unrolled: 1-line block ×5, first 2 shown]
	v_and_b32_e32 v47, 0xffff, v52
	v_lshrrev_b32_e32 v48, 16, v52
	v_pk_fma_f16 v69, v55, v50, v69
	v_pk_fma_f16 v52, v55, v71, v59
	v_and_b32_e32 v59, 0xffff, v53
	v_lshrrev_b32_e32 v53, 16, v53
	v_mul_u32_u24_e32 v70, 0x10001, v47
	v_mul_u32_u24_e32 v71, 0x10001, v48
	ds_load_2addr_b64 v[47:50], v46 offset0:64 offset1:96
	v_mul_u32_u24_e32 v59, 0x10001, v59
	v_mul_u32_u24_e32 v53, 0x10001, v53
	v_pk_fma_f16 v45, v55, v51, v45
	v_pk_fma_f16 v51, v56, v70, v72
	;; [unrolled: 1-line block ×7, first 2 shown]
	s_wait_dscnt 0x1
	v_and_b32_e32 v69, 0xffff, v65
	v_lshrrev_b32_e32 v65, 16, v65
	v_and_b32_e32 v70, 0xffff, v66
	v_lshrrev_b32_e32 v66, 16, v66
	v_pk_fma_f16 v59, v57, v59, v52
	v_mul_u32_u24_e32 v52, 0x10001, v69
	v_mul_u32_u24_e32 v65, 0x10001, v65
	;; [unrolled: 1-line block ×4, first 2 shown]
	v_pk_fma_f16 v45, v57, v53, v45
	s_wait_dscnt 0x0
	v_pk_fma_f16 v70, v47, v52, v51
	v_pk_fma_f16 v71, v47, v65, v55
	;; [unrolled: 1-line block ×5, first 2 shown]
	ds_load_b128 v[51:54], v38 offset:96
	v_pk_fma_f16 v65, v48, v65, v56
	v_and_b32_e32 v55, 0xffff, v67
	v_lshrrev_b32_e32 v56, 16, v67
	v_and_b32_e32 v57, 0xffff, v68
	v_pk_fma_f16 v59, v48, v69, v59
	v_lshrrev_b32_e32 v67, 16, v68
	v_mul_u32_u24_e32 v68, 0x10001, v55
	v_mul_u32_u24_e32 v69, 0x10001, v56
	;; [unrolled: 1-line block ×3, first 2 shown]
	ds_load_2addr_b64 v[55:58], v46 offset0:128 offset1:160
	v_mul_u32_u24_e32 v74, 0x10001, v67
	v_pk_fma_f16 v45, v48, v66, v45
	v_pk_fma_f16 v48, v49, v68, v70
	;; [unrolled: 1-line block ×7, first 2 shown]
	ds_load_b128 v[65:68], v38 offset:112
	s_wait_dscnt 0x2
	v_and_b32_e32 v69, 0xffff, v51
	v_lshrrev_b32_e32 v51, 16, v51
	v_and_b32_e32 v72, 0xffff, v52
	v_lshrrev_b32_e32 v52, 16, v52
	v_pk_fma_f16 v59, v50, v73, v59
	v_mul_u32_u24_e32 v69, 0x10001, v69
	v_mul_u32_u24_e32 v51, 0x10001, v51
	;; [unrolled: 1-line block ×4, first 2 shown]
	v_pk_fma_f16 v45, v50, v74, v45
	s_wait_dscnt 0x1
	v_pk_fma_f16 v73, v55, v69, v48
	v_pk_fma_f16 v70, v55, v51, v70
	;; [unrolled: 1-line block ×5, first 2 shown]
	v_and_b32_e32 v47, 0xffff, v53
	v_lshrrev_b32_e32 v48, 16, v53
	v_pk_fma_f16 v51, v56, v51, v49
	v_pk_fma_f16 v53, v56, v72, v59
	v_and_b32_e32 v59, 0xffff, v54
	v_lshrrev_b32_e32 v54, 16, v54
	v_mul_u32_u24_e32 v69, 0x10001, v47
	v_mul_u32_u24_e32 v72, 0x10001, v48
	ds_load_2addr_b64 v[47:50], v46 offset0:192 offset1:224
	v_mul_u32_u24_e32 v59, 0x10001, v59
	v_mul_u32_u24_e32 v54, 0x10001, v54
	v_pk_fma_f16 v45, v56, v52, v45
	v_pk_fma_f16 v52, v57, v69, v73
	;; [unrolled: 1-line block ×5, first 2 shown]
	s_wait_dscnt 0x1
	v_and_b32_e32 v57, 0xffff, v65
	v_lshrrev_b32_e32 v65, 16, v65
	v_pk_fma_f16 v55, v58, v69, v55
	v_pk_fma_f16 v51, v58, v72, v51
	v_and_b32_e32 v69, 0xffff, v66
	v_lshrrev_b32_e32 v66, 16, v66
	v_pk_fma_f16 v59, v58, v59, v53
	v_mul_u32_u24_e32 v53, 0x10001, v57
	v_mul_u32_u24_e32 v57, 0x10001, v65
	;; [unrolled: 1-line block ×4, first 2 shown]
	v_pk_fma_f16 v45, v58, v54, v45
	s_wait_dscnt 0x0
	v_pk_fma_f16 v69, v47, v53, v52
	v_pk_fma_f16 v72, v48, v53, v55
	;; [unrolled: 1-line block ×3, first 2 shown]
	ds_load_b128 v[51:54], v38 offset:128
	v_pk_fma_f16 v71, v47, v57, v56
	v_pk_fma_f16 v70, v47, v65, v70
	;; [unrolled: 1-line block ×3, first 2 shown]
	v_and_b32_e32 v55, 0xffff, v67
	v_lshrrev_b32_e32 v56, 16, v67
	v_and_b32_e32 v57, 0xffff, v68
	v_add_nc_u32_e32 v47, 0x1000, v11
	v_pk_fma_f16 v59, v48, v65, v59
	v_lshrrev_b32_e32 v65, 16, v68
	v_mul_u32_u24_e32 v67, 0x10001, v55
	v_mul_u32_u24_e32 v68, 0x10001, v56
	;; [unrolled: 1-line block ×3, first 2 shown]
	ds_load_2addr_b64 v[55:58], v47 offset1:32
	v_mul_u32_u24_e32 v75, 0x10001, v65
	v_pk_fma_f16 v45, v48, v66, v45
	v_pk_fma_f16 v48, v49, v67, v69
	;; [unrolled: 1-line block ×7, first 2 shown]
	ds_load_b128 v[65:68], v38 offset:144
	s_wait_dscnt 0x2
	v_and_b32_e32 v72, 0xffff, v51
	v_lshrrev_b32_e32 v51, 16, v51
	v_and_b32_e32 v73, 0xffff, v52
	v_lshrrev_b32_e32 v52, 16, v52
	v_pk_fma_f16 v59, v50, v74, v59
	v_mul_u32_u24_e32 v72, 0x10001, v72
	v_mul_u32_u24_e32 v51, 0x10001, v51
	;; [unrolled: 1-line block ×4, first 2 shown]
	v_pk_fma_f16 v45, v50, v75, v45
	s_wait_dscnt 0x1
	v_pk_fma_f16 v74, v55, v72, v48
	v_pk_fma_f16 v69, v55, v51, v69
	;; [unrolled: 1-line block ×5, first 2 shown]
	v_and_b32_e32 v48, 0xffff, v53
	v_lshrrev_b32_e32 v49, 16, v53
	v_pk_fma_f16 v71, v56, v51, v71
	v_pk_fma_f16 v53, v56, v73, v59
	v_and_b32_e32 v59, 0xffff, v54
	v_lshrrev_b32_e32 v54, 16, v54
	v_mul_u32_u24_e32 v72, 0x10001, v48
	v_mul_u32_u24_e32 v73, 0x10001, v49
	ds_load_2addr_b64 v[48:51], v47 offset0:64 offset1:96
	v_mul_u32_u24_e32 v59, 0x10001, v59
	v_mul_u32_u24_e32 v54, 0x10001, v54
	v_pk_fma_f16 v45, v56, v52, v45
	v_pk_fma_f16 v52, v57, v72, v74
	;; [unrolled: 1-line block ×6, first 2 shown]
	s_wait_dscnt 0x1
	v_and_b32_e32 v70, 0xffff, v65
	v_lshrrev_b32_e32 v65, 16, v65
	v_and_b32_e32 v71, 0xffff, v66
	v_lshrrev_b32_e32 v66, 16, v66
	v_pk_fma_f16 v55, v58, v72, v55
	v_pk_fma_f16 v59, v58, v59, v53
	v_mul_u32_u24_e32 v53, 0x10001, v70
	v_mul_u32_u24_e32 v65, 0x10001, v65
	;; [unrolled: 1-line block ×4, first 2 shown]
	v_pk_fma_f16 v45, v58, v54, v45
	s_wait_dscnt 0x0
	v_pk_fma_f16 v71, v48, v53, v52
	v_pk_fma_f16 v72, v48, v65, v56
	;; [unrolled: 1-line block ×5, first 2 shown]
	ds_load_b128 v[52:55], v38 offset:160
	v_pk_fma_f16 v65, v49, v65, v57
	v_and_b32_e32 v56, 0xffff, v67
	v_lshrrev_b32_e32 v57, 16, v67
	v_and_b32_e32 v58, 0xffff, v68
	v_pk_fma_f16 v70, v49, v70, v59
	v_lshrrev_b32_e32 v67, 16, v68
	v_mul_u32_u24_e32 v68, 0x10001, v56
	v_mul_u32_u24_e32 v73, 0x10001, v57
	;; [unrolled: 1-line block ×3, first 2 shown]
	ds_load_2addr_b64 v[56:59], v47 offset0:128 offset1:160
	v_mul_u32_u24_e32 v75, 0x10001, v67
	v_pk_fma_f16 v45, v49, v66, v45
	v_pk_fma_f16 v49, v50, v68, v71
	v_pk_fma_f16 v71, v50, v73, v72
	v_pk_fma_f16 v69, v50, v74, v69
	v_pk_fma_f16 v44, v50, v75, v44
	v_pk_fma_f16 v48, v51, v68, v48
	v_pk_fma_f16 v50, v51, v73, v65
	ds_load_b128 v[65:68], v38 offset:176
	s_wait_dscnt 0x2
	v_and_b32_e32 v72, 0xffff, v52
	v_lshrrev_b32_e32 v52, 16, v52
	v_and_b32_e32 v73, 0xffff, v53
	v_lshrrev_b32_e32 v53, 16, v53
	v_pk_fma_f16 v70, v51, v74, v70
	v_mul_u32_u24_e32 v72, 0x10001, v72
	v_mul_u32_u24_e32 v52, 0x10001, v52
	;; [unrolled: 1-line block ×4, first 2 shown]
	v_pk_fma_f16 v45, v51, v75, v45
	s_wait_dscnt 0x1
	v_pk_fma_f16 v74, v56, v72, v49
	v_pk_fma_f16 v71, v56, v52, v71
	;; [unrolled: 1-line block ×5, first 2 shown]
	v_and_b32_e32 v48, 0xffff, v54
	v_lshrrev_b32_e32 v49, 16, v54
	v_pk_fma_f16 v52, v57, v52, v50
	v_pk_fma_f16 v54, v57, v73, v70
	v_and_b32_e32 v70, 0xffff, v55
	v_lshrrev_b32_e32 v55, 16, v55
	v_mul_u32_u24_e32 v72, 0x10001, v48
	v_mul_u32_u24_e32 v73, 0x10001, v49
	ds_load_2addr_b64 v[48:51], v47 offset0:192 offset1:224
	v_mul_u32_u24_e32 v70, 0x10001, v70
	v_mul_u32_u24_e32 v55, 0x10001, v55
	v_pk_fma_f16 v45, v57, v53, v45
	v_pk_fma_f16 v53, v58, v72, v74
	;; [unrolled: 1-line block ×5, first 2 shown]
	s_wait_dscnt 0x1
	v_and_b32_e32 v58, 0xffff, v65
	v_lshrrev_b32_e32 v65, 16, v65
	v_pk_fma_f16 v56, v59, v72, v56
	v_pk_fma_f16 v52, v59, v73, v52
	v_and_b32_e32 v71, 0xffff, v66
	v_lshrrev_b32_e32 v66, 16, v66
	v_pk_fma_f16 v70, v59, v70, v54
	v_mul_u32_u24_e32 v54, 0x10001, v58
	v_mul_u32_u24_e32 v58, 0x10001, v65
	;; [unrolled: 1-line block ×4, first 2 shown]
	v_pk_fma_f16 v45, v59, v55, v45
	s_wait_dscnt 0x0
	v_pk_fma_f16 v71, v48, v54, v53
	v_pk_fma_f16 v73, v49, v54, v56
	;; [unrolled: 1-line block ×3, first 2 shown]
	ds_load_b128 v[52:55], v38 offset:192
	v_pk_fma_f16 v72, v48, v58, v57
	v_pk_fma_f16 v69, v48, v65, v69
	;; [unrolled: 1-line block ×3, first 2 shown]
	v_and_b32_e32 v56, 0xffff, v67
	v_lshrrev_b32_e32 v57, 16, v67
	v_and_b32_e32 v58, 0xffff, v68
	v_add_nc_u32_e32 v48, 0x1800, v11
	v_pk_fma_f16 v70, v49, v65, v70
	v_lshrrev_b32_e32 v65, 16, v68
	v_mul_u32_u24_e32 v67, 0x10001, v56
	v_mul_u32_u24_e32 v68, 0x10001, v57
	;; [unrolled: 1-line block ×3, first 2 shown]
	ds_load_2addr_b64 v[56:59], v48 offset1:32
	v_mul_u32_u24_e32 v76, 0x10001, v65
	v_pk_fma_f16 v45, v49, v66, v45
	v_pk_fma_f16 v49, v50, v67, v71
	v_pk_fma_f16 v71, v50, v68, v72
	v_pk_fma_f16 v69, v50, v75, v69
	v_pk_fma_f16 v44, v50, v76, v44
	v_pk_fma_f16 v50, v51, v67, v73
	v_pk_fma_f16 v72, v51, v68, v74
	ds_load_b128 v[65:68], v38 offset:208
	s_wait_dscnt 0x2
	v_and_b32_e32 v73, 0xffff, v52
	v_lshrrev_b32_e32 v52, 16, v52
	v_and_b32_e32 v74, 0xffff, v53
	v_lshrrev_b32_e32 v53, 16, v53
	v_pk_fma_f16 v70, v51, v75, v70
	v_mul_u32_u24_e32 v73, 0x10001, v73
	v_mul_u32_u24_e32 v52, 0x10001, v52
	;; [unrolled: 1-line block ×4, first 2 shown]
	v_pk_fma_f16 v45, v51, v76, v45
	s_wait_dscnt 0x1
	v_pk_fma_f16 v75, v56, v73, v49
	v_pk_fma_f16 v71, v56, v52, v71
	;; [unrolled: 1-line block ×5, first 2 shown]
	v_and_b32_e32 v49, 0xffff, v54
	v_lshrrev_b32_e32 v50, 16, v54
	v_pk_fma_f16 v72, v57, v52, v72
	v_pk_fma_f16 v54, v57, v74, v70
	v_and_b32_e32 v70, 0xffff, v55
	v_lshrrev_b32_e32 v55, 16, v55
	v_mul_u32_u24_e32 v73, 0x10001, v49
	v_mul_u32_u24_e32 v74, 0x10001, v50
	ds_load_2addr_b64 v[49:52], v48 offset0:64 offset1:96
	v_mul_u32_u24_e32 v70, 0x10001, v70
	v_mul_u32_u24_e32 v55, 0x10001, v55
	v_pk_fma_f16 v45, v57, v53, v45
	v_pk_fma_f16 v53, v58, v73, v75
	;; [unrolled: 1-line block ×6, first 2 shown]
	s_wait_dscnt 0x1
	v_and_b32_e32 v71, 0xffff, v65
	v_lshrrev_b32_e32 v65, 16, v65
	v_and_b32_e32 v72, 0xffff, v66
	v_lshrrev_b32_e32 v66, 16, v66
	v_pk_fma_f16 v56, v59, v73, v56
	v_pk_fma_f16 v70, v59, v70, v54
	v_mul_u32_u24_e32 v54, 0x10001, v71
	v_mul_u32_u24_e32 v65, 0x10001, v65
	;; [unrolled: 1-line block ×4, first 2 shown]
	v_pk_fma_f16 v45, v59, v55, v45
	s_wait_dscnt 0x0
	v_pk_fma_f16 v59, v49, v54, v53
	v_pk_fma_f16 v57, v49, v65, v57
	;; [unrolled: 1-line block ×5, first 2 shown]
	ds_load_b128 v[53:56], v38 offset:224
	v_pk_fma_f16 v58, v50, v65, v58
	v_and_b32_e32 v65, 0xffff, v67
	v_lshrrev_b32_e32 v66, 16, v67
	v_and_b32_e32 v67, 0xffff, v68
	v_pk_fma_f16 v73, v50, v71, v70
	v_lshrrev_b32_e32 v70, 16, v68
	v_mul_u32_u24_e32 v71, 0x10001, v65
	v_mul_u32_u24_e32 v74, 0x10001, v66
	;; [unrolled: 1-line block ×3, first 2 shown]
	ds_load_2addr_b64 v[65:68], v48 offset0:128 offset1:160
	v_mul_u32_u24_e32 v76, 0x10001, v70
	v_pk_fma_f16 v45, v50, v72, v45
	v_pk_fma_f16 v50, v51, v71, v59
	;; [unrolled: 1-line block ×7, first 2 shown]
	ds_load_b128 v[69:72], v38 offset:240
	s_wait_dscnt 0x2
	v_and_b32_e32 v58, 0xffff, v53
	v_lshrrev_b32_e32 v53, 16, v53
	v_and_b32_e32 v74, 0xffff, v54
	v_lshrrev_b32_e32 v54, 16, v54
	v_pk_fma_f16 v73, v52, v75, v73
	v_mul_u32_u24_e32 v58, 0x10001, v58
	v_mul_u32_u24_e32 v53, 0x10001, v53
	;; [unrolled: 1-line block ×4, first 2 shown]
	v_pk_fma_f16 v45, v52, v76, v45
	s_wait_dscnt 0x1
	v_pk_fma_f16 v75, v65, v58, v50
	v_pk_fma_f16 v58, v66, v58, v49
	v_and_b32_e32 v49, 0xffff, v55
	v_lshrrev_b32_e32 v50, 16, v55
	v_pk_fma_f16 v57, v65, v53, v57
	v_pk_fma_f16 v59, v65, v74, v59
	v_pk_fma_f16 v44, v65, v54, v44
	v_pk_fma_f16 v53, v66, v53, v51
	v_pk_fma_f16 v55, v66, v74, v73
	v_and_b32_e32 v65, 0xffff, v56
	v_lshrrev_b32_e32 v56, 16, v56
	v_mul_u32_u24_e32 v73, 0x10001, v49
	v_mul_u32_u24_e32 v74, 0x10001, v50
	ds_load_2addr_b64 v[49:52], v48 offset0:192 offset1:224
	v_mul_u32_u24_e32 v65, 0x10001, v65
	v_mul_u32_u24_e32 v56, 0x10001, v56
	v_pk_fma_f16 v45, v66, v54, v45
	v_pk_fma_f16 v54, v67, v73, v75
	;; [unrolled: 1-line block ×5, first 2 shown]
	s_wait_dscnt 0x1
	v_and_b32_e32 v66, 0xffff, v69
	v_lshrrev_b32_e32 v67, 16, v69
	v_pk_fma_f16 v58, v68, v73, v58
	v_pk_fma_f16 v53, v68, v74, v53
	v_and_b32_e32 v69, 0xffff, v70
	v_lshrrev_b32_e32 v70, 16, v70
	v_pk_fma_f16 v65, v68, v65, v55
	v_mul_u32_u24_e32 v55, 0x10001, v66
	v_mul_u32_u24_e32 v66, 0x10001, v67
	;; [unrolled: 1-line block ×4, first 2 shown]
	v_pk_fma_f16 v45, v68, v56, v45
	s_wait_dscnt 0x0
	v_pk_fma_f16 v70, v49, v55, v54
	v_pk_fma_f16 v58, v50, v55, v58
	;; [unrolled: 1-line block ×3, first 2 shown]
	ds_load_b128 v[53:56], v38 offset:256
	v_pk_fma_f16 v57, v49, v66, v57
	v_pk_fma_f16 v59, v49, v67, v59
	v_pk_fma_f16 v44, v49, v69, v44
	v_pk_fma_f16 v74, v50, v67, v65
	v_and_b32_e32 v65, 0xffff, v71
	v_lshrrev_b32_e32 v66, 16, v71
	v_and_b32_e32 v67, 0xffff, v72
	v_add_nc_u32_e32 v49, 0x2000, v11
	v_lshrrev_b32_e32 v71, 16, v72
	v_mul_u32_u24_e32 v72, 0x10001, v65
	v_mul_u32_u24_e32 v75, 0x10001, v66
	;; [unrolled: 1-line block ×3, first 2 shown]
	ds_load_2addr_b64 v[65:68], v49 offset1:32
	v_mul_u32_u24_e32 v77, 0x10001, v71
	v_pk_fma_f16 v45, v50, v69, v45
	v_pk_fma_f16 v50, v51, v72, v70
	;; [unrolled: 1-line block ×7, first 2 shown]
	ds_load_b128 v[69:72], v38 offset:272
	s_wait_dscnt 0x2
	v_and_b32_e32 v73, 0xffff, v53
	v_lshrrev_b32_e32 v53, 16, v53
	v_and_b32_e32 v75, 0xffff, v54
	v_lshrrev_b32_e32 v54, 16, v54
	v_pk_fma_f16 v74, v52, v76, v74
	v_mul_u32_u24_e32 v73, 0x10001, v73
	v_mul_u32_u24_e32 v53, 0x10001, v53
	;; [unrolled: 1-line block ×4, first 2 shown]
	v_pk_fma_f16 v45, v52, v77, v45
	s_wait_dscnt 0x1
	v_pk_fma_f16 v76, v65, v73, v50
	v_pk_fma_f16 v57, v65, v53, v57
	;; [unrolled: 1-line block ×5, first 2 shown]
	v_and_b32_e32 v50, 0xffff, v55
	v_lshrrev_b32_e32 v51, 16, v55
	v_pk_fma_f16 v58, v66, v53, v58
	v_pk_fma_f16 v55, v66, v75, v74
	v_and_b32_e32 v73, 0xffff, v56
	v_lshrrev_b32_e32 v56, 16, v56
	v_mul_u32_u24_e32 v74, 0x10001, v50
	v_mul_u32_u24_e32 v75, 0x10001, v51
	ds_load_2addr_b64 v[50:53], v49 offset0:64 offset1:96
	v_mul_u32_u24_e32 v73, 0x10001, v73
	v_mul_u32_u24_e32 v56, 0x10001, v56
	v_pk_fma_f16 v45, v66, v54, v45
	v_pk_fma_f16 v54, v67, v74, v76
	;; [unrolled: 1-line block ×5, first 2 shown]
	s_wait_dscnt 0x1
	v_and_b32_e32 v66, 0xffff, v69
	v_lshrrev_b32_e32 v67, 16, v69
	v_and_b32_e32 v69, 0xffff, v70
	v_lshrrev_b32_e32 v70, 16, v70
	v_pk_fma_f16 v65, v68, v74, v65
	v_pk_fma_f16 v73, v68, v73, v55
	v_mul_u32_u24_e32 v55, 0x10001, v66
	v_mul_u32_u24_e32 v66, 0x10001, v67
	;; [unrolled: 1-line block ×4, first 2 shown]
	v_pk_fma_f16 v58, v68, v75, v58
	v_pk_fma_f16 v45, v68, v56, v45
	s_wait_dscnt 0x0
	v_pk_fma_f16 v70, v50, v55, v54
	v_pk_fma_f16 v74, v50, v66, v57
	;; [unrolled: 1-line block ×5, first 2 shown]
	ds_load_b128 v[54:57], v38 offset:288
	v_pk_fma_f16 v58, v51, v66, v58
	v_and_b32_e32 v65, 0xffff, v71
	v_lshrrev_b32_e32 v66, 16, v71
	v_and_b32_e32 v68, 0xffff, v72
	v_pk_fma_f16 v73, v51, v67, v73
	v_lshrrev_b32_e32 v71, 16, v72
	v_mul_u32_u24_e32 v72, 0x10001, v65
	v_mul_u32_u24_e32 v75, 0x10001, v66
	;; [unrolled: 1-line block ×3, first 2 shown]
	ds_load_2addr_b64 v[65:68], v49 offset0:128 offset1:160
	v_mul_u32_u24_e32 v77, 0x10001, v71
	v_pk_fma_f16 v45, v51, v69, v45
	v_pk_fma_f16 v51, v52, v72, v70
	;; [unrolled: 1-line block ×7, first 2 shown]
	ds_load_b128 v[69:72], v38 offset:304
	s_wait_dscnt 0x2
	v_and_b32_e32 v58, 0xffff, v54
	v_lshrrev_b32_e32 v54, 16, v54
	v_and_b32_e32 v75, 0xffff, v55
	v_lshrrev_b32_e32 v55, 16, v55
	v_pk_fma_f16 v73, v53, v76, v73
	v_mul_u32_u24_e32 v58, 0x10001, v58
	v_mul_u32_u24_e32 v54, 0x10001, v54
	;; [unrolled: 1-line block ×4, first 2 shown]
	v_pk_fma_f16 v45, v53, v77, v45
	s_wait_dscnt 0x1
	v_pk_fma_f16 v76, v65, v58, v51
	v_pk_fma_f16 v58, v66, v58, v50
	v_and_b32_e32 v50, 0xffff, v56
	v_lshrrev_b32_e32 v51, 16, v56
	v_pk_fma_f16 v74, v65, v54, v74
	v_pk_fma_f16 v59, v65, v75, v59
	;; [unrolled: 1-line block ×5, first 2 shown]
	v_and_b32_e32 v65, 0xffff, v57
	v_lshrrev_b32_e32 v57, 16, v57
	v_mul_u32_u24_e32 v73, 0x10001, v50
	v_mul_u32_u24_e32 v75, 0x10001, v51
	ds_load_2addr_b64 v[50:53], v49 offset0:192 offset1:224
	v_mul_u32_u24_e32 v65, 0x10001, v65
	v_mul_u32_u24_e32 v57, 0x10001, v57
	v_pk_fma_f16 v45, v66, v55, v45
	v_pk_fma_f16 v55, v67, v73, v76
	;; [unrolled: 1-line block ×5, first 2 shown]
	s_wait_dscnt 0x1
	v_and_b32_e32 v67, 0xffff, v69
	v_lshrrev_b32_e32 v69, 16, v69
	v_pk_fma_f16 v58, v68, v73, v58
	v_pk_fma_f16 v54, v68, v75, v54
	v_and_b32_e32 v73, 0xffff, v70
	v_lshrrev_b32_e32 v70, 16, v70
	v_pk_fma_f16 v65, v68, v65, v56
	v_mul_u32_u24_e32 v56, 0x10001, v67
	v_mul_u32_u24_e32 v67, 0x10001, v69
	;; [unrolled: 1-line block ×4, first 2 shown]
	v_pk_fma_f16 v45, v68, v57, v45
	s_wait_dscnt 0x0
	v_pk_fma_f16 v73, v50, v56, v55
	v_pk_fma_f16 v58, v51, v56, v58
	;; [unrolled: 1-line block ×3, first 2 shown]
	ds_load_b128 v[54:57], v38 offset:320
	v_pk_fma_f16 v74, v50, v67, v66
	v_pk_fma_f16 v59, v50, v69, v59
	;; [unrolled: 1-line block ×4, first 2 shown]
	v_and_b32_e32 v65, 0xffff, v71
	v_lshrrev_b32_e32 v66, 16, v71
	v_and_b32_e32 v67, 0xffff, v72
	v_add_nc_u32_e32 v50, 0x2800, v11
	v_lshrrev_b32_e32 v69, 16, v72
	v_mul_u32_u24_e32 v71, 0x10001, v65
	v_mul_u32_u24_e32 v72, 0x10001, v66
	v_mul_u32_u24_e32 v77, 0x10001, v67
	ds_load_2addr_b64 v[65:68], v50 offset1:32
	v_mul_u32_u24_e32 v78, 0x10001, v69
	v_pk_fma_f16 v45, v51, v70, v45
	v_pk_fma_f16 v51, v52, v71, v73
	;; [unrolled: 1-line block ×7, first 2 shown]
	ds_load_b128 v[69:72], v38 offset:336
	s_wait_dscnt 0x2
	v_and_b32_e32 v74, 0xffff, v54
	v_lshrrev_b32_e32 v54, 16, v54
	v_and_b32_e32 v75, 0xffff, v55
	v_lshrrev_b32_e32 v55, 16, v55
	v_pk_fma_f16 v76, v53, v77, v76
	v_mul_u32_u24_e32 v74, 0x10001, v74
	v_mul_u32_u24_e32 v54, 0x10001, v54
	;; [unrolled: 1-line block ×4, first 2 shown]
	v_pk_fma_f16 v45, v53, v78, v45
	s_wait_dscnt 0x1
	v_pk_fma_f16 v77, v65, v74, v51
	v_pk_fma_f16 v73, v65, v54, v73
	;; [unrolled: 1-line block ×5, first 2 shown]
	v_and_b32_e32 v51, 0xffff, v56
	v_lshrrev_b32_e32 v52, 16, v56
	v_pk_fma_f16 v58, v66, v54, v58
	v_pk_fma_f16 v56, v66, v75, v76
	v_and_b32_e32 v74, 0xffff, v57
	v_lshrrev_b32_e32 v57, 16, v57
	v_mul_u32_u24_e32 v75, 0x10001, v51
	v_mul_u32_u24_e32 v76, 0x10001, v52
	ds_load_2addr_b64 v[51:54], v50 offset0:64 offset1:96
	v_mul_u32_u24_e32 v74, 0x10001, v74
	v_mul_u32_u24_e32 v57, 0x10001, v57
	s_wait_alu 0xfffe
	v_add_co_u32 v141, vcc_lo, s26, v16
	s_wait_alu 0xfffd
	v_add_co_ci_u32_e64 v142, null, s27, v17, vcc_lo
	v_add_co_u32 v143, vcc_lo, s26, v18
	s_wait_alu 0xfffd
	v_add_co_ci_u32_e64 v144, null, s27, v19, vcc_lo
	v_pk_fma_f16 v45, v66, v55, v45
	v_pk_fma_f16 v55, v67, v75, v77
	;; [unrolled: 1-line block ×5, first 2 shown]
	s_wait_dscnt 0x1
	v_and_b32_e32 v67, 0xffff, v69
	v_lshrrev_b32_e32 v69, 16, v69
	v_and_b32_e32 v73, 0xffff, v70
	v_lshrrev_b32_e32 v70, 16, v70
	v_add_co_u32 v141, vcc_lo, v141, v43
	s_wait_alu 0xfffd
	v_add_co_ci_u32_e64 v142, null, 0, v142, vcc_lo
	v_add_co_u32 v145, vcc_lo, v143, v43
	s_wait_alu 0xfffd
	v_add_co_ci_u32_e64 v146, null, 0, v144, vcc_lo
	v_add_co_u32 v143, vcc_lo, s26, v20
	v_pk_fma_f16 v157, v68, v74, v56
	v_mul_u32_u24_e32 v56, 0x10001, v67
	v_mul_u32_u24_e32 v67, 0x10001, v69
	v_mul_u32_u24_e32 v158, 0x10001, v73
	v_mul_u32_u24_e32 v159, 0x10001, v70
	s_wait_alu 0xfffd
	v_add_co_ci_u32_e64 v144, null, s27, v21, vcc_lo
	v_add_co_u32 v147, vcc_lo, s26, v22
	s_wait_alu 0xfffd
	v_add_co_ci_u32_e64 v148, null, s27, v23, vcc_lo
	v_add_co_u32 v149, vcc_lo, v143, v43
	v_pk_fma_f16 v65, v68, v75, v65
	v_pk_fma_f16 v58, v68, v76, v58
	;; [unrolled: 1-line block ×3, first 2 shown]
	s_wait_dscnt 0x0
	v_pk_fma_f16 v161, v51, v56, v55
	v_pk_fma_f16 v162, v51, v67, v66
	;; [unrolled: 1-line block ×4, first 2 shown]
	v_add_nc_u32_e32 v45, 0x3000, v11
	v_add_nc_u32_e32 v44, 0x3800, v11
	s_wait_alu 0xfffd
	v_add_co_ci_u32_e64 v150, null, 0, v144, vcc_lo
	v_add_co_u32 v153, vcc_lo, v147, v43
	s_wait_alu 0xfffd
	v_add_co_ci_u32_e64 v154, null, 0, v148, vcc_lo
	v_pk_fma_f16 v163, v52, v56, v65
	v_pk_fma_f16 v164, v52, v67, v58
	v_lshrrev_b32_e32 v165, 16, v71
	v_lshrrev_b32_e32 v166, 16, v72
	v_and_b32_e32 v167, 0xffff, v71
	v_and_b32_e32 v168, 0xffff, v72
	ds_load_2addr_b64 v[55:58], v50 offset0:128 offset1:160
	ds_load_2addr_b64 v[65:68], v50 offset0:192 offset1:224
	ds_load_b128 v[69:72], v38 offset:352
	ds_load_b128 v[73:76], v38 offset:368
	ds_load_2addr_b64 v[77:80], v45 offset1:32
	ds_load_2addr_b64 v[81:84], v45 offset0:64 offset1:96
	ds_load_b128 v[85:88], v38 offset:384
	ds_load_b128 v[89:92], v38 offset:400
	ds_load_2addr_b64 v[93:96], v45 offset0:128 offset1:160
	ds_load_2addr_b64 v[97:100], v45 offset0:192 offset1:224
	ds_load_b128 v[101:104], v38 offset:416
	ds_load_b128 v[105:108], v38 offset:432
	ds_load_2addr_b64 v[109:112], v44 offset1:32
	ds_load_2addr_b64 v[113:116], v44 offset0:64 offset1:96
	ds_load_b128 v[117:120], v38 offset:448
	ds_load_b128 v[121:124], v38 offset:464
	ds_load_2addr_b64 v[125:128], v44 offset0:128 offset1:160
	ds_load_2addr_b64 v[129:132], v44 offset0:192 offset1:224
	ds_load_b128 v[133:136], v38 offset:480
	ds_load_b128 v[137:140], v38 offset:496
	s_wait_loadcnt_dscnt 0x0
	s_barrier_signal -1
	s_barrier_wait -1
	global_inv scope:SCOPE_SE
	s_clause 0x3
	global_load_b128 v[141:144], v[141:142], off
	global_load_b128 v[145:148], v[145:146], off
	;; [unrolled: 1-line block ×4, first 2 shown]
	v_pk_fma_f16 v157, v52, v158, v157
	v_mul_u32_u24_e32 v158, 0x10001, v167
	v_mul_u32_u24_e32 v165, 0x10001, v165
	;; [unrolled: 1-line block ×4, first 2 shown]
	v_pk_fma_f16 v52, v52, v159, v160
	v_pk_fma_f16 v159, v53, v158, v161
	;; [unrolled: 1-line block ×3, first 2 shown]
	v_and_b32_e32 v161, 0xffff, v69
	v_lshrrev_b32_e32 v69, 16, v69
	v_and_b32_e32 v162, 0xffff, v70
	v_lshrrev_b32_e32 v70, 16, v70
	v_pk_fma_f16 v59, v53, v167, v59
	v_pk_fma_f16 v51, v53, v166, v51
	v_pk_fma_f16 v53, v54, v158, v163
	v_pk_fma_f16 v158, v54, v165, v164
	v_mul_u32_u24_e32 v161, 0x10001, v161
	v_mul_u32_u24_e32 v69, 0x10001, v69
	;; [unrolled: 1-line block ×4, first 2 shown]
	v_pk_fma_f16 v157, v54, v167, v157
	v_pk_fma_f16 v52, v54, v166, v52
	;; [unrolled: 1-line block ×7, first 2 shown]
	v_and_b32_e32 v69, 0xffff, v71
	v_lshrrev_b32_e32 v71, 16, v71
	v_and_b32_e32 v158, 0xffff, v72
	v_lshrrev_b32_e32 v72, 16, v72
	v_pk_fma_f16 v53, v56, v161, v53
	v_mul_u32_u24_e32 v69, 0x10001, v69
	v_mul_u32_u24_e32 v71, 0x10001, v71
	;; [unrolled: 1-line block ×4, first 2 shown]
	v_pk_fma_f16 v157, v56, v162, v157
	v_pk_fma_f16 v52, v56, v70, v52
	;; [unrolled: 1-line block ×6, first 2 shown]
	v_and_b32_e32 v57, 0xffff, v73
	v_pk_fma_f16 v53, v58, v69, v53
	v_and_b32_e32 v70, 0xffff, v74
	v_lshrrev_b32_e32 v69, 16, v73
	v_pk_fma_f16 v55, v58, v71, v55
	v_mul_u32_u24_e32 v57, 0x10001, v57
	v_pk_fma_f16 v73, v58, v158, v157
	v_mul_u32_u24_e32 v70, 0x10001, v70
	v_mul_u32_u24_e32 v69, 0x10001, v69
	v_pk_fma_f16 v52, v58, v72, v52
	v_pk_fma_f16 v54, v65, v57, v54
	;; [unrolled: 1-line block ×3, first 2 shown]
	v_and_b32_e32 v57, 0xffff, v75
	v_pk_fma_f16 v58, v65, v70, v59
	v_lshrrev_b32_e32 v59, 16, v75
	v_pk_fma_f16 v56, v65, v69, v56
	v_pk_fma_f16 v55, v66, v69, v55
	v_mul_u32_u24_e32 v57, 0x10001, v57
	v_lshrrev_b32_e32 v71, 16, v74
	v_mul_u32_u24_e32 v59, 0x10001, v59
	v_lshrrev_b32_e32 v69, 16, v76
	v_pk_fma_f16 v70, v66, v70, v73
	v_pk_fma_f16 v54, v67, v57, v54
	;; [unrolled: 1-line block ×3, first 2 shown]
	v_and_b32_e32 v57, 0xffff, v85
	v_pk_fma_f16 v56, v67, v59, v56
	v_pk_fma_f16 v55, v68, v59, v55
	v_lshrrev_b32_e32 v59, 16, v85
	v_mul_u32_u24_e32 v71, 0x10001, v71
	v_mul_u32_u24_e32 v57, 0x10001, v57
	;; [unrolled: 1-line block ×3, first 2 shown]
	s_wait_loadcnt 0x3
	ds_store_b128 v37, v[141:144]
	s_wait_loadcnt 0x2
	ds_store_b128 v39, v[145:148]
	;; [unrolled: 2-line block ×4, first 2 shown]
	v_mul_u32_u24_e32 v59, 0x10001, v59
	v_pk_fma_f16 v54, v77, v57, v54
	v_pk_fma_f16 v53, v78, v57, v53
	v_and_b32_e32 v57, 0xffff, v87
	v_pk_fma_f16 v51, v65, v71, v51
	v_pk_fma_f16 v56, v77, v59, v56
	;; [unrolled: 1-line block ×3, first 2 shown]
	v_lshrrev_b32_e32 v59, 16, v87
	v_mul_u32_u24_e32 v57, 0x10001, v57
	v_and_b32_e32 v65, 0xffff, v76
	v_pk_fma_f16 v52, v66, v71, v52
	v_pk_fma_f16 v51, v67, v69, v51
	v_mul_u32_u24_e32 v59, 0x10001, v59
	v_pk_fma_f16 v54, v79, v57, v54
	v_pk_fma_f16 v53, v80, v57, v53
	v_and_b32_e32 v57, 0xffff, v89
	v_mul_u32_u24_e32 v65, 0x10001, v65
	v_pk_fma_f16 v56, v79, v59, v56
	v_pk_fma_f16 v55, v80, v59, v55
	v_lshrrev_b32_e32 v59, 16, v89
	v_mul_u32_u24_e32 v57, 0x10001, v57
	v_pk_fma_f16 v58, v67, v65, v58
	v_and_b32_e32 v66, 0xffff, v86
	v_lshrrev_b32_e32 v67, 16, v86
	v_mul_u32_u24_e32 v59, 0x10001, v59
	v_pk_fma_f16 v54, v81, v57, v54
	v_pk_fma_f16 v53, v82, v57, v53
	v_and_b32_e32 v57, 0xffff, v91
	v_pk_fma_f16 v65, v68, v65, v70
	v_pk_fma_f16 v56, v81, v59, v56
	;; [unrolled: 1-line block ×3, first 2 shown]
	v_lshrrev_b32_e32 v59, 16, v91
	v_mul_u32_u24_e32 v57, 0x10001, v57
	v_mul_u32_u24_e32 v66, 0x10001, v66
	;; [unrolled: 1-line block ×3, first 2 shown]
	v_pk_fma_f16 v52, v68, v69, v52
	v_mul_u32_u24_e32 v59, 0x10001, v59
	v_pk_fma_f16 v54, v83, v57, v54
	v_pk_fma_f16 v53, v84, v57, v53
	v_and_b32_e32 v57, 0xffff, v101
	v_and_b32_e32 v68, 0xffff, v88
	v_pk_fma_f16 v56, v83, v59, v56
	v_pk_fma_f16 v55, v84, v59, v55
	v_lshrrev_b32_e32 v59, 16, v101
	v_mul_u32_u24_e32 v57, 0x10001, v57
	v_lshrrev_b32_e32 v69, 16, v88
	v_pk_fma_f16 v58, v77, v66, v58
	v_pk_fma_f16 v51, v77, v67, v51
	v_mul_u32_u24_e32 v59, 0x10001, v59
	v_pk_fma_f16 v54, v93, v57, v54
	v_pk_fma_f16 v53, v94, v57, v53
	v_and_b32_e32 v57, 0xffff, v103
	v_pk_fma_f16 v65, v78, v66, v65
	v_pk_fma_f16 v56, v93, v59, v56
	;; [unrolled: 1-line block ×3, first 2 shown]
	v_lshrrev_b32_e32 v59, 16, v103
	v_mul_u32_u24_e32 v57, 0x10001, v57
	v_mul_u32_u24_e32 v66, 0x10001, v68
	;; [unrolled: 1-line block ×3, first 2 shown]
	v_pk_fma_f16 v52, v78, v67, v52
	v_mul_u32_u24_e32 v59, 0x10001, v59
	v_pk_fma_f16 v54, v95, v57, v54
	v_pk_fma_f16 v53, v96, v57, v53
	v_and_b32_e32 v57, 0xffff, v105
	v_and_b32_e32 v67, 0xffff, v90
	v_pk_fma_f16 v56, v95, v59, v56
	v_pk_fma_f16 v55, v96, v59, v55
	v_lshrrev_b32_e32 v59, 16, v105
	v_mul_u32_u24_e32 v57, 0x10001, v57
	v_lshrrev_b32_e32 v69, 16, v90
	v_pk_fma_f16 v58, v79, v66, v58
	v_pk_fma_f16 v51, v79, v68, v51
	v_mul_u32_u24_e32 v59, 0x10001, v59
	v_pk_fma_f16 v54, v97, v57, v54
	v_pk_fma_f16 v53, v98, v57, v53
	v_and_b32_e32 v57, 0xffff, v107
	v_pk_fma_f16 v65, v80, v66, v65
	v_pk_fma_f16 v56, v97, v59, v56
	;; [unrolled: 1-line block ×3, first 2 shown]
	v_lshrrev_b32_e32 v59, 16, v107
	v_mul_u32_u24_e32 v57, 0x10001, v57
	v_mul_u32_u24_e32 v66, 0x10001, v67
	;; [unrolled: 1-line block ×3, first 2 shown]
	v_pk_fma_f16 v52, v80, v68, v52
	v_mul_u32_u24_e32 v59, 0x10001, v59
	v_pk_fma_f16 v54, v99, v57, v54
	v_pk_fma_f16 v53, v100, v57, v53
	v_and_b32_e32 v57, 0xffff, v117
	v_and_b32_e32 v68, 0xffff, v92
	v_lshrrev_b32_e32 v69, 16, v92
	v_pk_fma_f16 v56, v99, v59, v56
	v_pk_fma_f16 v55, v100, v59, v55
	v_lshrrev_b32_e32 v59, 16, v117
	v_mul_u32_u24_e32 v57, 0x10001, v57
	v_pk_fma_f16 v58, v81, v66, v58
	v_pk_fma_f16 v51, v81, v67, v51
	v_pk_fma_f16 v65, v82, v66, v65
	v_mul_u32_u24_e32 v66, 0x10001, v68
	v_mul_u32_u24_e32 v68, 0x10001, v69
	v_pk_fma_f16 v52, v82, v67, v52
	v_and_b32_e32 v67, 0xffff, v102
	v_lshrrev_b32_e32 v69, 16, v102
	v_mul_u32_u24_e32 v59, 0x10001, v59
	v_pk_fma_f16 v54, v109, v57, v54
	v_pk_fma_f16 v53, v110, v57, v53
	v_and_b32_e32 v57, 0xffff, v119
	v_pk_fma_f16 v58, v83, v66, v58
	v_pk_fma_f16 v51, v83, v68, v51
	v_pk_fma_f16 v65, v84, v66, v65
	v_mul_u32_u24_e32 v66, 0x10001, v67
	v_mul_u32_u24_e32 v67, 0x10001, v69
	v_pk_fma_f16 v52, v84, v68, v52
	v_and_b32_e32 v68, 0xffff, v104
	v_lshrrev_b32_e32 v69, 16, v104
	v_pk_fma_f16 v56, v109, v59, v56
	v_pk_fma_f16 v55, v110, v59, v55
	v_lshrrev_b32_e32 v59, 16, v119
	v_mul_u32_u24_e32 v57, 0x10001, v57
	v_pk_fma_f16 v58, v93, v66, v58
	v_pk_fma_f16 v51, v93, v67, v51
	v_pk_fma_f16 v65, v94, v66, v65
	v_mul_u32_u24_e32 v66, 0x10001, v68
	v_mul_u32_u24_e32 v68, 0x10001, v69
	v_pk_fma_f16 v52, v94, v67, v52
	v_and_b32_e32 v67, 0xffff, v106
	v_lshrrev_b32_e32 v69, 16, v106
	v_mul_u32_u24_e32 v59, 0x10001, v59
	v_pk_fma_f16 v54, v111, v57, v54
	v_pk_fma_f16 v53, v112, v57, v53
	v_and_b32_e32 v57, 0xffff, v121
	v_pk_fma_f16 v58, v95, v66, v58
	v_pk_fma_f16 v51, v95, v68, v51
	v_pk_fma_f16 v65, v96, v66, v65
	v_mul_u32_u24_e32 v66, 0x10001, v67
	v_mul_u32_u24_e32 v67, 0x10001, v69
	v_pk_fma_f16 v52, v96, v68, v52
	;; [unrolled: 24-line block ×5, first 2 shown]
	v_pk_fma_f16 v56, v125, v59, v56
	v_pk_fma_f16 v55, v126, v59, v55
	v_lshrrev_b32_e32 v59, 16, v135
	v_and_b32_e32 v68, 0xffff, v136
	v_lshrrev_b32_e32 v69, 16, v136
	v_mul_u32_u24_e32 v57, 0x10001, v57
	v_pk_fma_f16 v58, v125, v66, v58
	v_pk_fma_f16 v51, v125, v67, v51
	;; [unrolled: 1-line block ×3, first 2 shown]
	v_mul_u32_u24_e32 v59, 0x10001, v59
	v_mul_u32_u24_e32 v66, 0x10001, v68
	;; [unrolled: 1-line block ×3, first 2 shown]
	v_pk_fma_f16 v52, v126, v67, v52
	v_pk_fma_f16 v54, v127, v57, v54
	;; [unrolled: 1-line block ×3, first 2 shown]
	v_and_b32_e32 v57, 0xffff, v137
	v_and_b32_e32 v67, 0xffff, v138
	v_lshrrev_b32_e32 v69, 16, v138
	v_pk_fma_f16 v56, v127, v59, v56
	v_pk_fma_f16 v58, v127, v66, v58
	;; [unrolled: 1-line block ×4, first 2 shown]
	v_lshrrev_b32_e32 v59, 16, v137
	v_pk_fma_f16 v65, v128, v66, v65
	v_mul_u32_u24_e32 v57, 0x10001, v57
	v_mul_u32_u24_e32 v66, 0x10001, v67
	;; [unrolled: 1-line block ×4, first 2 shown]
	v_pk_fma_f16 v68, v128, v68, v52
	v_pk_fma_f16 v69, v129, v57, v54
	;; [unrolled: 1-line block ×4, first 2 shown]
	s_wait_dscnt 0x0
	s_barrier_signal -1
	s_barrier_wait -1
	global_inv scope:SCOPE_SE
	ds_load_b128 v[51:54], v38 offset:512
	v_pk_fma_f16 v70, v129, v59, v56
	v_pk_fma_f16 v71, v129, v66, v58
	;; [unrolled: 1-line block ×3, first 2 shown]
	v_and_b32_e32 v55, 0xffff, v139
	v_lshrrev_b32_e32 v56, 16, v139
	v_and_b32_e32 v57, 0xffff, v140
	v_lshrrev_b32_e32 v58, 16, v140
	v_pk_fma_f16 v65, v130, v66, v65
	v_pk_fma_f16 v74, v130, v67, v68
	v_mul_u32_u24_e32 v66, 0x10001, v55
	v_mul_u32_u24_e32 v67, 0x10001, v56
	;; [unrolled: 1-line block ×4, first 2 shown]
	ds_load_2addr_b64 v[55:58], v11 offset1:32
	v_pk_fma_f16 v77, v131, v66, v69
	v_pk_fma_f16 v78, v131, v67, v70
	;; [unrolled: 1-line block ×6, first 2 shown]
	ds_load_b128 v[65:68], v38 offset:528
	s_wait_dscnt 0x2
	v_and_b32_e32 v69, 0xffff, v51
	v_lshrrev_b32_e32 v51, 16, v51
	v_and_b32_e32 v70, 0xffff, v52
	v_lshrrev_b32_e32 v52, 16, v52
	v_pk_fma_f16 v80, v131, v75, v72
	v_mul_u32_u24_e32 v84, 0x10001, v69
	v_mul_u32_u24_e32 v51, 0x10001, v51
	;; [unrolled: 1-line block ×4, first 2 shown]
	v_lshrrev_b32_e32 v52, 16, v53
	v_pk_fma_f16 v83, v132, v75, v74
	ds_load_b128 v[69:72], v38 offset:544
	ds_load_b128 v[73:76], v38 offset:560
	s_wait_dscnt 0x3
	v_pk_fma_f16 v78, v55, v51, v78
	v_pk_fma_f16 v59, v56, v51, v59
	v_and_b32_e32 v51, 0xffff, v53
	v_pk_fma_f16 v77, v55, v84, v77
	v_pk_fma_f16 v79, v55, v85, v79
	;; [unrolled: 1-line block ×5, first 2 shown]
	v_and_b32_e32 v82, 0xffff, v54
	v_lshrrev_b32_e32 v84, 16, v54
	v_mul_u32_u24_e32 v85, 0x10001, v51
	v_mul_u32_u24_e32 v87, 0x10001, v52
	ds_load_2addr_b64 v[51:54], v11 offset0:64 offset1:96
	v_mul_u32_u24_e32 v82, 0x10001, v82
	v_mul_u32_u24_e32 v84, 0x10001, v84
	v_pk_fma_f16 v56, v56, v86, v83
	v_pk_fma_f16 v77, v57, v85, v77
	;; [unrolled: 1-line block ×6, first 2 shown]
	s_wait_dscnt 0x3
	v_and_b32_e32 v80, 0xffff, v65
	v_lshrrev_b32_e32 v65, 16, v65
	v_and_b32_e32 v83, 0xffff, v66
	v_lshrrev_b32_e32 v66, 16, v66
	v_pk_fma_f16 v81, v58, v82, v81
	v_mul_u32_u24_e32 v80, 0x10001, v80
	v_mul_u32_u24_e32 v65, 0x10001, v65
	;; [unrolled: 1-line block ×4, first 2 shown]
	v_pk_fma_f16 v59, v58, v87, v59
	v_pk_fma_f16 v83, v58, v84, v56
	s_wait_dscnt 0x0
	v_pk_fma_f16 v77, v51, v80, v77
	v_pk_fma_f16 v78, v51, v65, v78
	;; [unrolled: 1-line block ×4, first 2 shown]
	v_and_b32_e32 v55, 0xffff, v67
	v_lshrrev_b32_e32 v56, 16, v67
	v_pk_fma_f16 v80, v52, v80, v57
	v_pk_fma_f16 v59, v52, v65, v59
	;; [unrolled: 1-line block ×3, first 2 shown]
	v_and_b32_e32 v67, 0xffff, v68
	v_lshrrev_b32_e32 v68, 16, v68
	v_mul_u32_u24_e32 v81, 0x10001, v55
	v_mul_u32_u24_e32 v82, 0x10001, v56
	ds_load_2addr_b64 v[55:58], v11 offset0:128 offset1:160
	v_mul_u32_u24_e32 v67, 0x10001, v67
	v_mul_u32_u24_e32 v68, 0x10001, v68
	v_pk_fma_f16 v52, v52, v66, v83
	v_pk_fma_f16 v66, v53, v81, v77
	;; [unrolled: 1-line block ×6, first 2 shown]
	v_and_b32_e32 v79, 0xffff, v69
	v_lshrrev_b32_e32 v69, 16, v69
	v_and_b32_e32 v80, 0xffff, v70
	v_lshrrev_b32_e32 v70, 16, v70
	v_pk_fma_f16 v65, v54, v67, v65
	v_mul_u32_u24_e32 v67, 0x10001, v79
	v_mul_u32_u24_e32 v69, 0x10001, v69
	;; [unrolled: 1-line block ×4, first 2 shown]
	v_pk_fma_f16 v59, v54, v82, v59
	v_pk_fma_f16 v68, v54, v68, v52
	s_wait_dscnt 0x0
	v_pk_fma_f16 v66, v55, v67, v66
	v_pk_fma_f16 v77, v55, v69, v77
	;; [unrolled: 1-line block ×4, first 2 shown]
	v_and_b32_e32 v51, 0xffff, v71
	v_lshrrev_b32_e32 v52, 16, v71
	v_pk_fma_f16 v67, v56, v67, v53
	v_pk_fma_f16 v59, v56, v69, v59
	;; [unrolled: 1-line block ×3, first 2 shown]
	v_and_b32_e32 v69, 0xffff, v72
	v_lshrrev_b32_e32 v71, 16, v72
	v_mul_u32_u24_e32 v72, 0x10001, v51
	v_mul_u32_u24_e32 v79, 0x10001, v52
	ds_load_2addr_b64 v[51:54], v11 offset0:192 offset1:224
	v_mul_u32_u24_e32 v69, 0x10001, v69
	v_mul_u32_u24_e32 v71, 0x10001, v71
	v_pk_fma_f16 v56, v56, v70, v68
	v_pk_fma_f16 v66, v57, v72, v66
	;; [unrolled: 1-line block ×6, first 2 shown]
	v_and_b32_e32 v67, 0xffff, v73
	v_lshrrev_b32_e32 v72, 16, v73
	v_and_b32_e32 v73, 0xffff, v74
	v_lshrrev_b32_e32 v74, 16, v74
	v_pk_fma_f16 v65, v58, v69, v65
	v_mul_u32_u24_e32 v67, 0x10001, v67
	v_mul_u32_u24_e32 v69, 0x10001, v72
	v_mul_u32_u24_e32 v72, 0x10001, v73
	v_mul_u32_u24_e32 v73, 0x10001, v74
	v_pk_fma_f16 v59, v58, v79, v59
	v_pk_fma_f16 v71, v58, v71, v56
	s_wait_dscnt 0x0
	v_pk_fma_f16 v74, v51, v67, v66
	v_pk_fma_f16 v77, v51, v69, v68
	;; [unrolled: 1-line block ×5, first 2 shown]
	ds_load_b128 v[55:58], v38 offset:576
	v_and_b32_e32 v66, 0xffff, v75
	v_lshrrev_b32_e32 v67, 16, v75
	v_and_b32_e32 v68, 0xffff, v76
	v_pk_fma_f16 v59, v52, v69, v59
	v_pk_fma_f16 v75, v52, v72, v65
	v_lshrrev_b32_e32 v69, 16, v76
	v_mul_u32_u24_e32 v72, 0x10001, v66
	v_mul_u32_u24_e32 v76, 0x10001, v67
	;; [unrolled: 1-line block ×3, first 2 shown]
	ds_load_2addr_b64 v[65:68], v46 offset1:32
	v_mul_u32_u24_e32 v80, 0x10001, v69
	v_pk_fma_f16 v52, v52, v73, v71
	v_pk_fma_f16 v73, v53, v72, v74
	;; [unrolled: 1-line block ×7, first 2 shown]
	ds_load_b128 v[69:72], v38 offset:592
	s_wait_dscnt 0x2
	v_and_b32_e32 v76, 0xffff, v55
	v_lshrrev_b32_e32 v55, 16, v55
	v_and_b32_e32 v78, 0xffff, v56
	v_lshrrev_b32_e32 v56, 16, v56
	v_pk_fma_f16 v75, v54, v79, v75
	v_mul_u32_u24_e32 v76, 0x10001, v76
	v_mul_u32_u24_e32 v55, 0x10001, v55
	;; [unrolled: 1-line block ×4, first 2 shown]
	v_pk_fma_f16 v79, v54, v80, v52
	s_wait_dscnt 0x1
	v_pk_fma_f16 v73, v65, v76, v73
	v_pk_fma_f16 v74, v65, v55, v74
	;; [unrolled: 1-line block ×4, first 2 shown]
	v_and_b32_e32 v51, 0xffff, v57
	v_lshrrev_b32_e32 v52, 16, v57
	v_pk_fma_f16 v76, v66, v76, v53
	v_pk_fma_f16 v55, v66, v55, v59
	;; [unrolled: 1-line block ×3, first 2 shown]
	v_and_b32_e32 v59, 0xffff, v58
	v_lshrrev_b32_e32 v58, 16, v58
	v_mul_u32_u24_e32 v75, 0x10001, v51
	v_mul_u32_u24_e32 v78, 0x10001, v52
	ds_load_2addr_b64 v[51:54], v46 offset0:64 offset1:96
	v_mul_u32_u24_e32 v59, 0x10001, v59
	v_mul_u32_u24_e32 v58, 0x10001, v58
	v_pk_fma_f16 v56, v66, v56, v79
	v_pk_fma_f16 v66, v67, v75, v73
	;; [unrolled: 1-line block ×7, first 2 shown]
	s_wait_dscnt 0x1
	v_and_b32_e32 v55, 0xffff, v69
	v_lshrrev_b32_e32 v69, 16, v69
	v_and_b32_e32 v76, 0xffff, v70
	v_lshrrev_b32_e32 v70, 16, v70
	v_pk_fma_f16 v59, v68, v59, v57
	v_mul_u32_u24_e32 v55, 0x10001, v55
	v_mul_u32_u24_e32 v69, 0x10001, v69
	;; [unrolled: 1-line block ×4, first 2 shown]
	v_pk_fma_f16 v77, v68, v58, v56
	s_wait_dscnt 0x0
	v_pk_fma_f16 v78, v51, v55, v66
	v_pk_fma_f16 v79, v52, v55, v67
	ds_load_b128 v[55:58], v38 offset:608
	v_pk_fma_f16 v73, v51, v69, v73
	v_pk_fma_f16 v74, v51, v76, v74
	;; [unrolled: 1-line block ×3, first 2 shown]
	v_and_b32_e32 v65, 0xffff, v71
	v_lshrrev_b32_e32 v66, 16, v71
	v_and_b32_e32 v67, 0xffff, v72
	v_pk_fma_f16 v69, v52, v69, v75
	v_pk_fma_f16 v59, v52, v76, v59
	v_lshrrev_b32_e32 v71, 16, v72
	v_mul_u32_u24_e32 v72, 0x10001, v65
	v_mul_u32_u24_e32 v75, 0x10001, v66
	;; [unrolled: 1-line block ×3, first 2 shown]
	ds_load_2addr_b64 v[65:68], v46 offset0:128 offset1:160
	v_mul_u32_u24_e32 v80, 0x10001, v71
	v_pk_fma_f16 v52, v52, v70, v77
	v_pk_fma_f16 v77, v53, v72, v78
	;; [unrolled: 1-line block ×7, first 2 shown]
	ds_load_b128 v[69:72], v38 offset:624
	s_wait_dscnt 0x2
	v_and_b32_e32 v78, 0xffff, v55
	v_lshrrev_b32_e32 v55, 16, v55
	v_and_b32_e32 v79, 0xffff, v56
	v_lshrrev_b32_e32 v56, 16, v56
	v_pk_fma_f16 v59, v54, v76, v59
	v_mul_u32_u24_e32 v76, 0x10001, v78
	v_mul_u32_u24_e32 v55, 0x10001, v55
	;; [unrolled: 1-line block ×4, first 2 shown]
	v_pk_fma_f16 v79, v54, v80, v52
	s_wait_dscnt 0x1
	v_pk_fma_f16 v77, v65, v76, v77
	v_pk_fma_f16 v73, v65, v55, v73
	;; [unrolled: 1-line block ×4, first 2 shown]
	v_and_b32_e32 v51, 0xffff, v57
	v_lshrrev_b32_e32 v52, 16, v57
	v_pk_fma_f16 v76, v66, v76, v53
	v_pk_fma_f16 v55, v66, v55, v75
	;; [unrolled: 1-line block ×3, first 2 shown]
	v_and_b32_e32 v59, 0xffff, v58
	v_mul_u32_u24_e32 v75, 0x10001, v51
	v_mul_u32_u24_e32 v78, 0x10001, v52
	ds_load_2addr_b64 v[51:54], v46 offset0:192 offset1:224
	v_lshrrev_b32_e32 v58, 16, v58
	v_mul_u32_u24_e32 v46, 0x10001, v59
	v_pk_fma_f16 v56, v66, v56, v79
	v_pk_fma_f16 v66, v67, v78, v73
	;; [unrolled: 1-line block ×3, first 2 shown]
	v_mul_u32_u24_e32 v58, 0x10001, v58
	v_pk_fma_f16 v73, v67, v46, v74
	v_pk_fma_f16 v74, v68, v78, v55
	s_wait_dscnt 0x1
	v_and_b32_e32 v55, 0xffff, v69
	v_lshrrev_b32_e32 v69, 16, v69
	v_pk_fma_f16 v65, v67, v58, v65
	v_pk_fma_f16 v67, v68, v75, v76
	v_and_b32_e32 v75, 0xffff, v70
	v_lshrrev_b32_e32 v70, 16, v70
	v_mul_u32_u24_e32 v55, 0x10001, v55
	v_pk_fma_f16 v46, v68, v46, v57
	v_mul_u32_u24_e32 v69, 0x10001, v69
	v_mul_u32_u24_e32 v75, 0x10001, v75
	;; [unrolled: 1-line block ×3, first 2 shown]
	v_pk_fma_f16 v76, v68, v58, v56
	s_wait_dscnt 0x0
	v_pk_fma_f16 v59, v51, v55, v59
	v_pk_fma_f16 v78, v52, v55, v67
	ds_load_b128 v[55:58], v38 offset:640
	v_pk_fma_f16 v77, v51, v69, v66
	v_pk_fma_f16 v73, v51, v75, v73
	;; [unrolled: 1-line block ×3, first 2 shown]
	v_and_b32_e32 v65, 0xffff, v71
	v_lshrrev_b32_e32 v66, 16, v71
	v_and_b32_e32 v67, 0xffff, v72
	v_pk_fma_f16 v69, v52, v69, v74
	v_pk_fma_f16 v46, v52, v75, v46
	v_lshrrev_b32_e32 v71, 16, v72
	v_mul_u32_u24_e32 v72, 0x10001, v65
	v_mul_u32_u24_e32 v74, 0x10001, v66
	;; [unrolled: 1-line block ×3, first 2 shown]
	ds_load_2addr_b64 v[65:68], v47 offset1:32
	v_mul_u32_u24_e32 v79, 0x10001, v71
	v_pk_fma_f16 v52, v52, v70, v76
	v_pk_fma_f16 v59, v53, v72, v59
	;; [unrolled: 1-line block ×7, first 2 shown]
	ds_load_b128 v[69:72], v38 offset:656
	s_wait_dscnt 0x2
	v_and_b32_e32 v77, 0xffff, v55
	v_lshrrev_b32_e32 v55, 16, v55
	v_and_b32_e32 v78, 0xffff, v56
	v_lshrrev_b32_e32 v56, 16, v56
	v_pk_fma_f16 v46, v54, v75, v46
	v_mul_u32_u24_e32 v75, 0x10001, v77
	v_mul_u32_u24_e32 v55, 0x10001, v55
	;; [unrolled: 1-line block ×4, first 2 shown]
	v_pk_fma_f16 v78, v54, v79, v52
	s_wait_dscnt 0x1
	v_pk_fma_f16 v59, v65, v75, v59
	v_pk_fma_f16 v76, v65, v55, v76
	;; [unrolled: 1-line block ×4, first 2 shown]
	v_and_b32_e32 v51, 0xffff, v57
	v_lshrrev_b32_e32 v52, 16, v57
	v_pk_fma_f16 v75, v66, v75, v53
	v_pk_fma_f16 v55, v66, v55, v74
	v_pk_fma_f16 v46, v66, v77, v46
	v_and_b32_e32 v57, 0xffff, v58
	v_lshrrev_b32_e32 v58, 16, v58
	v_mul_u32_u24_e32 v74, 0x10001, v51
	v_mul_u32_u24_e32 v77, 0x10001, v52
	ds_load_2addr_b64 v[51:54], v47 offset0:64 offset1:96
	v_mul_u32_u24_e32 v57, 0x10001, v57
	v_mul_u32_u24_e32 v58, 0x10001, v58
	v_pk_fma_f16 v56, v66, v56, v78
	v_pk_fma_f16 v59, v67, v74, v59
	;; [unrolled: 1-line block ×7, first 2 shown]
	s_wait_dscnt 0x1
	v_and_b32_e32 v55, 0xffff, v69
	v_lshrrev_b32_e32 v69, 16, v69
	v_and_b32_e32 v75, 0xffff, v70
	v_lshrrev_b32_e32 v70, 16, v70
	v_pk_fma_f16 v46, v68, v57, v46
	v_mul_u32_u24_e32 v55, 0x10001, v55
	v_mul_u32_u24_e32 v69, 0x10001, v69
	;; [unrolled: 1-line block ×4, first 2 shown]
	v_pk_fma_f16 v76, v68, v58, v56
	s_wait_dscnt 0x0
	v_pk_fma_f16 v59, v51, v55, v59
	v_pk_fma_f16 v78, v52, v55, v67
	ds_load_b128 v[55:58], v38 offset:672
	v_pk_fma_f16 v77, v51, v69, v66
	v_pk_fma_f16 v73, v51, v75, v73
	;; [unrolled: 1-line block ×3, first 2 shown]
	v_and_b32_e32 v65, 0xffff, v71
	v_lshrrev_b32_e32 v66, 16, v71
	v_and_b32_e32 v67, 0xffff, v72
	v_pk_fma_f16 v69, v52, v69, v74
	v_pk_fma_f16 v46, v52, v75, v46
	v_lshrrev_b32_e32 v71, 16, v72
	v_mul_u32_u24_e32 v72, 0x10001, v65
	v_mul_u32_u24_e32 v74, 0x10001, v66
	;; [unrolled: 1-line block ×3, first 2 shown]
	ds_load_2addr_b64 v[65:68], v47 offset0:128 offset1:160
	v_mul_u32_u24_e32 v79, 0x10001, v71
	v_pk_fma_f16 v52, v52, v70, v76
	v_pk_fma_f16 v59, v53, v72, v59
	;; [unrolled: 1-line block ×7, first 2 shown]
	ds_load_b128 v[69:72], v38 offset:688
	s_wait_dscnt 0x2
	v_and_b32_e32 v77, 0xffff, v55
	v_lshrrev_b32_e32 v55, 16, v55
	v_and_b32_e32 v78, 0xffff, v56
	v_lshrrev_b32_e32 v56, 16, v56
	v_pk_fma_f16 v46, v54, v75, v46
	v_mul_u32_u24_e32 v75, 0x10001, v77
	v_mul_u32_u24_e32 v55, 0x10001, v55
	;; [unrolled: 1-line block ×4, first 2 shown]
	v_pk_fma_f16 v78, v54, v79, v52
	s_wait_dscnt 0x1
	v_pk_fma_f16 v59, v65, v75, v59
	v_pk_fma_f16 v76, v65, v55, v76
	;; [unrolled: 1-line block ×4, first 2 shown]
	v_and_b32_e32 v51, 0xffff, v57
	v_lshrrev_b32_e32 v52, 16, v57
	v_pk_fma_f16 v75, v66, v75, v53
	v_pk_fma_f16 v55, v66, v55, v74
	;; [unrolled: 1-line block ×3, first 2 shown]
	v_and_b32_e32 v57, 0xffff, v58
	v_mul_u32_u24_e32 v74, 0x10001, v51
	v_mul_u32_u24_e32 v77, 0x10001, v52
	ds_load_2addr_b64 v[51:54], v47 offset0:192 offset1:224
	v_lshrrev_b32_e32 v58, 16, v58
	v_mul_u32_u24_e32 v47, 0x10001, v57
	v_pk_fma_f16 v56, v66, v56, v78
	s_delay_alu instid0(VALU_DEP_3) | instskip(NEXT) | instid1(VALU_DEP_3)
	v_mul_u32_u24_e32 v57, 0x10001, v58
	v_pk_fma_f16 v66, v67, v47, v73
	v_pk_fma_f16 v73, v68, v77, v55
	s_wait_dscnt 0x1
	v_and_b32_e32 v55, 0xffff, v69
	v_pk_fma_f16 v58, v67, v74, v59
	v_pk_fma_f16 v59, v67, v77, v76
	;; [unrolled: 1-line block ×4, first 2 shown]
	v_lshrrev_b32_e32 v69, 16, v69
	v_and_b32_e32 v74, 0xffff, v70
	v_lshrrev_b32_e32 v70, 16, v70
	v_pk_fma_f16 v46, v68, v47, v46
	v_mul_u32_u24_e32 v47, 0x10001, v55
	v_mul_u32_u24_e32 v69, 0x10001, v69
	;; [unrolled: 1-line block ×4, first 2 shown]
	v_pk_fma_f16 v75, v68, v57, v56
	s_wait_dscnt 0x0
	v_pk_fma_f16 v76, v51, v47, v58
	ds_load_b128 v[55:58], v38 offset:704
	v_pk_fma_f16 v59, v51, v69, v59
	v_pk_fma_f16 v77, v51, v74, v66
	;; [unrolled: 1-line block ×4, first 2 shown]
	v_and_b32_e32 v65, 0xffff, v71
	v_lshrrev_b32_e32 v66, 16, v71
	v_and_b32_e32 v67, 0xffff, v72
	v_pk_fma_f16 v69, v52, v69, v73
	v_pk_fma_f16 v46, v52, v74, v46
	v_lshrrev_b32_e32 v71, 16, v72
	v_mul_u32_u24_e32 v72, 0x10001, v65
	v_mul_u32_u24_e32 v73, 0x10001, v66
	;; [unrolled: 1-line block ×3, first 2 shown]
	ds_load_2addr_b64 v[65:68], v48 offset1:32
	v_mul_u32_u24_e32 v78, 0x10001, v71
	v_pk_fma_f16 v52, v52, v70, v75
	v_pk_fma_f16 v75, v53, v72, v76
	;; [unrolled: 1-line block ×7, first 2 shown]
	ds_load_b128 v[69:72], v38 offset:720
	s_wait_dscnt 0x2
	v_and_b32_e32 v73, 0xffff, v55
	v_lshrrev_b32_e32 v55, 16, v55
	v_and_b32_e32 v77, 0xffff, v56
	v_lshrrev_b32_e32 v56, 16, v56
	v_pk_fma_f16 v46, v54, v74, v46
	v_mul_u32_u24_e32 v73, 0x10001, v73
	v_mul_u32_u24_e32 v55, 0x10001, v55
	;; [unrolled: 1-line block ×4, first 2 shown]
	v_pk_fma_f16 v77, v54, v78, v52
	s_wait_dscnt 0x1
	v_pk_fma_f16 v75, v65, v73, v75
	v_pk_fma_f16 v59, v65, v55, v59
	;; [unrolled: 1-line block ×4, first 2 shown]
	v_and_b32_e32 v51, 0xffff, v57
	v_lshrrev_b32_e32 v52, 16, v57
	v_pk_fma_f16 v47, v66, v73, v47
	v_pk_fma_f16 v55, v66, v55, v53
	;; [unrolled: 1-line block ×3, first 2 shown]
	v_and_b32_e32 v57, 0xffff, v58
	v_lshrrev_b32_e32 v58, 16, v58
	v_mul_u32_u24_e32 v73, 0x10001, v51
	v_mul_u32_u24_e32 v74, 0x10001, v52
	ds_load_2addr_b64 v[51:54], v48 offset0:64 offset1:96
	v_mul_u32_u24_e32 v57, 0x10001, v57
	v_mul_u32_u24_e32 v58, 0x10001, v58
	v_pk_fma_f16 v56, v66, v56, v77
	v_pk_fma_f16 v66, v67, v73, v75
	;; [unrolled: 1-line block ×6, first 2 shown]
	s_wait_dscnt 0x1
	v_and_b32_e32 v55, 0xffff, v69
	v_pk_fma_f16 v47, v68, v73, v47
	v_lshrrev_b32_e32 v69, 16, v69
	v_and_b32_e32 v73, 0xffff, v70
	v_lshrrev_b32_e32 v70, 16, v70
	v_mul_u32_u24_e32 v55, 0x10001, v55
	v_pk_fma_f16 v46, v68, v57, v46
	v_mul_u32_u24_e32 v69, 0x10001, v69
	v_mul_u32_u24_e32 v73, 0x10001, v73
	;; [unrolled: 1-line block ×3, first 2 shown]
	v_pk_fma_f16 v74, v68, v58, v56
	s_wait_dscnt 0x0
	v_pk_fma_f16 v76, v51, v55, v66
	v_pk_fma_f16 v47, v52, v55, v47
	ds_load_b128 v[55:58], v38 offset:736
	v_pk_fma_f16 v59, v51, v69, v59
	v_pk_fma_f16 v75, v51, v73, v75
	;; [unrolled: 1-line block ×4, first 2 shown]
	v_and_b32_e32 v65, 0xffff, v71
	v_lshrrev_b32_e32 v66, 16, v71
	v_and_b32_e32 v67, 0xffff, v72
	v_pk_fma_f16 v46, v52, v73, v46
	v_lshrrev_b32_e32 v71, 16, v72
	v_mul_u32_u24_e32 v72, 0x10001, v65
	v_mul_u32_u24_e32 v73, 0x10001, v66
	;; [unrolled: 1-line block ×3, first 2 shown]
	ds_load_2addr_b64 v[65:68], v48 offset0:128 offset1:160
	v_mul_u32_u24_e32 v78, 0x10001, v71
	v_pk_fma_f16 v52, v52, v70, v74
	v_pk_fma_f16 v74, v53, v72, v76
	;; [unrolled: 1-line block ×7, first 2 shown]
	ds_load_b128 v[69:72], v38 offset:752
	s_wait_dscnt 0x2
	v_and_b32_e32 v73, 0xffff, v55
	v_lshrrev_b32_e32 v55, 16, v55
	v_and_b32_e32 v76, 0xffff, v56
	v_lshrrev_b32_e32 v56, 16, v56
	v_pk_fma_f16 v46, v54, v77, v46
	v_mul_u32_u24_e32 v73, 0x10001, v73
	v_mul_u32_u24_e32 v55, 0x10001, v55
	;; [unrolled: 1-line block ×4, first 2 shown]
	v_pk_fma_f16 v77, v54, v78, v52
	s_wait_dscnt 0x1
	v_pk_fma_f16 v74, v65, v73, v74
	v_pk_fma_f16 v59, v65, v55, v59
	v_pk_fma_f16 v75, v65, v76, v75
	v_pk_fma_f16 v65, v65, v56, v51
	v_and_b32_e32 v51, 0xffff, v57
	v_lshrrev_b32_e32 v52, 16, v57
	v_pk_fma_f16 v47, v66, v73, v47
	v_pk_fma_f16 v55, v66, v55, v53
	;; [unrolled: 1-line block ×3, first 2 shown]
	v_and_b32_e32 v57, 0xffff, v58
	v_lshrrev_b32_e32 v58, 16, v58
	v_mul_u32_u24_e32 v73, 0x10001, v51
	v_mul_u32_u24_e32 v76, 0x10001, v52
	ds_load_2addr_b64 v[51:54], v48 offset0:192 offset1:224
	v_mul_u32_u24_e32 v48, 0x10001, v57
	v_mul_u32_u24_e32 v57, 0x10001, v58
	v_pk_fma_f16 v56, v66, v56, v77
	v_pk_fma_f16 v58, v67, v73, v74
	;; [unrolled: 1-line block ×6, first 2 shown]
	s_wait_dscnt 0x1
	v_and_b32_e32 v55, 0xffff, v69
	v_pk_fma_f16 v47, v68, v73, v47
	v_lshrrev_b32_e32 v69, 16, v69
	v_and_b32_e32 v73, 0xffff, v70
	v_lshrrev_b32_e32 v70, 16, v70
	v_pk_fma_f16 v46, v68, v48, v46
	v_mul_u32_u24_e32 v48, 0x10001, v55
	v_mul_u32_u24_e32 v69, 0x10001, v69
	;; [unrolled: 1-line block ×4, first 2 shown]
	v_pk_fma_f16 v74, v68, v57, v56
	s_wait_dscnt 0x0
	v_pk_fma_f16 v75, v51, v48, v58
	ds_load_b128 v[55:58], v38 offset:768
	v_pk_fma_f16 v59, v51, v69, v59
	v_pk_fma_f16 v76, v51, v73, v66
	;; [unrolled: 1-line block ×5, first 2 shown]
	v_and_b32_e32 v65, 0xffff, v71
	v_lshrrev_b32_e32 v66, 16, v71
	v_and_b32_e32 v67, 0xffff, v72
	v_pk_fma_f16 v46, v52, v73, v46
	v_lshrrev_b32_e32 v69, 16, v72
	v_mul_u32_u24_e32 v71, 0x10001, v65
	v_mul_u32_u24_e32 v72, 0x10001, v66
	;; [unrolled: 1-line block ×3, first 2 shown]
	ds_load_2addr_b64 v[65:68], v49 offset1:32
	v_mul_u32_u24_e32 v77, 0x10001, v69
	v_pk_fma_f16 v52, v52, v70, v74
	v_pk_fma_f16 v74, v53, v71, v75
	;; [unrolled: 1-line block ×7, first 2 shown]
	ds_load_b128 v[69:72], v38 offset:784
	s_wait_dscnt 0x2
	v_and_b32_e32 v53, 0xffff, v55
	v_lshrrev_b32_e32 v55, 16, v55
	v_and_b32_e32 v76, 0xffff, v56
	v_lshrrev_b32_e32 v56, 16, v56
	v_pk_fma_f16 v46, v54, v73, v46
	v_mul_u32_u24_e32 v53, 0x10001, v53
	v_mul_u32_u24_e32 v55, 0x10001, v55
	;; [unrolled: 1-line block ×4, first 2 shown]
	v_pk_fma_f16 v76, v54, v77, v52
	s_wait_dscnt 0x1
	v_pk_fma_f16 v74, v65, v53, v74
	v_pk_fma_f16 v59, v65, v55, v59
	;; [unrolled: 1-line block ×4, first 2 shown]
	v_and_b32_e32 v51, 0xffff, v57
	v_lshrrev_b32_e32 v52, 16, v57
	v_pk_fma_f16 v47, v66, v53, v47
	v_pk_fma_f16 v48, v66, v55, v48
	;; [unrolled: 1-line block ×3, first 2 shown]
	v_and_b32_e32 v55, 0xffff, v58
	v_lshrrev_b32_e32 v57, 16, v58
	v_mul_u32_u24_e32 v58, 0x10001, v51
	v_mul_u32_u24_e32 v73, 0x10001, v52
	ds_load_2addr_b64 v[51:54], v49 offset0:64 offset1:96
	v_mul_u32_u24_e32 v55, 0x10001, v55
	v_mul_u32_u24_e32 v57, 0x10001, v57
	v_pk_fma_f16 v56, v66, v56, v76
	v_pk_fma_f16 v66, v67, v58, v74
	;; [unrolled: 1-line block ×3, first 2 shown]
	s_wait_dscnt 0x1
	v_and_b32_e32 v58, 0xffff, v69
	v_pk_fma_f16 v59, v67, v73, v59
	v_pk_fma_f16 v74, v67, v55, v75
	;; [unrolled: 1-line block ×3, first 2 shown]
	v_lshrrev_b32_e32 v67, 16, v69
	v_and_b32_e32 v69, 0xffff, v70
	v_lshrrev_b32_e32 v70, 16, v70
	v_pk_fma_f16 v46, v68, v55, v46
	v_mul_u32_u24_e32 v55, 0x10001, v58
	v_pk_fma_f16 v48, v68, v73, v48
	v_mul_u32_u24_e32 v67, 0x10001, v67
	v_mul_u32_u24_e32 v69, 0x10001, v69
	;; [unrolled: 1-line block ×3, first 2 shown]
	v_pk_fma_f16 v73, v68, v57, v56
	s_wait_dscnt 0x0
	v_pk_fma_f16 v75, v51, v55, v66
	v_pk_fma_f16 v47, v52, v55, v47
	ds_load_b128 v[55:58], v38 offset:800
	v_pk_fma_f16 v59, v51, v67, v59
	v_pk_fma_f16 v74, v51, v69, v74
	;; [unrolled: 1-line block ×4, first 2 shown]
	v_and_b32_e32 v65, 0xffff, v71
	v_lshrrev_b32_e32 v66, 16, v71
	v_and_b32_e32 v67, 0xffff, v72
	v_pk_fma_f16 v46, v52, v69, v46
	v_lshrrev_b32_e32 v69, 16, v72
	v_mul_u32_u24_e32 v71, 0x10001, v65
	v_mul_u32_u24_e32 v72, 0x10001, v66
	;; [unrolled: 1-line block ×3, first 2 shown]
	ds_load_2addr_b64 v[65:68], v49 offset0:128 offset1:160
	v_mul_u32_u24_e32 v77, 0x10001, v69
	v_pk_fma_f16 v52, v52, v70, v73
	v_pk_fma_f16 v73, v53, v71, v75
	;; [unrolled: 1-line block ×7, first 2 shown]
	ds_load_b128 v[69:72], v38 offset:816
	s_wait_dscnt 0x2
	v_and_b32_e32 v53, 0xffff, v55
	v_lshrrev_b32_e32 v55, 16, v55
	v_and_b32_e32 v75, 0xffff, v56
	v_lshrrev_b32_e32 v56, 16, v56
	v_pk_fma_f16 v46, v54, v76, v46
	v_mul_u32_u24_e32 v53, 0x10001, v53
	v_mul_u32_u24_e32 v55, 0x10001, v55
	;; [unrolled: 1-line block ×4, first 2 shown]
	v_pk_fma_f16 v52, v54, v77, v52
	s_wait_dscnt 0x1
	v_pk_fma_f16 v54, v65, v53, v73
	v_pk_fma_f16 v59, v65, v55, v59
	;; [unrolled: 1-line block ×4, first 2 shown]
	v_and_b32_e32 v47, 0xffff, v57
	v_lshrrev_b32_e32 v48, 16, v57
	v_pk_fma_f16 v73, v65, v75, v74
	v_pk_fma_f16 v51, v65, v56, v51
	;; [unrolled: 1-line block ×3, first 2 shown]
	v_and_b32_e32 v65, 0xffff, v58
	v_lshrrev_b32_e32 v58, 16, v58
	v_mul_u32_u24_e32 v74, 0x10001, v47
	v_mul_u32_u24_e32 v75, 0x10001, v48
	ds_load_2addr_b64 v[46:49], v49 offset0:192 offset1:224
	v_mul_u32_u24_e32 v65, 0x10001, v65
	v_mul_u32_u24_e32 v58, 0x10001, v58
	v_pk_fma_f16 v52, v66, v56, v52
	v_pk_fma_f16 v54, v67, v74, v54
	;; [unrolled: 1-line block ×5, first 2 shown]
	s_wait_dscnt 0x1
	v_and_b32_e32 v66, 0xffff, v69
	v_lshrrev_b32_e32 v67, 16, v69
	v_and_b32_e32 v69, 0xffff, v70
	v_lshrrev_b32_e32 v70, 16, v70
	v_pk_fma_f16 v53, v68, v74, v53
	v_pk_fma_f16 v57, v68, v65, v57
	v_mul_u32_u24_e32 v65, 0x10001, v66
	v_mul_u32_u24_e32 v66, 0x10001, v67
	;; [unrolled: 1-line block ×4, first 2 shown]
	v_pk_fma_f16 v55, v68, v75, v55
	v_pk_fma_f16 v68, v68, v58, v52
	s_wait_dscnt 0x0
	v_pk_fma_f16 v70, v46, v65, v54
	v_pk_fma_f16 v73, v46, v66, v56
	;; [unrolled: 1-line block ×5, first 2 shown]
	ds_load_b128 v[51:54], v38 offset:832
	v_pk_fma_f16 v66, v47, v66, v55
	v_and_b32_e32 v55, 0xffff, v71
	v_lshrrev_b32_e32 v56, 16, v71
	v_and_b32_e32 v58, 0xffff, v72
	v_pk_fma_f16 v71, v47, v67, v57
	v_lshrrev_b32_e32 v67, 16, v72
	v_mul_u32_u24_e32 v72, 0x10001, v55
	v_mul_u32_u24_e32 v74, 0x10001, v56
	;; [unrolled: 1-line block ×3, first 2 shown]
	ds_load_2addr_b64 v[55:58], v50 offset1:32
	v_mul_u32_u24_e32 v76, 0x10001, v67
	v_pk_fma_f16 v47, v47, v69, v68
	v_pk_fma_f16 v69, v48, v72, v70
	;; [unrolled: 1-line block ×7, first 2 shown]
	ds_load_b128 v[65:68], v38 offset:848
	s_wait_dscnt 0x2
	v_and_b32_e32 v73, 0xffff, v51
	v_lshrrev_b32_e32 v51, 16, v51
	v_and_b32_e32 v74, 0xffff, v52
	v_lshrrev_b32_e32 v52, 16, v52
	v_pk_fma_f16 v71, v49, v75, v71
	v_mul_u32_u24_e32 v73, 0x10001, v73
	v_mul_u32_u24_e32 v51, 0x10001, v51
	;; [unrolled: 1-line block ×4, first 2 shown]
	v_pk_fma_f16 v75, v49, v76, v47
	s_wait_dscnt 0x1
	v_pk_fma_f16 v69, v55, v73, v69
	v_pk_fma_f16 v70, v55, v51, v70
	;; [unrolled: 1-line block ×4, first 2 shown]
	v_and_b32_e32 v46, 0xffff, v53
	v_lshrrev_b32_e32 v47, 16, v53
	v_pk_fma_f16 v73, v56, v73, v48
	v_pk_fma_f16 v51, v56, v51, v72
	;; [unrolled: 1-line block ×3, first 2 shown]
	v_mul_u32_u24_e32 v72, 0x10001, v46
	v_mul_u32_u24_e32 v74, 0x10001, v47
	ds_load_2addr_b64 v[46:49], v50 offset0:64 offset1:96
	v_and_b32_e32 v71, 0xffff, v54
	v_lshrrev_b32_e32 v54, 16, v54
	v_pk_fma_f16 v52, v56, v52, v75
	v_pk_fma_f16 v56, v57, v72, v69
	;; [unrolled: 1-line block ×3, first 2 shown]
	v_mul_u32_u24_e32 v71, 0x10001, v71
	v_mul_u32_u24_e32 v54, 0x10001, v54
	v_pk_fma_f16 v70, v58, v74, v51
	s_wait_dscnt 0x1
	v_and_b32_e32 v51, 0xffff, v65
	v_lshrrev_b32_e32 v65, 16, v65
	v_pk_fma_f16 v59, v57, v71, v59
	v_pk_fma_f16 v55, v57, v54, v55
	;; [unrolled: 1-line block ×3, first 2 shown]
	v_and_b32_e32 v72, 0xffff, v66
	v_lshrrev_b32_e32 v66, 16, v66
	v_mul_u32_u24_e32 v51, 0x10001, v51
	v_pk_fma_f16 v71, v58, v71, v53
	v_mul_u32_u24_e32 v65, 0x10001, v65
	v_mul_u32_u24_e32 v72, 0x10001, v72
	v_mul_u32_u24_e32 v66, 0x10001, v66
	v_pk_fma_f16 v73, v58, v54, v52
	s_wait_dscnt 0x0
	v_pk_fma_f16 v74, v46, v51, v56
	v_pk_fma_f16 v75, v47, v51, v57
	ds_load_b128 v[51:54], v38 offset:864
	v_pk_fma_f16 v69, v46, v65, v69
	v_pk_fma_f16 v59, v46, v72, v59
	;; [unrolled: 1-line block ×3, first 2 shown]
	v_and_b32_e32 v55, 0xffff, v67
	v_lshrrev_b32_e32 v56, 16, v67
	v_and_b32_e32 v57, 0xffff, v68
	v_pk_fma_f16 v65, v47, v65, v70
	v_pk_fma_f16 v70, v47, v72, v71
	v_lshrrev_b32_e32 v67, 16, v68
	v_mul_u32_u24_e32 v68, 0x10001, v55
	v_mul_u32_u24_e32 v71, 0x10001, v56
	v_mul_u32_u24_e32 v72, 0x10001, v57
	ds_load_2addr_b64 v[55:58], v50 offset0:128 offset1:160
	v_mul_u32_u24_e32 v76, 0x10001, v67
	v_pk_fma_f16 v47, v47, v66, v73
	v_pk_fma_f16 v73, v48, v68, v74
	;; [unrolled: 1-line block ×7, first 2 shown]
	ds_load_b128 v[65:68], v38 offset:880
	s_wait_dscnt 0x2
	v_and_b32_e32 v74, 0xffff, v51
	v_lshrrev_b32_e32 v51, 16, v51
	v_and_b32_e32 v75, 0xffff, v52
	v_lshrrev_b32_e32 v52, 16, v52
	v_pk_fma_f16 v70, v49, v72, v70
	v_mul_u32_u24_e32 v72, 0x10001, v74
	v_mul_u32_u24_e32 v51, 0x10001, v51
	;; [unrolled: 1-line block ×4, first 2 shown]
	v_pk_fma_f16 v75, v49, v76, v47
	s_wait_dscnt 0x1
	v_pk_fma_f16 v73, v55, v72, v73
	v_pk_fma_f16 v69, v55, v51, v69
	;; [unrolled: 1-line block ×4, first 2 shown]
	v_and_b32_e32 v46, 0xffff, v53
	v_lshrrev_b32_e32 v47, 16, v53
	v_pk_fma_f16 v72, v56, v72, v48
	v_pk_fma_f16 v51, v56, v51, v71
	;; [unrolled: 1-line block ×3, first 2 shown]
	v_mul_u32_u24_e32 v71, 0x10001, v46
	v_mul_u32_u24_e32 v74, 0x10001, v47
	ds_load_2addr_b64 v[46:49], v50 offset0:192 offset1:224
	v_and_b32_e32 v70, 0xffff, v54
	v_lshrrev_b32_e32 v54, 16, v54
	v_pk_fma_f16 v52, v56, v52, v75
	v_pk_fma_f16 v56, v57, v71, v73
	;; [unrolled: 1-line block ×3, first 2 shown]
	v_mul_u32_u24_e32 v50, 0x10001, v70
	v_mul_u32_u24_e32 v54, 0x10001, v54
	v_pk_fma_f16 v70, v58, v74, v51
	s_wait_dscnt 0x1
	v_and_b32_e32 v51, 0xffff, v65
	v_lshrrev_b32_e32 v65, 16, v65
	v_pk_fma_f16 v59, v57, v50, v59
	v_pk_fma_f16 v55, v57, v54, v55
	;; [unrolled: 1-line block ×3, first 2 shown]
	v_and_b32_e32 v71, 0xffff, v66
	v_lshrrev_b32_e32 v66, 16, v66
	v_pk_fma_f16 v72, v58, v50, v53
	v_mul_u32_u24_e32 v50, 0x10001, v51
	v_mul_u32_u24_e32 v65, 0x10001, v65
	;; [unrolled: 1-line block ×4, first 2 shown]
	v_pk_fma_f16 v58, v58, v54, v52
	s_wait_dscnt 0x0
	v_pk_fma_f16 v73, v46, v50, v56
	v_pk_fma_f16 v74, v47, v50, v57
	ds_load_b128 v[50:53], v38 offset:896
	v_pk_fma_f16 v69, v46, v65, v69
	v_pk_fma_f16 v59, v46, v71, v59
	;; [unrolled: 1-line block ×3, first 2 shown]
	v_and_b32_e32 v54, 0xffff, v67
	v_lshrrev_b32_e32 v55, 16, v67
	v_and_b32_e32 v56, 0xffff, v68
	v_pk_fma_f16 v65, v47, v65, v70
	v_pk_fma_f16 v70, v47, v71, v72
	v_lshrrev_b32_e32 v67, 16, v68
	v_mul_u32_u24_e32 v68, 0x10001, v54
	v_mul_u32_u24_e32 v71, 0x10001, v55
	;; [unrolled: 1-line block ×3, first 2 shown]
	ds_load_2addr_b64 v[54:57], v45 offset1:32
	v_mul_u32_u24_e32 v75, 0x10001, v67
	v_pk_fma_f16 v47, v47, v66, v58
	v_pk_fma_f16 v58, v48, v68, v73
	;; [unrolled: 1-line block ×7, first 2 shown]
	ds_load_b128 v[65:68], v38 offset:912
	s_wait_dscnt 0x2
	v_and_b32_e32 v73, 0xffff, v50
	v_lshrrev_b32_e32 v50, 16, v50
	v_and_b32_e32 v74, 0xffff, v51
	v_lshrrev_b32_e32 v51, 16, v51
	v_pk_fma_f16 v70, v49, v72, v70
	v_mul_u32_u24_e32 v72, 0x10001, v73
	v_mul_u32_u24_e32 v50, 0x10001, v50
	v_mul_u32_u24_e32 v73, 0x10001, v74
	v_mul_u32_u24_e32 v51, 0x10001, v51
	v_pk_fma_f16 v74, v49, v75, v47
	s_wait_dscnt 0x1
	v_pk_fma_f16 v58, v54, v72, v58
	v_pk_fma_f16 v69, v54, v50, v69
	v_pk_fma_f16 v59, v54, v73, v59
	v_pk_fma_f16 v54, v54, v51, v46
	v_and_b32_e32 v46, 0xffff, v52
	v_lshrrev_b32_e32 v47, 16, v52
	v_pk_fma_f16 v72, v55, v72, v48
	v_pk_fma_f16 v50, v55, v50, v71
	;; [unrolled: 1-line block ×3, first 2 shown]
	v_mul_u32_u24_e32 v71, 0x10001, v46
	v_mul_u32_u24_e32 v73, 0x10001, v47
	ds_load_2addr_b64 v[46:49], v45 offset0:64 offset1:96
	v_and_b32_e32 v70, 0xffff, v53
	v_lshrrev_b32_e32 v53, 16, v53
	v_pk_fma_f16 v51, v55, v51, v74
	v_pk_fma_f16 v55, v56, v71, v58
	;; [unrolled: 1-line block ×3, first 2 shown]
	v_mul_u32_u24_e32 v70, 0x10001, v70
	v_mul_u32_u24_e32 v53, 0x10001, v53
	v_pk_fma_f16 v69, v57, v73, v50
	s_wait_dscnt 0x1
	v_and_b32_e32 v50, 0xffff, v65
	v_lshrrev_b32_e32 v65, 16, v65
	v_pk_fma_f16 v59, v56, v70, v59
	v_pk_fma_f16 v54, v56, v53, v54
	;; [unrolled: 1-line block ×3, first 2 shown]
	v_and_b32_e32 v71, 0xffff, v66
	v_lshrrev_b32_e32 v66, 16, v66
	v_mul_u32_u24_e32 v50, 0x10001, v50
	v_pk_fma_f16 v70, v57, v70, v52
	v_mul_u32_u24_e32 v65, 0x10001, v65
	v_mul_u32_u24_e32 v71, 0x10001, v71
	;; [unrolled: 1-line block ×3, first 2 shown]
	v_pk_fma_f16 v72, v57, v53, v51
	s_wait_dscnt 0x0
	v_pk_fma_f16 v73, v46, v50, v55
	v_pk_fma_f16 v74, v47, v50, v56
	ds_load_b128 v[50:53], v38 offset:928
	v_pk_fma_f16 v58, v46, v65, v58
	v_pk_fma_f16 v59, v46, v71, v59
	;; [unrolled: 1-line block ×3, first 2 shown]
	v_and_b32_e32 v54, 0xffff, v67
	v_lshrrev_b32_e32 v55, 16, v67
	v_and_b32_e32 v56, 0xffff, v68
	v_pk_fma_f16 v65, v47, v65, v69
	v_pk_fma_f16 v69, v47, v71, v70
	v_lshrrev_b32_e32 v67, 16, v68
	v_mul_u32_u24_e32 v68, 0x10001, v54
	v_mul_u32_u24_e32 v70, 0x10001, v55
	;; [unrolled: 1-line block ×3, first 2 shown]
	ds_load_2addr_b64 v[54:57], v45 offset0:128 offset1:160
	v_mul_u32_u24_e32 v75, 0x10001, v67
	v_pk_fma_f16 v47, v47, v66, v72
	v_pk_fma_f16 v72, v48, v68, v73
	;; [unrolled: 1-line block ×7, first 2 shown]
	ds_load_b128 v[65:68], v38 offset:944
	s_wait_dscnt 0x2
	v_and_b32_e32 v73, 0xffff, v50
	v_lshrrev_b32_e32 v50, 16, v50
	v_and_b32_e32 v74, 0xffff, v51
	v_lshrrev_b32_e32 v51, 16, v51
	v_pk_fma_f16 v69, v49, v71, v69
	v_mul_u32_u24_e32 v71, 0x10001, v73
	v_mul_u32_u24_e32 v50, 0x10001, v50
	;; [unrolled: 1-line block ×4, first 2 shown]
	v_pk_fma_f16 v49, v49, v75, v47
	s_wait_dscnt 0x1
	v_pk_fma_f16 v72, v54, v71, v72
	v_pk_fma_f16 v58, v54, v50, v58
	;; [unrolled: 1-line block ×4, first 2 shown]
	v_and_b32_e32 v46, 0xffff, v52
	v_lshrrev_b32_e32 v47, 16, v52
	v_pk_fma_f16 v71, v55, v71, v48
	v_pk_fma_f16 v50, v55, v50, v70
	;; [unrolled: 1-line block ×3, first 2 shown]
	v_and_b32_e32 v69, 0xffff, v53
	v_mul_u32_u24_e32 v70, 0x10001, v46
	v_mul_u32_u24_e32 v73, 0x10001, v47
	ds_load_2addr_b64 v[45:48], v45 offset0:192 offset1:224
	v_lshrrev_b32_e32 v53, 16, v53
	v_mul_u32_u24_e32 v69, 0x10001, v69
	v_pk_fma_f16 v49, v55, v51, v49
	v_pk_fma_f16 v55, v56, v73, v58
	;; [unrolled: 1-line block ×3, first 2 shown]
	v_mul_u32_u24_e32 v53, 0x10001, v53
	v_pk_fma_f16 v58, v56, v69, v59
	v_pk_fma_f16 v59, v57, v73, v50
	s_wait_dscnt 0x1
	v_and_b32_e32 v50, 0xffff, v65
	v_lshrrev_b32_e32 v65, 16, v65
	v_pk_fma_f16 v54, v56, v53, v54
	v_pk_fma_f16 v56, v57, v70, v71
	v_and_b32_e32 v70, 0xffff, v66
	v_lshrrev_b32_e32 v66, 16, v66
	v_mul_u32_u24_e32 v50, 0x10001, v50
	v_pk_fma_f16 v69, v57, v69, v52
	v_mul_u32_u24_e32 v65, 0x10001, v65
	v_mul_u32_u24_e32 v70, 0x10001, v70
	;; [unrolled: 1-line block ×3, first 2 shown]
	v_pk_fma_f16 v57, v57, v53, v49
	s_wait_dscnt 0x0
	v_pk_fma_f16 v71, v45, v50, v51
	v_pk_fma_f16 v73, v46, v50, v56
	ds_load_b128 v[49:52], v38 offset:960
	v_pk_fma_f16 v72, v45, v65, v55
	v_pk_fma_f16 v58, v45, v70, v58
	;; [unrolled: 1-line block ×3, first 2 shown]
	v_and_b32_e32 v53, 0xffff, v67
	v_lshrrev_b32_e32 v54, 16, v67
	v_and_b32_e32 v55, 0xffff, v68
	v_pk_fma_f16 v59, v46, v65, v59
	v_pk_fma_f16 v69, v46, v70, v69
	v_lshrrev_b32_e32 v65, 16, v68
	v_mul_u32_u24_e32 v67, 0x10001, v53
	v_mul_u32_u24_e32 v68, 0x10001, v54
	;; [unrolled: 1-line block ×3, first 2 shown]
	ds_load_2addr_b64 v[53:56], v44 offset1:32
	v_mul_u32_u24_e32 v74, 0x10001, v65
	v_pk_fma_f16 v46, v46, v66, v57
	v_pk_fma_f16 v57, v47, v67, v71
	;; [unrolled: 1-line block ×7, first 2 shown]
	ds_load_b128 v[65:68], v38 offset:976
	s_wait_dscnt 0x2
	v_and_b32_e32 v72, 0xffff, v49
	v_lshrrev_b32_e32 v49, 16, v49
	v_and_b32_e32 v73, 0xffff, v50
	v_lshrrev_b32_e32 v50, 16, v50
	v_pk_fma_f16 v69, v48, v70, v69
	v_mul_u32_u24_e32 v70, 0x10001, v72
	v_mul_u32_u24_e32 v49, 0x10001, v49
	;; [unrolled: 1-line block ×4, first 2 shown]
	v_pk_fma_f16 v73, v48, v74, v46
	s_wait_dscnt 0x1
	v_pk_fma_f16 v57, v53, v70, v57
	v_pk_fma_f16 v71, v53, v49, v71
	;; [unrolled: 1-line block ×4, first 2 shown]
	v_and_b32_e32 v45, 0xffff, v51
	v_lshrrev_b32_e32 v46, 16, v51
	v_pk_fma_f16 v70, v54, v70, v47
	v_pk_fma_f16 v49, v54, v49, v59
	;; [unrolled: 1-line block ×3, first 2 shown]
	v_and_b32_e32 v59, 0xffff, v52
	v_lshrrev_b32_e32 v52, 16, v52
	v_mul_u32_u24_e32 v69, 0x10001, v45
	v_mul_u32_u24_e32 v72, 0x10001, v46
	ds_load_2addr_b64 v[45:48], v44 offset0:64 offset1:96
	v_mul_u32_u24_e32 v59, 0x10001, v59
	v_mul_u32_u24_e32 v52, 0x10001, v52
	v_pk_fma_f16 v50, v54, v50, v73
	v_pk_fma_f16 v54, v55, v69, v57
	;; [unrolled: 1-line block ×7, first 2 shown]
	s_wait_dscnt 0x1
	v_and_b32_e32 v49, 0xffff, v65
	v_lshrrev_b32_e32 v65, 16, v65
	v_and_b32_e32 v70, 0xffff, v66
	v_lshrrev_b32_e32 v66, 16, v66
	v_pk_fma_f16 v59, v56, v59, v51
	v_mul_u32_u24_e32 v49, 0x10001, v49
	v_mul_u32_u24_e32 v65, 0x10001, v65
	;; [unrolled: 1-line block ×4, first 2 shown]
	v_pk_fma_f16 v71, v56, v52, v50
	s_wait_dscnt 0x0
	v_pk_fma_f16 v72, v45, v49, v54
	v_pk_fma_f16 v73, v46, v49, v55
	ds_load_b128 v[49:52], v38 offset:992
	v_pk_fma_f16 v57, v45, v65, v57
	v_pk_fma_f16 v58, v45, v70, v58
	;; [unrolled: 1-line block ×3, first 2 shown]
	v_and_b32_e32 v53, 0xffff, v67
	v_lshrrev_b32_e32 v54, 16, v67
	v_and_b32_e32 v55, 0xffff, v68
	v_pk_fma_f16 v65, v46, v65, v69
	v_pk_fma_f16 v59, v46, v70, v59
	v_lshrrev_b32_e32 v67, 16, v68
	v_mul_u32_u24_e32 v68, 0x10001, v53
	v_mul_u32_u24_e32 v69, 0x10001, v54
	;; [unrolled: 1-line block ×3, first 2 shown]
	ds_load_2addr_b64 v[53:56], v44 offset0:128 offset1:160
	v_mul_u32_u24_e32 v74, 0x10001, v67
	v_pk_fma_f16 v46, v46, v66, v71
	v_pk_fma_f16 v71, v47, v68, v72
	v_pk_fma_f16 v57, v47, v69, v57
	v_pk_fma_f16 v58, v47, v70, v58
	v_pk_fma_f16 v45, v47, v74, v45
	v_pk_fma_f16 v47, v48, v68, v73
	v_pk_fma_f16 v69, v48, v69, v65
	ds_load_b128 v[65:68], v38 offset:1008
	s_wait_dscnt 0x2
	v_and_b32_e32 v72, 0xffff, v49
	v_lshrrev_b32_e32 v49, 16, v49
	v_and_b32_e32 v73, 0xffff, v50
	v_lshrrev_b32_e32 v50, 16, v50
	v_pk_fma_f16 v59, v48, v70, v59
	v_mul_u32_u24_e32 v70, 0x10001, v72
	v_mul_u32_u24_e32 v49, 0x10001, v49
	;; [unrolled: 1-line block ×4, first 2 shown]
	v_pk_fma_f16 v46, v48, v74, v46
	s_wait_dscnt 0x1
	v_pk_fma_f16 v48, v53, v70, v71
	v_pk_fma_f16 v57, v53, v49, v57
	;; [unrolled: 1-line block ×5, first 2 shown]
	v_and_b32_e32 v49, 0xffff, v51
	v_lshrrev_b32_e32 v50, 16, v51
	v_pk_fma_f16 v47, v54, v70, v47
	v_pk_fma_f16 v59, v54, v72, v59
	v_and_b32_e32 v69, 0xffff, v52
	v_lshrrev_b32_e32 v70, 16, v52
	v_mul_u32_u24_e32 v71, 0x10001, v49
	v_mul_u32_u24_e32 v72, 0x10001, v50
	ds_load_2addr_b64 v[49:52], v44 offset0:192 offset1:224
	v_mul_u32_u24_e32 v44, 0x10001, v69
	v_mul_u32_u24_e32 v69, 0x10001, v70
	s_wait_loadcnt_dscnt 0x0
	s_barrier_signal -1
	s_barrier_wait -1
	global_inv scope:SCOPE_SE
	s_load_b32 s11, s[24:25], 0x4
	v_pk_fma_f16 v46, v54, v73, v46
	v_pk_fma_f16 v48, v55, v71, v48
	;; [unrolled: 1-line block ×5, first 2 shown]
	v_and_b32_e32 v55, 0xffff, v65
	v_lshrrev_b32_e32 v58, 16, v65
	v_and_b32_e32 v65, 0xffff, v66
	v_lshrrev_b32_e32 v66, 16, v66
	v_pk_fma_f16 v47, v56, v71, v47
	v_pk_fma_f16 v53, v56, v72, v53
	;; [unrolled: 1-line block ×3, first 2 shown]
	v_mul_u32_u24_e32 v55, 0x10001, v55
	v_mul_u32_u24_e32 v58, 0x10001, v58
	;; [unrolled: 1-line block ×4, first 2 shown]
	v_pk_fma_f16 v46, v56, v69, v46
	v_pk_fma_f16 v48, v49, v55, v48
	;; [unrolled: 1-line block ×7, first 2 shown]
	v_and_b32_e32 v53, 0xffff, v67
	v_lshrrev_b32_e32 v55, 16, v67
	v_and_b32_e32 v57, 0xffff, v68
	v_lshrrev_b32_e32 v58, 16, v68
	v_pk_fma_f16 v44, v50, v59, v44
	v_mul_u32_u24_e32 v53, 0x10001, v53
	v_mul_u32_u24_e32 v55, 0x10001, v55
	;; [unrolled: 1-line block ×4, first 2 shown]
	v_pk_fma_f16 v59, v50, v65, v46
	s_wait_kmcnt 0x0
	s_lshl_b32 s11, s11, 7
	v_pk_fma_f16 v50, v51, v53, v48
	v_pk_fma_f16 v48, v51, v55, v54
	;; [unrolled: 1-line block ×8, first 2 shown]
	s_wait_alu 0xfffe
	s_add_co_i32 s10, s11, s10
	s_wait_alu 0xfffe
	s_cmp_ge_i32 s10, s30
	s_cbranch_scc1 .LBB76_75
; %bb.74:                               ;   in Loop: Header=BB76_9 Depth=1
	v_dual_mov_b32 v59, v0 :: v_dual_mov_b32 v54, v3
	v_dual_mov_b32 v57, v1 :: v_dual_mov_b32 v58, v61
	;; [unrolled: 1-line block ×4, first 2 shown]
	s_branch .LBB76_9
.LBB76_75:
	v_mov_b32_e32 v4, v30
.LBB76_76:
	v_cmp_lt_i32_e32 vcc_lo, v60, v31
	s_cmp_lg_u64 s[12:13], 0
	s_cselect_b32 s3, -1, 0
	s_cmp_eq_u32 s4, 0
	s_wait_alu 0xfffd
	v_cndmask_b32_e32 v5, v4, v60, vcc_lo
	v_cmp_lt_i32_e32 vcc_lo, v27, v31
	s_cselect_b32 s5, -1, 0
	s_wait_alu 0xfffe
	s_and_b32 s3, s5, s3
	v_lshlrev_b32_e32 v5, 2, v5
	ds_bpermute_b32 v8, v5, v64
	s_wait_dscnt 0x0
	v_add_f32_e32 v8, v64, v8
	ds_bpermute_b32 v6, v5, v61
	ds_bpermute_b32 v7, v5, v62
	;; [unrolled: 1-line block ×3, first 2 shown]
	s_wait_dscnt 0x2
	s_wait_alu 0xfffd
	v_dual_add_f32 v6, v61, v6 :: v_dual_cndmask_b32 v9, v4, v27
	s_wait_dscnt 0x1
	v_add_f32_e32 v7, v62, v7
	v_cmp_lt_i32_e32 vcc_lo, v26, v31
	s_delay_alu instid0(VALU_DEP_3)
	v_lshlrev_b32_e32 v9, 2, v9
	ds_bpermute_b32 v14, v9, v8
	s_wait_dscnt 0x0
	v_add_f32_e32 v8, v8, v14
	ds_bpermute_b32 v10, v9, v6
	ds_bpermute_b32 v11, v9, v7
	s_wait_dscnt 0x1
	v_add_f32_e32 v6, v6, v10
	s_wait_alu 0xfffd
	v_cndmask_b32_e32 v15, v4, v26, vcc_lo
	s_wait_dscnt 0x0
	v_add_f32_e32 v7, v7, v11
	v_cmp_lt_i32_e32 vcc_lo, v25, v31
	s_delay_alu instid0(VALU_DEP_3)
	v_lshlrev_b32_e32 v15, 2, v15
	ds_bpermute_b32 v11, v15, v8
	v_add_f32_e32 v5, v63, v5
	ds_bpermute_b32 v10, v15, v7
	s_wait_dscnt 0x1
	v_add_f32_e32 v8, v8, v11
	ds_bpermute_b32 v9, v9, v5
	s_wait_dscnt 0x0
	v_add_f32_e32 v5, v5, v9
	ds_bpermute_b32 v9, v15, v6
	ds_bpermute_b32 v14, v15, v5
	s_wait_alu 0xfffd
	v_cndmask_b32_e32 v15, v4, v25, vcc_lo
	v_cmp_lt_i32_e32 vcc_lo, v24, v31
	s_wait_alu 0xfffd
	s_delay_alu instid0(VALU_DEP_2)
	v_dual_cndmask_b32 v4, v4, v24 :: v_dual_lshlrev_b32 v15, 2, v15
	s_wait_alu 0xfffe
	s_and_b32 vcc_lo, exec_lo, s3
	ds_bpermute_b32 v11, v15, v8
	v_lshlrev_b32_e32 v4, 2, v4
	s_wait_dscnt 0x2
	v_add_f32_e32 v6, v6, v9
	ds_bpermute_b32 v9, v15, v6
	s_wait_dscnt 0x1
	v_dual_add_f32 v8, v8, v11 :: v_dual_add_f32 v5, v5, v14
	ds_bpermute_b32 v11, v4, v8
	v_add_f32_e32 v7, v7, v10
	ds_bpermute_b32 v14, v15, v5
	s_wait_dscnt 0x2
	v_add_f32_e32 v6, v6, v9
	ds_bpermute_b32 v10, v15, v7
	s_wait_dscnt 0x1
	;; [unrolled: 3-line block ×3, first 2 shown]
	v_add_f32_e32 v7, v7, v10
	ds_bpermute_b32 v14, v4, v9
	ds_bpermute_b32 v10, v4, v7
	s_wait_dscnt 0x2
	v_add_f32_e32 v4, v6, v5
	s_wait_dscnt 0x0
	v_dual_add_f32 v6, v8, v11 :: v_dual_add_f32 v5, v7, v10
	v_add_f32_e32 v7, v9, v14
	s_wait_alu 0xfffe
	s_cbranch_vccz .LBB76_79
; %bb.77:
	s_ashr_i32 s29, s28, 31
	v_dual_mov_b32 v8, 0 :: v_dual_max_num_f32 v15, v1, v1
	s_lshl_b64 s[6:7], s[28:29], 2
	s_delay_alu instid0(SALU_CYCLE_1)
	s_add_nc_u64 s[6:7], s[12:13], s[6:7]
	global_load_b128 v[8:11], v8, s[6:7]
	v_max_num_f32_e32 v14, v0, v0
	s_wait_loadcnt 0x0
	v_dual_max_num_f32 v16, v2, v2 :: v_dual_max_num_f32 v17, v8, v8
	v_dual_max_num_f32 v19, v9, v9 :: v_dual_max_num_f32 v20, v10, v10
	s_delay_alu instid0(VALU_DEP_2) | instskip(NEXT) | instid1(VALU_DEP_2)
	v_dual_max_num_f32 v21, v11, v11 :: v_dual_max_num_f32 v14, v14, v17
	v_dual_max_num_f32 v15, v15, v19 :: v_dual_max_num_f32 v16, v16, v20
	v_max_num_f32_e32 v18, v3, v3
	s_delay_alu instid0(VALU_DEP_2) | instskip(SKIP_1) | instid1(VALU_DEP_3)
	v_dual_sub_f32 v8, v8, v14 :: v_dual_sub_f32 v9, v9, v15
	v_sub_f32_e32 v19, v1, v15
	v_dual_max_num_f32 v17, v18, v21 :: v_dual_sub_f32 v18, v0, v14
	v_sub_f32_e32 v20, v2, v16
	s_delay_alu instid0(VALU_DEP_2) | instskip(SKIP_3) | instid1(VALU_DEP_4)
	v_dual_sub_f32 v10, v10, v16 :: v_dual_sub_f32 v11, v11, v17
	v_dual_sub_f32 v21, v3, v17 :: v_dual_mov_b32 v0, v14
	v_dual_mov_b32 v1, v15 :: v_dual_mov_b32 v2, v16
	v_dual_mov_b32 v3, v17 :: v_dual_mul_f32 v16, 0x3fb8aa3b, v19
	v_mul_f32_e32 v23, 0x3fb8aa3b, v10
	v_dual_mul_f32 v14, 0x3fb8aa3b, v18 :: v_dual_mul_f32 v17, 0x3fb8aa3b, v9
	v_mul_f32_e32 v15, 0x3fb8aa3b, v8
	s_delay_alu instid0(VALU_DEP_4) | instskip(SKIP_3) | instid1(VALU_DEP_3)
	v_fma_f32 v31, 0x3fb8aa3b, v19, -v16
	v_rndne_f32_e32 v32, v16
	v_dual_mul_f32 v22, 0x3fb8aa3b, v20 :: v_dual_mul_f32 v25, 0x3fb8aa3b, v11
	v_rndne_f32_e32 v38, v23
	v_dual_fmac_f32 v31, 0x32a5705f, v19 :: v_dual_sub_f32 v16, v16, v32
	v_fma_f32 v26, 0x3fb8aa3b, v18, -v14
	v_rndne_f32_e32 v27, v14
	v_fma_f32 v29, 0x3fb8aa3b, v8, -v15
	v_rndne_f32_e32 v30, v15
	v_mul_f32_e32 v24, 0x3fb8aa3b, v21
	v_fma_f32 v33, 0x3fb8aa3b, v9, -v17
	v_rndne_f32_e32 v34, v17
	v_fma_f32 v35, 0x3fb8aa3b, v20, -v22
	v_rndne_f32_e32 v36, v22
	v_fma_f32 v37, 0x3fb8aa3b, v10, -v23
	v_dual_sub_f32 v23, v23, v38 :: v_dual_add_f32 v16, v16, v31
	v_dual_fmac_f32 v26, 0x32a5705f, v18 :: v_dual_fmac_f32 v29, 0x32a5705f, v8
	v_dual_sub_f32 v14, v14, v27 :: v_dual_fmac_f32 v33, 0x32a5705f, v9
	v_sub_f32_e32 v15, v15, v30
	v_fma_f32 v39, 0x3fb8aa3b, v21, -v24
	v_dual_sub_f32 v17, v17, v34 :: v_dual_sub_f32 v22, v22, v36
	s_delay_alu instid0(VALU_DEP_4) | instskip(SKIP_3) | instid1(VALU_DEP_3)
	v_dual_fmac_f32 v35, 0x32a5705f, v20 :: v_dual_add_f32 v14, v14, v26
	v_exp_f32_e32 v16, v16
	v_rndne_f32_e32 v40, v24
	v_cvt_i32_f32_e32 v32, v32
	v_dual_fmac_f32 v39, 0x32a5705f, v21 :: v_dual_add_f32 v22, v22, v35
	v_rndne_f32_e32 v42, v25
	s_delay_alu instid0(VALU_DEP_4) | instskip(SKIP_1) | instid1(VALU_DEP_3)
	v_dual_fmac_f32 v37, 0x32a5705f, v10 :: v_dual_sub_f32 v24, v24, v40
	v_exp_f32_e32 v14, v14
	v_exp_f32_e32 v22, v22
	s_delay_alu instid0(TRANS32_DEP_3)
	v_ldexp_f32 v16, v16, v32
	v_add_f32_e32 v15, v15, v29
	v_fma_f32 v41, 0x3fb8aa3b, v11, -v25
	v_cvt_i32_f32_e32 v27, v27
	v_cvt_i32_f32_e32 v36, v36
	v_dual_sub_f32 v25, v25, v42 :: v_dual_add_f32 v24, v24, v39
	v_exp_f32_e32 v15, v15
	v_cvt_i32_f32_e32 v30, v30
	v_ldexp_f32 v14, v14, v27
	v_ldexp_f32 v22, v22, v36
	v_add_f32_e32 v17, v17, v33
	v_exp_f32_e32 v24, v24
	v_cmp_ngt_f32_e32 vcc_lo, 0xc2ce8ed0, v18
	v_fmac_f32_e32 v41, 0x32a5705f, v11
	v_cvt_i32_f32_e32 v26, v40
	v_exp_f32_e32 v17, v17
	v_ldexp_f32 v15, v15, v30
	s_wait_alu 0xfffd
	v_cndmask_b32_e32 v14, 0, v14, vcc_lo
	v_cmp_ngt_f32_e32 vcc_lo, 0xc2ce8ed0, v8
	v_cvt_i32_f32_e32 v34, v34
	v_cvt_i32_f32_e32 v38, v38
	v_ldexp_f32 v24, v24, v26
	v_add_f32_e32 v23, v23, v37
	s_wait_alu 0xfffd
	v_cndmask_b32_e32 v15, 0, v15, vcc_lo
	v_cmp_ngt_f32_e32 vcc_lo, 0xc2ce8ed0, v19
	v_ldexp_f32 v17, v17, v34
	v_add_f32_e32 v25, v25, v41
	v_exp_f32_e32 v23, v23
	v_cvt_i32_f32_e32 v29, v42
	s_wait_alu 0xfffd
	v_cndmask_b32_e32 v16, 0, v16, vcc_lo
	v_cmp_ngt_f32_e32 vcc_lo, 0xc2ce8ed0, v9
	v_exp_f32_e32 v25, v25
	s_wait_alu 0xfffd
	v_cndmask_b32_e32 v17, 0, v17, vcc_lo
	v_cmp_ngt_f32_e32 vcc_lo, 0xc2ce8ed0, v20
	s_delay_alu instid0(TRANS32_DEP_2) | instskip(SKIP_3) | instid1(TRANS32_DEP_1)
	v_ldexp_f32 v23, v23, v38
	s_wait_alu 0xfffd
	v_cndmask_b32_e32 v22, 0, v22, vcc_lo
	v_cmp_ngt_f32_e32 vcc_lo, 0xc2ce8ed0, v10
	v_ldexp_f32 v25, v25, v29
	s_wait_alu 0xfffd
	v_cndmask_b32_e32 v23, 0, v23, vcc_lo
	v_cmp_ngt_f32_e32 vcc_lo, 0xc2ce8ed0, v21
	s_wait_alu 0xfffd
	v_cndmask_b32_e32 v24, 0, v24, vcc_lo
	v_cmp_ngt_f32_e32 vcc_lo, 0xc2ce8ed0, v11
	s_wait_alu 0xfffd
	v_cndmask_b32_e32 v25, 0, v25, vcc_lo
	v_cmp_nlt_f32_e32 vcc_lo, 0x42b17218, v18
	s_wait_alu 0xfffd
	v_cndmask_b32_e32 v14, 0x7f800000, v14, vcc_lo
	v_cmp_nlt_f32_e32 vcc_lo, 0x42b17218, v8
	;; [unrolled: 3-line block ×3, first 2 shown]
	s_wait_alu 0xfffd
	s_delay_alu instid0(VALU_DEP_2)
	v_dual_fmac_f32 v8, v4, v14 :: v_dual_cndmask_b32 v15, 0x7f800000, v16
	v_cmp_nlt_f32_e32 vcc_lo, 0x42b17218, v9
	v_cvt_f16_f32_e32 v4, v14
	s_wait_alu 0xfffd
	v_cndmask_b32_e32 v9, 0x7f800000, v17, vcc_lo
	v_cmp_nlt_f32_e32 vcc_lo, 0x42b17218, v20
	s_wait_alu 0xfffd
	v_cndmask_b32_e32 v16, 0x7f800000, v22, vcc_lo
	v_cmp_nlt_f32_e32 vcc_lo, 0x42b17218, v10
	;; [unrolled: 3-line block ×3, first 2 shown]
	s_delay_alu instid0(VALU_DEP_2) | instskip(SKIP_4) | instid1(VALU_DEP_3)
	v_fmac_f32_e32 v10, v6, v16
	s_wait_alu 0xfffd
	v_cndmask_b32_e32 v17, 0x7f800000, v24, vcc_lo
	v_cmp_nlt_f32_e32 vcc_lo, 0x42b17218, v11
	v_cvt_f16_f32_e32 v6, v16
	v_cvt_f16_f32_e32 v14, v17
	s_delay_alu instid0(VALU_DEP_2) | instskip(SKIP_1) | instid1(VALU_DEP_3)
	v_and_b32_e32 v16, 0xffff, v6
	v_mov_b32_e32 v6, v10
	v_and_b32_e32 v14, 0xffff, v14
	s_wait_alu 0xfffd
	v_cndmask_b32_e32 v11, 0x7f800000, v25, vcc_lo
	v_mul_u32_u24_e32 v16, 0x10001, v16
	s_delay_alu instid0(VALU_DEP_3) | instskip(NEXT) | instid1(VALU_DEP_3)
	v_mul_u32_u24_e32 v14, 0x10001, v14
	v_fmac_f32_e32 v11, v7, v17
	v_dual_mov_b32 v4, v8 :: v_dual_and_b32 v7, 0xffff, v4
	v_fmac_f32_e32 v9, v5, v15
	v_cvt_f16_f32_e32 v5, v15
	v_pk_mul_f16 v46, v46, v16
	s_delay_alu instid0(VALU_DEP_4)
	v_mul_u32_u24_e32 v7, 0x10001, v7
	v_pk_mul_f16 v47, v47, v16
	v_pk_mul_f16 v45, v45, v14
	v_and_b32_e32 v15, 0xffff, v5
	v_mov_b32_e32 v5, v9
	v_pk_mul_f16 v50, v50, v7
	v_pk_mul_f16 v51, v51, v7
	;; [unrolled: 1-line block ×3, first 2 shown]
	v_mul_u32_u24_e32 v15, 0x10001, v15
	v_mov_b32_e32 v7, v11
	s_delay_alu instid0(VALU_DEP_2)
	v_pk_mul_f16 v48, v48, v15
	v_pk_mul_f16 v49, v49, v15
	s_mov_b32 s3, exec_lo
	v_cmpx_gt_i32_e64 s22, v12
	s_cbranch_execnz .LBB76_80
.LBB76_78:
	s_nop 0
	s_sendmsg sendmsg(MSG_DEALLOC_VGPRS)
	s_endpgm
.LBB76_79:
	s_delay_alu instid0(VALU_DEP_1)
	v_dual_mov_b32 v11, v7 :: v_dual_mov_b32 v10, v6
	v_dual_mov_b32 v9, v5 :: v_dual_mov_b32 v8, v4
	s_mov_b32 s3, exec_lo
	v_cmpx_gt_i32_e64 s22, v12
	s_cbranch_execz .LBB76_78
.LBB76_80:
	s_load_b32 s1, s[0:1], 0xd4
	v_mov_b32_e32 v16, 1.0
	s_wait_kmcnt 0x0
	s_cmp_lg_u32 s1, 1
	s_cselect_b32 s5, -1, 0
	s_cmp_eq_u32 s1, 1
	s_cselect_b32 s3, -1, 0
	s_wait_alu 0xfffe
	s_and_b32 vcc_lo, exec_lo, s5
	s_wait_alu 0xfffe
	s_cbranch_vccnz .LBB76_82
; %bb.81:
	v_div_scale_f32 v14, null, v4, v4, 1.0
	s_delay_alu instid0(VALU_DEP_1) | instskip(NEXT) | instid1(TRANS32_DEP_1)
	v_rcp_f32_e32 v15, v14
	v_fma_f32 v16, -v14, v15, 1.0
	s_delay_alu instid0(VALU_DEP_1) | instskip(SKIP_1) | instid1(VALU_DEP_1)
	v_fmac_f32_e32 v15, v16, v15
	v_div_scale_f32 v16, vcc_lo, 1.0, v4, 1.0
	v_mul_f32_e32 v17, v16, v15
	s_delay_alu instid0(VALU_DEP_1) | instskip(NEXT) | instid1(VALU_DEP_1)
	v_fma_f32 v18, -v14, v17, v16
	v_fmac_f32_e32 v17, v18, v15
	s_delay_alu instid0(VALU_DEP_1) | instskip(SKIP_1) | instid1(VALU_DEP_1)
	v_fma_f32 v14, -v14, v17, v16
	s_wait_alu 0xfffd
	v_div_fmas_f32 v14, v14, v15, v17
	s_delay_alu instid0(VALU_DEP_1)
	v_div_fixup_f32 v16, v14, v4, 1.0
.LBB76_82:
	v_mad_co_u64_u32 v[14:15], null, s2, s22, v[12:13]
	v_lshrrev_b32_e32 v4, 16, v50
	v_cmp_eq_u32_e32 vcc_lo, 0, v13
	v_cvt_f32_f16_e32 v18, v51
	v_cvt_f32_f16_e32 v17, v50
	s_delay_alu instid0(VALU_DEP_4) | instskip(SKIP_3) | instid1(VALU_DEP_4)
	v_cvt_f32_f16_e32 v4, v4
	v_mad_co_u64_u32 v[14:15], null, v14, s23, s[28:29]
	v_mov_b32_e32 v13, 0
	v_mul_f32_e32 v19, v16, v18
	v_mul_f32_e32 v18, v16, v4
	;; [unrolled: 1-line block ×3, first 2 shown]
	v_mad_co_u64_u32 v[14:15], null, s1, v14, s[4:5]
	v_lshrrev_b32_e32 v15, 16, v51
	s_delay_alu instid0(VALU_DEP_1) | instskip(NEXT) | instid1(VALU_DEP_3)
	v_cvt_f32_f16_e32 v15, v15
	v_lshl_add_u32 v12, v14, 7, v28
	s_delay_alu instid0(VALU_DEP_2) | instskip(NEXT) | instid1(VALU_DEP_2)
	v_mul_f32_e32 v20, v16, v15
	v_lshlrev_b64_e32 v[12:13], 2, v[12:13]
	s_delay_alu instid0(VALU_DEP_1) | instskip(SKIP_1) | instid1(VALU_DEP_2)
	v_add_co_u32 v12, s0, s16, v12
	s_wait_alu 0xf1ff
	v_add_co_ci_u32_e64 v13, null, s17, v13, s0
	s_and_b32 s0, vcc_lo, s5
	global_store_b128 v[12:13], v[17:20], off
	s_wait_alu 0xfffe
	s_and_saveexec_b32 s2, s0
	s_cbranch_execz .LBB76_84
; %bb.83:
	v_ashrrev_i32_e32 v15, 31, v14
	v_mov_b32_e32 v16, v8
	s_delay_alu instid0(VALU_DEP_2) | instskip(SKIP_1) | instid1(VALU_DEP_2)
	v_lshlrev_b64_e32 v[12:13], 3, v[14:15]
	v_mov_b32_e32 v15, v0
	v_add_co_u32 v12, vcc_lo, s18, v12
	s_wait_alu 0xfffd
	s_delay_alu instid0(VALU_DEP_3)
	v_add_co_ci_u32_e64 v13, null, s19, v13, vcc_lo
	global_store_b64 v[12:13], v[15:16], off
.LBB76_84:
	s_wait_alu 0xfffe
	s_or_b32 exec_lo, exec_lo, s2
	v_cndmask_b32_e64 v12, 0, 1, s3
	v_mov_b32_e32 v0, 1.0
	s_and_not1_b32 vcc_lo, exec_lo, s3
	s_wait_alu 0xfffe
	s_cbranch_vccnz .LBB76_86
; %bb.85:
	v_div_scale_f32 v0, null, v5, v5, 1.0
	s_delay_alu instid0(VALU_DEP_1) | instskip(NEXT) | instid1(TRANS32_DEP_1)
	v_rcp_f32_e32 v4, v0
	v_fma_f32 v8, -v0, v4, 1.0
	s_delay_alu instid0(VALU_DEP_1) | instskip(SKIP_1) | instid1(VALU_DEP_1)
	v_fmac_f32_e32 v4, v8, v4
	v_div_scale_f32 v8, vcc_lo, 1.0, v5, 1.0
	v_mul_f32_e32 v13, v8, v4
	s_delay_alu instid0(VALU_DEP_1) | instskip(NEXT) | instid1(VALU_DEP_1)
	v_fma_f32 v15, -v0, v13, v8
	v_fmac_f32_e32 v13, v15, v4
	s_delay_alu instid0(VALU_DEP_1) | instskip(SKIP_1) | instid1(VALU_DEP_1)
	v_fma_f32 v0, -v0, v13, v8
	s_wait_alu 0xfffd
	v_div_fmas_f32 v0, v0, v4, v13
	s_delay_alu instid0(VALU_DEP_1)
	v_div_fixup_f32 v0, v0, v5, 1.0
.LBB76_86:
	v_cvt_f32_f16_e32 v15, v48
	v_add_nc_u32_e32 v4, s1, v14
	v_cvt_f32_f16_e32 v16, v49
	v_mov_b32_e32 v14, 0
	v_lshrrev_b32_e32 v5, 16, v48
	v_lshrrev_b32_e32 v8, 16, v49
	v_lshl_add_u32 v13, v4, 7, v28
	s_delay_alu instid0(VALU_DEP_3) | instskip(NEXT) | instid1(VALU_DEP_3)
	v_cvt_f32_f16_e32 v5, v5
	v_cvt_f32_f16_e32 v8, v8
	s_delay_alu instid0(VALU_DEP_3)
	v_lshlrev_b64_e32 v[17:18], 2, v[13:14]
	v_mul_f32_e32 v13, v0, v15
	v_mul_f32_e32 v15, v0, v16
	;; [unrolled: 1-line block ×4, first 2 shown]
	v_add_co_u32 v17, vcc_lo, s16, v17
	s_wait_alu 0xfffd
	v_add_co_ci_u32_e64 v18, null, s17, v18, vcc_lo
	global_store_b128 v[17:18], v[13:16], off
	s_and_saveexec_b32 s2, s0
	s_cbranch_execz .LBB76_88
; %bb.87:
	v_ashrrev_i32_e32 v5, 31, v4
	v_mov_b32_e32 v8, v1
	s_delay_alu instid0(VALU_DEP_2) | instskip(NEXT) | instid1(VALU_DEP_1)
	v_lshlrev_b64_e32 v[13:14], 3, v[4:5]
	v_add_co_u32 v13, vcc_lo, s18, v13
	s_wait_alu 0xfffd
	s_delay_alu instid0(VALU_DEP_2)
	v_add_co_ci_u32_e64 v14, null, s19, v14, vcc_lo
	global_store_b64 v[13:14], v[8:9], off
.LBB76_88:
	s_wait_alu 0xfffe
	s_or_b32 exec_lo, exec_lo, s2
	v_cmp_ne_u32_e32 vcc_lo, 1, v12
	v_mov_b32_e32 v1, 1.0
	s_cbranch_vccnz .LBB76_90
; %bb.89:
	v_div_scale_f32 v0, null, v6, v6, 1.0
	s_delay_alu instid0(VALU_DEP_1) | instskip(NEXT) | instid1(TRANS32_DEP_1)
	v_rcp_f32_e32 v1, v0
	v_fma_f32 v5, -v0, v1, 1.0
	s_delay_alu instid0(VALU_DEP_1) | instskip(SKIP_1) | instid1(VALU_DEP_1)
	v_fmac_f32_e32 v1, v5, v1
	v_div_scale_f32 v5, vcc_lo, 1.0, v6, 1.0
	v_mul_f32_e32 v8, v5, v1
	s_delay_alu instid0(VALU_DEP_1) | instskip(NEXT) | instid1(VALU_DEP_1)
	v_fma_f32 v9, -v0, v8, v5
	v_fmac_f32_e32 v8, v9, v1
	s_delay_alu instid0(VALU_DEP_1) | instskip(SKIP_1) | instid1(VALU_DEP_1)
	v_fma_f32 v0, -v0, v8, v5
	s_wait_alu 0xfffd
	v_div_fmas_f32 v0, v0, v1, v8
	s_delay_alu instid0(VALU_DEP_1)
	v_div_fixup_f32 v1, v0, v6, 1.0
.LBB76_90:
	v_dual_mov_b32 v5, 0 :: v_dual_add_nc_u32 v0, s1, v4
	v_lshrrev_b32_e32 v6, 16, v46
	v_lshrrev_b32_e32 v8, 16, v47
	v_cvt_f32_f16_e32 v9, v46
	s_delay_alu instid0(VALU_DEP_4)
	v_lshl_add_u32 v4, v0, 7, v28
	v_cvt_f32_f16_e32 v14, v47
	v_cvt_f32_f16_e32 v6, v6
	v_cvt_f32_f16_e32 v8, v8
	v_mul_f32_e32 v13, v1, v9
	v_lshlrev_b64_e32 v[4:5], 2, v[4:5]
	v_mul_f32_e32 v15, v1, v14
	v_mul_f32_e32 v14, v1, v6
	;; [unrolled: 1-line block ×3, first 2 shown]
	s_delay_alu instid0(VALU_DEP_4)
	v_add_co_u32 v4, vcc_lo, s16, v4
	s_wait_alu 0xfffd
	v_add_co_ci_u32_e64 v5, null, s17, v5, vcc_lo
	global_store_b128 v[4:5], v[13:16], off
	s_and_saveexec_b32 s2, s0
	s_cbranch_execz .LBB76_92
; %bb.91:
	v_ashrrev_i32_e32 v1, 31, v0
	v_mov_b32_e32 v9, v2
	s_delay_alu instid0(VALU_DEP_2) | instskip(NEXT) | instid1(VALU_DEP_1)
	v_lshlrev_b64_e32 v[4:5], 3, v[0:1]
	v_add_co_u32 v4, vcc_lo, s18, v4
	s_wait_alu 0xfffd
	s_delay_alu instid0(VALU_DEP_2)
	v_add_co_ci_u32_e64 v5, null, s19, v5, vcc_lo
	global_store_b64 v[4:5], v[9:10], off
.LBB76_92:
	s_wait_alu 0xfffe
	s_or_b32 exec_lo, exec_lo, s2
	v_cmp_ne_u32_e32 vcc_lo, 1, v12
	v_mov_b32_e32 v1, 1.0
	s_cbranch_vccnz .LBB76_94
; %bb.93:
	v_div_scale_f32 v1, null, v7, v7, 1.0
	s_delay_alu instid0(VALU_DEP_1) | instskip(NEXT) | instid1(TRANS32_DEP_1)
	v_rcp_f32_e32 v2, v1
	v_fma_f32 v4, -v1, v2, 1.0
	s_delay_alu instid0(VALU_DEP_1) | instskip(SKIP_1) | instid1(VALU_DEP_1)
	v_fmac_f32_e32 v2, v4, v2
	v_div_scale_f32 v4, vcc_lo, 1.0, v7, 1.0
	v_mul_f32_e32 v5, v4, v2
	s_delay_alu instid0(VALU_DEP_1) | instskip(NEXT) | instid1(VALU_DEP_1)
	v_fma_f32 v6, -v1, v5, v4
	v_fmac_f32_e32 v5, v6, v2
	s_delay_alu instid0(VALU_DEP_1) | instskip(SKIP_1) | instid1(VALU_DEP_1)
	v_fma_f32 v1, -v1, v5, v4
	s_wait_alu 0xfffd
	v_div_fmas_f32 v1, v1, v2, v5
	s_delay_alu instid0(VALU_DEP_1)
	v_div_fixup_f32 v1, v1, v7, 1.0
.LBB76_94:
	v_dual_mov_b32 v5, 0 :: v_dual_add_nc_u32 v0, s1, v0
	v_lshrrev_b32_e32 v2, 16, v45
	v_lshrrev_b32_e32 v6, 16, v44
	v_cvt_f32_f16_e32 v7, v45
	s_delay_alu instid0(VALU_DEP_4) | instskip(SKIP_3) | instid1(VALU_DEP_4)
	v_lshl_add_u32 v4, v0, 7, v28
	v_cvt_f32_f16_e32 v10, v44
	v_cvt_f32_f16_e32 v2, v2
	;; [unrolled: 1-line block ×3, first 2 shown]
	v_lshlrev_b64_e32 v[8:9], 2, v[4:5]
	v_mul_f32_e32 v4, v1, v7
	v_mul_f32_e32 v6, v1, v10
	;; [unrolled: 1-line block ×4, first 2 shown]
	v_add_co_u32 v1, vcc_lo, s16, v8
	s_wait_alu 0xfffd
	v_add_co_ci_u32_e64 v2, null, s17, v9, vcc_lo
	global_store_b128 v[1:2], v[4:7], off
	s_and_b32 exec_lo, exec_lo, s0
	s_cbranch_execz .LBB76_78
; %bb.95:
	v_ashrrev_i32_e32 v1, 31, v0
	v_mov_b32_e32 v10, v3
	s_delay_alu instid0(VALU_DEP_2) | instskip(NEXT) | instid1(VALU_DEP_1)
	v_lshlrev_b64_e32 v[0:1], 3, v[0:1]
	v_add_co_u32 v0, vcc_lo, s18, v0
	s_wait_alu 0xfffd
	s_delay_alu instid0(VALU_DEP_2)
	v_add_co_ci_u32_e64 v1, null, s19, v1, vcc_lo
	global_store_b64 v[0:1], v[10:11], off
	s_nop 0
	s_sendmsg sendmsg(MSG_DEALLOC_VGPRS)
	s_endpgm
	.section	.rodata,"a",@progbits
	.p2align	6, 0x0
	.amdhsa_kernel _ZL15flash_attn_tileILi128ELi128ELi8ELi4ELb1EEvPKcS1_S1_S1_S1_PKiPfP15HIP_vector_typeIfLj2EEffffjfiS5_IjLj3EEiiiiiiiiiiiliiliiiiil
		.amdhsa_group_segment_fixed_size 34816
		.amdhsa_private_segment_fixed_size 0
		.amdhsa_kernarg_size 464
		.amdhsa_user_sgpr_count 2
		.amdhsa_user_sgpr_dispatch_ptr 0
		.amdhsa_user_sgpr_queue_ptr 0
		.amdhsa_user_sgpr_kernarg_segment_ptr 1
		.amdhsa_user_sgpr_dispatch_id 0
		.amdhsa_user_sgpr_private_segment_size 0
		.amdhsa_wavefront_size32 1
		.amdhsa_uses_dynamic_stack 0
		.amdhsa_enable_private_segment 0
		.amdhsa_system_sgpr_workgroup_id_x 1
		.amdhsa_system_sgpr_workgroup_id_y 1
		.amdhsa_system_sgpr_workgroup_id_z 1
		.amdhsa_system_sgpr_workgroup_info 0
		.amdhsa_system_vgpr_workitem_id 1
		.amdhsa_next_free_vgpr 217
		.amdhsa_next_free_sgpr 42
		.amdhsa_reserve_vcc 1
		.amdhsa_float_round_mode_32 0
		.amdhsa_float_round_mode_16_64 0
		.amdhsa_float_denorm_mode_32 3
		.amdhsa_float_denorm_mode_16_64 3
		.amdhsa_fp16_overflow 0
		.amdhsa_workgroup_processor_mode 1
		.amdhsa_memory_ordered 1
		.amdhsa_forward_progress 1
		.amdhsa_inst_pref_size 252
		.amdhsa_round_robin_scheduling 0
		.amdhsa_exception_fp_ieee_invalid_op 0
		.amdhsa_exception_fp_denorm_src 0
		.amdhsa_exception_fp_ieee_div_zero 0
		.amdhsa_exception_fp_ieee_overflow 0
		.amdhsa_exception_fp_ieee_underflow 0
		.amdhsa_exception_fp_ieee_inexact 0
		.amdhsa_exception_int_div_zero 0
	.end_amdhsa_kernel
	.section	.text._ZL15flash_attn_tileILi128ELi128ELi8ELi4ELb1EEvPKcS1_S1_S1_S1_PKiPfP15HIP_vector_typeIfLj2EEffffjfiS5_IjLj3EEiiiiiiiiiiiliiliiiiil,"axG",@progbits,_ZL15flash_attn_tileILi128ELi128ELi8ELi4ELb1EEvPKcS1_S1_S1_S1_PKiPfP15HIP_vector_typeIfLj2EEffffjfiS5_IjLj3EEiiiiiiiiiiiliiliiiiil,comdat
.Lfunc_end76:
	.size	_ZL15flash_attn_tileILi128ELi128ELi8ELi4ELb1EEvPKcS1_S1_S1_S1_PKiPfP15HIP_vector_typeIfLj2EEffffjfiS5_IjLj3EEiiiiiiiiiiiliiliiiiil, .Lfunc_end76-_ZL15flash_attn_tileILi128ELi128ELi8ELi4ELb1EEvPKcS1_S1_S1_S1_PKiPfP15HIP_vector_typeIfLj2EEffffjfiS5_IjLj3EEiiiiiiiiiiiliiliiiiil
                                        ; -- End function
	.set _ZL15flash_attn_tileILi128ELi128ELi8ELi4ELb1EEvPKcS1_S1_S1_S1_PKiPfP15HIP_vector_typeIfLj2EEffffjfiS5_IjLj3EEiiiiiiiiiiiliiliiiiil.num_vgpr, 169
	.set _ZL15flash_attn_tileILi128ELi128ELi8ELi4ELb1EEvPKcS1_S1_S1_S1_PKiPfP15HIP_vector_typeIfLj2EEffffjfiS5_IjLj3EEiiiiiiiiiiiliiliiiiil.num_agpr, 0
	.set _ZL15flash_attn_tileILi128ELi128ELi8ELi4ELb1EEvPKcS1_S1_S1_S1_PKiPfP15HIP_vector_typeIfLj2EEffffjfiS5_IjLj3EEiiiiiiiiiiiliiliiiiil.numbered_sgpr, 42
	.set _ZL15flash_attn_tileILi128ELi128ELi8ELi4ELb1EEvPKcS1_S1_S1_S1_PKiPfP15HIP_vector_typeIfLj2EEffffjfiS5_IjLj3EEiiiiiiiiiiiliiliiiiil.num_named_barrier, 0
	.set _ZL15flash_attn_tileILi128ELi128ELi8ELi4ELb1EEvPKcS1_S1_S1_S1_PKiPfP15HIP_vector_typeIfLj2EEffffjfiS5_IjLj3EEiiiiiiiiiiiliiliiiiil.private_seg_size, 0
	.set _ZL15flash_attn_tileILi128ELi128ELi8ELi4ELb1EEvPKcS1_S1_S1_S1_PKiPfP15HIP_vector_typeIfLj2EEffffjfiS5_IjLj3EEiiiiiiiiiiiliiliiiiil.uses_vcc, 1
	.set _ZL15flash_attn_tileILi128ELi128ELi8ELi4ELb1EEvPKcS1_S1_S1_S1_PKiPfP15HIP_vector_typeIfLj2EEffffjfiS5_IjLj3EEiiiiiiiiiiiliiliiiiil.uses_flat_scratch, 0
	.set _ZL15flash_attn_tileILi128ELi128ELi8ELi4ELb1EEvPKcS1_S1_S1_S1_PKiPfP15HIP_vector_typeIfLj2EEffffjfiS5_IjLj3EEiiiiiiiiiiiliiliiiiil.has_dyn_sized_stack, 0
	.set _ZL15flash_attn_tileILi128ELi128ELi8ELi4ELb1EEvPKcS1_S1_S1_S1_PKiPfP15HIP_vector_typeIfLj2EEffffjfiS5_IjLj3EEiiiiiiiiiiiliiliiiiil.has_recursion, 0
	.set _ZL15flash_attn_tileILi128ELi128ELi8ELi4ELb1EEvPKcS1_S1_S1_S1_PKiPfP15HIP_vector_typeIfLj2EEffffjfiS5_IjLj3EEiiiiiiiiiiiliiliiiiil.has_indirect_call, 0
	.section	.AMDGPU.csdata,"",@progbits
; Kernel info:
; codeLenInByte = 32180
; TotalNumSgprs: 44
; NumVgprs: 169
; ScratchSize: 0
; MemoryBound: 0
; FloatMode: 240
; IeeeMode: 1
; LDSByteSize: 34816 bytes/workgroup (compile time only)
; SGPRBlocks: 0
; VGPRBlocks: 27
; NumSGPRsForWavesPerEU: 44
; NumVGPRsForWavesPerEU: 217
; Occupancy: 6
; WaveLimiterHint : 1
; COMPUTE_PGM_RSRC2:SCRATCH_EN: 0
; COMPUTE_PGM_RSRC2:USER_SGPR: 2
; COMPUTE_PGM_RSRC2:TRAP_HANDLER: 0
; COMPUTE_PGM_RSRC2:TGID_X_EN: 1
; COMPUTE_PGM_RSRC2:TGID_Y_EN: 1
; COMPUTE_PGM_RSRC2:TGID_Z_EN: 1
; COMPUTE_PGM_RSRC2:TIDIG_COMP_CNT: 1
	.section	.text._ZL15flash_attn_tileILi128ELi128ELi4ELi4ELb1EEvPKcS1_S1_S1_S1_PKiPfP15HIP_vector_typeIfLj2EEffffjfiS5_IjLj3EEiiiiiiiiiiiliiliiiiil,"axG",@progbits,_ZL15flash_attn_tileILi128ELi128ELi4ELi4ELb1EEvPKcS1_S1_S1_S1_PKiPfP15HIP_vector_typeIfLj2EEffffjfiS5_IjLj3EEiiiiiiiiiiiliiliiiiil,comdat
	.globl	_ZL15flash_attn_tileILi128ELi128ELi4ELi4ELb1EEvPKcS1_S1_S1_S1_PKiPfP15HIP_vector_typeIfLj2EEffffjfiS5_IjLj3EEiiiiiiiiiiiliiliiiiil ; -- Begin function _ZL15flash_attn_tileILi128ELi128ELi4ELi4ELb1EEvPKcS1_S1_S1_S1_PKiPfP15HIP_vector_typeIfLj2EEffffjfiS5_IjLj3EEiiiiiiiiiiiliiliiiiil
	.p2align	8
	.type	_ZL15flash_attn_tileILi128ELi128ELi4ELi4ELb1EEvPKcS1_S1_S1_S1_PKiPfP15HIP_vector_typeIfLj2EEffffjfiS5_IjLj3EEiiiiiiiiiiiliiliiiiil,@function
_ZL15flash_attn_tileILi128ELi128ELi4ELi4ELb1EEvPKcS1_S1_S1_S1_PKiPfP15HIP_vector_typeIfLj2EEffffjfiS5_IjLj3EEiiiiiiiiiiiliiliiiiil: ; @_ZL15flash_attn_tileILi128ELi128ELi4ELi4ELb1EEvPKcS1_S1_S1_S1_PKiPfP15HIP_vector_typeIfLj2EEffffjfiS5_IjLj3EEiiiiiiiiiiiliiliiiiil
; %bb.0:
	s_clause 0x1
	s_load_b128 s[20:23], s[0:1], 0x5c
	s_load_b64 s[28:29], s[0:1], 0x80
	s_lshr_b32 s5, ttmp7, 16
	s_load_b64 s[36:37], s[0:1], 0xb8
	s_mov_b32 s35, 0
	s_mov_b64 s[30:31], 0
	s_wait_kmcnt 0x0
	s_ashr_i32 s2, s23, 31
	s_delay_alu instid0(SALU_CYCLE_1) | instskip(NEXT) | instid1(SALU_CYCLE_1)
	s_lshr_b32 s2, s2, 30
	s_add_co_i32 s2, s23, s2
	s_delay_alu instid0(SALU_CYCLE_1) | instskip(NEXT) | instid1(SALU_CYCLE_1)
	s_ashr_i32 s2, s2, 2
	s_cvt_f32_u32 s3, s2
	s_sub_co_i32 s4, 0, s2
	s_delay_alu instid0(SALU_CYCLE_2) | instskip(NEXT) | instid1(TRANS32_DEP_1)
	v_rcp_iflag_f32_e32 v1, s3
	v_readfirstlane_b32 s3, v1
	s_mul_f32 s3, s3, 0x4f7ffffe
	s_wait_alu 0xfffe
	s_delay_alu instid0(SALU_CYCLE_2) | instskip(SKIP_1) | instid1(SALU_CYCLE_2)
	s_cvt_u32_f32 s3, s3
	s_wait_alu 0xfffe
	s_mul_i32 s4, s4, s3
	s_delay_alu instid0(SALU_CYCLE_1) | instskip(NEXT) | instid1(SALU_CYCLE_1)
	s_mul_hi_u32 s4, s3, s4
	s_add_co_i32 s3, s3, s4
	s_wait_alu 0xfffe
	s_mul_hi_u32 s3, s5, s3
	s_wait_alu 0xfffe
	s_mul_i32 s4, s3, s2
	s_add_co_i32 s6, s3, 1
	s_sub_co_i32 s4, s5, s4
	s_delay_alu instid0(SALU_CYCLE_1)
	s_sub_co_i32 s7, s4, s2
	s_cmp_ge_u32 s4, s2
	s_cselect_b32 s3, s6, s3
	s_cselect_b32 s4, s7, s4
	s_wait_alu 0xfffe
	s_add_co_i32 s6, s3, 1
	s_cmp_ge_u32 s4, s2
	s_cselect_b32 s2, s6, s3
	s_abs_i32 s3, s29
	s_abs_i32 s8, s23
	s_wait_alu 0xfffe
	s_cvt_f32_u32 s4, s3
	s_sub_co_i32 s6, 0, s3
	s_lshl_b32 s5, s5, 2
	s_mul_i32 s7, s2, s23
	v_rcp_iflag_f32_e32 v1, s4
	s_sub_co_i32 s33, s5, s7
	s_xor_b32 s5, s23, s29
	s_wait_alu 0xfffe
	s_ashr_i32 s24, s5, 31
	s_delay_alu instid0(TRANS32_DEP_1) | instskip(SKIP_2) | instid1(SALU_CYCLE_2)
	v_readfirstlane_b32 s4, v1
	s_mul_f32 s4, s4, 0x4f7ffffe
	s_wait_alu 0xfffe
	s_cvt_u32_f32 s4, s4
	s_wait_alu 0xfffe
	s_delay_alu instid0(SALU_CYCLE_2) | instskip(NEXT) | instid1(SALU_CYCLE_1)
	s_mul_i32 s6, s6, s4
	s_mul_hi_u32 s6, s4, s6
	s_delay_alu instid0(SALU_CYCLE_1) | instskip(SKIP_4) | instid1(SALU_CYCLE_1)
	s_add_co_i32 s4, s4, s6
	s_wait_alu 0xfffe
	s_mul_hi_u32 s4, s8, s4
	s_wait_alu 0xfffe
	s_mul_i32 s6, s4, s3
	s_sub_co_i32 s5, s8, s6
	s_add_co_i32 s6, s4, 1
	s_wait_alu 0xfffe
	s_sub_co_i32 s7, s5, s3
	s_cmp_ge_u32 s5, s3
	s_cselect_b32 s4, s6, s4
	s_cselect_b32 s5, s7, s5
	s_wait_alu 0xfffe
	s_add_co_i32 s6, s4, 1
	s_cmp_ge_u32 s5, s3
	s_cselect_b32 s3, s6, s4
	s_load_b512 s[4:19], s[0:1], 0x0
	s_xor_b32 s3, s3, s24
	s_wait_alu 0xfffe
	s_sub_co_i32 s38, s3, s24
	s_delay_alu instid0(SALU_CYCLE_1) | instskip(NEXT) | instid1(SALU_CYCLE_1)
	s_abs_i32 s29, s38
	s_cvt_f32_u32 s3, s29
	s_wait_alu 0xfffe
	s_delay_alu instid0(SALU_CYCLE_2) | instskip(SKIP_2) | instid1(TRANS32_DEP_1)
	v_rcp_iflag_f32_e32 v1, s3
	s_wait_kmcnt 0x0
	s_cmp_eq_u64 s[10:11], 0
	v_readfirstlane_b32 s27, v1
	s_cbranch_scc1 .LBB77_2
; %bb.1:
	s_abs_i32 s3, s36
	s_wait_alu 0xfffe
	s_cvt_f32_u32 s24, s3
	s_delay_alu instid0(SALU_CYCLE_3) | instskip(NEXT) | instid1(TRANS32_DEP_1)
	v_rcp_iflag_f32_e32 v1, s24
	v_readfirstlane_b32 s24, v1
	s_mul_f32 s24, s24, 0x4f7ffffe
	s_wait_alu 0xfffe
	s_delay_alu instid0(SALU_CYCLE_2) | instskip(SKIP_2) | instid1(SALU_CYCLE_1)
	s_cvt_u32_f32 s26, s24
	s_sub_co_i32 s24, 0, s3
	s_wait_alu 0xfffe
	s_mul_i32 s24, s24, s26
	s_wait_alu 0xfffe
	s_mul_hi_u32 s30, s26, s24
	s_load_b64 s[24:25], s[0:1], 0xc8
	s_add_co_i32 s26, s26, s30
	s_delay_alu instid0(SALU_CYCLE_1) | instskip(NEXT) | instid1(SALU_CYCLE_1)
	s_mul_hi_u32 s26, s2, s26
	s_mul_i32 s26, s26, s3
	s_delay_alu instid0(SALU_CYCLE_1) | instskip(NEXT) | instid1(SALU_CYCLE_1)
	s_sub_co_i32 s26, s2, s26
	s_sub_co_i32 s30, s26, s3
	s_cmp_ge_u32 s26, s3
	s_cselect_b32 s26, s30, s26
	s_delay_alu instid0(SALU_CYCLE_1) | instskip(SKIP_2) | instid1(SALU_CYCLE_1)
	s_sub_co_i32 s30, s26, s3
	s_cmp_ge_u32 s26, s3
	s_cselect_b32 s30, s30, s26
	s_ashr_i32 s31, s30, 31
	s_wait_kmcnt 0x0
	s_mul_u64 s[24:25], s[24:25], s[30:31]
	s_wait_alu 0xfffe
	s_add_nc_u64 s[30:31], s[10:11], s[24:25]
.LBB77_2:
	v_lshrrev_b32_e32 v1, 10, v0
	s_load_b96 s[24:26], s[0:1], 0x70
	v_bfe_u32 v13, v0, 10, 10
	v_and_b32_e32 v0, 0x3ff, v0
	s_delay_alu instid0(VALU_DEP_3) | instskip(NEXT) | instid1(VALU_DEP_3)
	v_bfe_u32 v1, v1, 1, 9
	v_lshlrev_b32_e32 v3, 1, v13
	s_delay_alu instid0(VALU_DEP_3) | instskip(NEXT) | instid1(VALU_DEP_3)
	v_lshlrev_b32_e32 v39, 3, v0
	v_lshl_add_u32 v1, ttmp9, 2, v1
	s_delay_alu instid0(VALU_DEP_3) | instskip(SKIP_1) | instid1(VALU_DEP_3)
	v_or_b32_e32 v14, 1, v3
	v_and_b32_e32 v37, 2, v3
	v_mul_hi_u32 v2, s20, v1
	s_delay_alu instid0(VALU_DEP_3) | instskip(SKIP_3) | instid1(VALU_DEP_2)
	v_and_b32_e32 v10, 3, v14
	s_wait_kmcnt 0x0
	s_mul_i32 s10, s33, s25
	s_mov_b32 s20, s25
	v_add_nc_u32_e32 v2, v1, v2
	s_delay_alu instid0(VALU_DEP_1)
	v_lshrrev_b32_e32 v2, s21, v2
	s_ashr_i32 s21, s25, 31
	s_ashr_i32 s25, s24, 31
	s_wait_alu 0xfffe
	s_lshr_b32 s3, s21, 2
	s_lshr_b64 s[40:41], s[24:25], 2
	v_mul_lo_u32 v2, v2, s22
	s_lshr_b32 s11, s25, 2
	s_wait_alu 0xfffe
	v_mul_lo_u32 v11, s3, v37
	s_delay_alu instid0(VALU_DEP_2) | instskip(NEXT) | instid1(VALU_DEP_1)
	v_sub_nc_u32_e32 v2, v1, v2
	v_mad_co_u64_u32 v[4:5], null, s40, v2, 0
	s_lshr_b64 s[40:41], s[20:21], 2
	s_mul_i32 s20, s2, s26
	s_wait_alu 0xfffe
	v_mad_co_u64_u32 v[8:9], null, s40, v37, 0
	s_ashr_i32 s21, s20, 31
	s_wait_alu 0xfffe
	s_add_nc_u64 s[4:5], s[4:5], s[20:21]
	v_mad_co_u64_u32 v[5:6], null, s11, v2, v[5:6]
	v_mad_co_u64_u32 v[6:7], null, s40, v10, 0
	v_or_b32_e32 v9, v9, v11
	s_ashr_i32 s11, s10, 31
	s_cmp_eq_u64 s[14:15], 0
	s_wait_alu 0xfffe
	s_add_nc_u64 s[4:5], s[4:5], s[10:11]
	s_delay_alu instid0(VALU_DEP_3) | instskip(NEXT) | instid1(VALU_DEP_3)
	v_lshlrev_b64_e32 v[4:5], 2, v[4:5]
	v_mad_co_u64_u32 v[10:11], null, s3, v10, v[7:8]
	v_lshlrev_b32_e32 v11, 4, v0
	v_lshlrev_b64_e32 v[8:9], 2, v[8:9]
	s_wait_alu 0xfffe
	s_delay_alu instid0(VALU_DEP_4) | instskip(NEXT) | instid1(VALU_DEP_1)
	v_add_co_u32 v4, vcc_lo, s4, v4
	v_add_co_ci_u32_e64 v5, null, s5, v5, vcc_lo
	v_mov_b32_e32 v7, v10
	s_delay_alu instid0(VALU_DEP_3) | instskip(SKIP_1) | instid1(VALU_DEP_3)
	v_add_co_u32 v10, vcc_lo, v4, v11
	s_wait_alu 0xfffd
	v_add_co_ci_u32_e64 v11, null, 0, v5, vcc_lo
	s_delay_alu instid0(VALU_DEP_3) | instskip(NEXT) | instid1(VALU_DEP_3)
	v_lshlrev_b64_e32 v[4:5], 2, v[6:7]
	v_add_co_u32 v6, vcc_lo, v10, v8
	s_wait_alu 0xfffd
	s_delay_alu instid0(VALU_DEP_3)
	v_add_co_ci_u32_e64 v7, null, v11, v9, vcc_lo
	s_load_b32 s3, s[0:1], 0x40
	v_add_co_u32 v9, vcc_lo, v10, v4
	s_wait_alu 0xfffd
	v_add_co_ci_u32_e64 v10, null, v11, v5, vcc_lo
	s_clause 0x1
	global_load_b128 v[5:8], v[6:7], off
	global_load_b128 v[9:12], v[9:10], off
	v_lshlrev_b32_e32 v4, 9, v13
	v_add_nc_u32_e32 v13, 0x9800, v39
	s_delay_alu instid0(VALU_DEP_1)
	v_add_nc_u32_e32 v15, v13, v4
	s_wait_loadcnt 0x1
	s_wait_kmcnt 0x0
	v_fma_mixlo_f16 v5, s3, v5, 0
	v_fma_mixlo_f16 v6, s3, v6, 0
	s_wait_loadcnt 0x0
	v_fma_mixlo_f16 v9, s3, v9, 0
	v_fma_mixlo_f16 v10, s3, v10, 0
	;; [unrolled: 1-line block ×4, first 2 shown]
	v_lshlrev_b32_e32 v6, 16, v6
	v_and_b32_e32 v5, 0xffff, v5
	v_fma_mixlo_f16 v11, s3, v11, 0
	v_fma_mixlo_f16 v12, s3, v12, 0
	v_lshlrev_b32_e32 v10, 16, v10
	v_and_b32_e32 v9, 0xffff, v9
	v_lshlrev_b32_e32 v8, 16, v8
	v_and_b32_e32 v7, 0xffff, v7
	v_or_b32_e32 v5, v6, v5
	v_lshlrev_b32_e32 v12, 16, v12
	v_and_b32_e32 v11, 0xffff, v11
	v_or_b32_e32 v9, v10, v9
	v_or3_b32 v6, v8, v7, 0
	v_or3_b32 v5, 0, 0, v5
	v_lshl_add_u32 v10, v14, 8, v13
	v_or3_b32 v8, v12, v11, 0
	v_or3_b32 v7, 0, 0, v9
	ds_store_b64 v15, v[5:6]
	ds_store_b64 v10, v[7:8]
	s_wait_dscnt 0x0
	s_barrier_signal -1
	s_barrier_wait -1
	global_inv scope:SCOPE_SE
	s_cbranch_scc1 .LBB77_4
; %bb.3:
	s_load_b32 s3, s[0:1], 0xd0
	s_mov_b32 s5, 0
	s_wait_kmcnt 0x0
	s_mul_i32 s3, s3, s2
	s_wait_alu 0xfffe
	s_add_co_i32 s4, s3, ttmp9
	s_wait_alu 0xfffe
	s_lshl_b64 s[4:5], s[4:5], 2
	s_wait_alu 0xfffe
	s_add_nc_u64 s[4:5], s[14:15], s[4:5]
	s_load_b32 s28, s[4:5], 0x0
.LBB77_4:
	s_and_b32 s4, ttmp7, 0xffff
	v_mbcnt_lo_u32_b32 v40, -1, 0
	s_wait_alu 0xfffe
	s_lshl_b32 s10, s4, 7
	s_wait_kmcnt 0x0
	s_wait_alu 0xfffe
	s_cmp_lt_i32 s10, s28
	s_cbranch_scc1 .LBB77_7
; %bb.5:
	v_mbcnt_lo_u32_b32 v5, -1, 0
	v_mov_b32_e32 v41, 32
	s_delay_alu instid0(VALU_DEP_2)
	v_xor_b32_e32 v74, 16, v5
	v_xor_b32_e32 v70, 8, v5
	;; [unrolled: 1-line block ×5, first 2 shown]
	v_lshlrev_b32_e32 v38, 2, v0
	s_mov_b32 s3, 0
	s_cbranch_execz .LBB77_8
; %bb.6:
	v_dual_mov_b32 v65, 0 :: v_dual_mov_b32 v76, 0
	v_dual_mov_b32 v36, 0xfeffffff :: v_dual_mov_b32 v35, 0xfeffffff
	;; [unrolled: 1-line block ×4, first 2 shown]
	s_branch .LBB77_44
.LBB77_7:
                                        ; implicit-def: $vgpr5
                                        ; implicit-def: $vgpr41
                                        ; implicit-def: $vgpr74
                                        ; implicit-def: $vgpr70
                                        ; implicit-def: $vgpr71
                                        ; implicit-def: $vgpr72
                                        ; implicit-def: $vgpr73
	v_lshlrev_b32_e32 v38, 2, v0
	s_mov_b32 s3, 0
.LBB77_8:
	s_mul_f32 s5, s27, 0x4f7ffffe
	s_clause 0x1
	s_load_b128 s[24:27], s[0:1], 0x98
	s_load_b64 s[20:21], s[0:1], 0x8c
	s_sub_co_i32 s14, 0, s29
	s_abs_i32 s34, s33
	s_cvt_u32_f32 s11, s5
	s_load_b32 s5, s[0:1], 0x54
	s_mov_b32 s15, s35
	v_lshrrev_b32_e32 v5, 4, v0
	s_mul_i32 s14, s14, s11
	s_ashr_i32 s39, s33, 31
	s_mul_hi_u32 s14, s11, s14
	s_delay_alu instid0(VALU_DEP_1)
	v_dual_mov_b32 v64, 0 :: v_dual_add_nc_u32 v3, v5, v3
	s_add_co_i32 s14, s11, s14
	s_ashr_i32 s11, s38, 31
	s_ashr_i32 s38, s37, 1
	s_load_b64 s[36:37], s[0:1], 0xa8
	s_mul_u64 s[14:15], s[34:35], s[14:15]
	s_xor_b32 s11, s39, s11
	s_mul_i32 s35, s15, s29
	s_wait_kmcnt 0x0
	s_ashr_i32 s14, s26, 2
	s_sub_co_i32 s26, s34, s35
	s_add_co_i32 s39, s15, 1
	s_ashr_i32 s20, s20, 2
	s_sub_co_i32 s34, s26, s29
	s_cmp_ge_u32 s26, s29
	s_wait_alu 0xfffe
	v_mul_lo_u32 v5, s20, v3
	s_cselect_b32 s15, s39, s15
	s_cselect_b32 s26, s34, s26
	s_add_co_i32 s34, s15, 1
	s_cmp_ge_u32 s26, s29
	v_mul_lo_u32 v19, s14, v3
	s_cselect_b32 s15, s34, s15
	s_mul_u64 s[24:25], s[24:25], s[2:3]
	s_wait_alu 0xfffe
	s_xor_b32 s15, s15, s11
	v_mov_b32_e32 v68, 0xfeffffff
	s_wait_alu 0xfffe
	s_sub_co_i32 s11, s15, s11
	s_lshl_b32 s15, s20, 4
	s_mul_u64 s[34:35], s[36:37], s[2:3]
	s_lshl_b32 s3, s14, 4
	s_wait_alu 0xfffe
	v_add_nc_u32_e32 v7, s15, v5
	v_dual_mov_b32 v62, 0 :: v_dual_add_nc_u32 v21, s3, v19
	v_dual_mov_b32 v66, 0 :: v_dual_and_b32 v41, 60, v38
	s_delay_alu instid0(VALU_DEP_3) | instskip(NEXT) | instid1(VALU_DEP_3)
	v_add_nc_u32_e32 v9, s15, v7
	v_add_nc_u32_e32 v23, s3, v21
	s_delay_alu instid0(VALU_DEP_3) | instskip(SKIP_1) | instid1(VALU_DEP_4)
	v_dual_mov_b32 v63, 0 :: v_dual_lshlrev_b32 v20, 2, v41
	v_ashrrev_i32_e32 v6, 31, v5
	v_add_nc_u32_e32 v11, s15, v9
	s_delay_alu instid0(VALU_DEP_4)
	v_add_nc_u32_e32 v27, s3, v23
	v_ashrrev_i32_e32 v8, 31, v7
	v_mad_u32_u24 v42, 0x110, v3, v20
	v_ashrrev_i32_e32 v10, 31, v9
	v_add_nc_u32_e32 v13, s15, v11
	v_add_nc_u32_e32 v29, s3, v27
	v_ashrrev_i32_e32 v12, 31, v11
	v_lshl_or_b32 v52, v3, 8, v20
	v_ashrrev_i32_e32 v20, 31, v19
	v_add_nc_u32_e32 v15, s15, v13
	v_add_nc_u32_e32 v31, s3, v29
	v_ashrrev_i32_e32 v14, 31, v13
	v_ashrrev_i32_e32 v22, 31, v21
	v_ashrrev_i32_e32 v24, 31, v23
	v_add_nc_u32_e32 v17, s15, v15
	v_add_nc_u32_e32 v33, s3, v31
	v_ashrrev_i32_e32 v16, 31, v15
	v_ashrrev_i32_e32 v28, 31, v27
	v_ashrrev_i32_e32 v30, 31, v29
	v_add_nc_u32_e32 v25, s15, v17
	v_add_nc_u32_e32 v35, s3, v33
	v_ashrrev_i32_e32 v18, 31, v17
	v_ashrrev_i32_e32 v32, 31, v31
	v_ashrrev_i32_e32 v34, 31, v33
	v_ashrrev_i32_e32 v26, 31, v25
	;; [unrolled: 1-line block ×3, first 2 shown]
	v_mad_co_u64_u32 v[2:3], null, v2, s38, v[0:1]
	s_add_nc_u64 s[6:7], s[6:7], s[24:25]
	s_mul_i32 s24, s11, s21
	s_mul_i32 s26, s11, s27
	v_add_nc_u32_e32 v50, 0x9800, v4
	v_add_nc_u32_e32 v53, 0x8800, v4
	v_lshlrev_b64_e32 v[3:4], 2, v[5:6]
	v_lshlrev_b64_e32 v[5:6], 2, v[7:8]
	;; [unrolled: 1-line block ×16, first 2 shown]
	v_add_nc_u32_e32 v43, 0x1100, v42
	v_add_nc_u32_e32 v44, 0x2200, v42
	;; [unrolled: 1-line block ×3, first 2 shown]
	v_dual_mov_b32 v65, 0 :: v_dual_add_nc_u32 v46, 0x4400, v42
	v_add_nc_u32_e32 v47, 0x5500, v42
	v_dual_mov_b32 v67, 0 :: v_dual_add_nc_u32 v48, 0x6600, v42
	v_add_nc_u32_e32 v49, 0x7700, v42
	v_mul_u32_u24_e32 v51, 0x110, v0
	v_add_nc_u32_e32 v54, 0x1000, v52
	v_add_nc_u32_e32 v55, 0x2000, v52
	;; [unrolled: 1-line block ×7, first 2 shown]
	v_mov_b32_e32 v69, 0xfeffffff
	v_lshlrev_b32_e32 v61, 2, v41
	v_mov_b32_e32 v41, 32
	s_wait_alu 0xfffe
	s_ashr_i32 s25, s24, 31
	s_add_nc_u64 s[8:9], s[8:9], s[34:35]
	s_ashr_i32 s27, s26, 31
	s_wait_alu 0xfffe
	s_add_nc_u64 s[6:7], s[6:7], s[24:25]
	s_add_nc_u64 s[8:9], s[8:9], s[26:27]
	s_ashr_i32 s21, s20, 31
	s_ashr_i32 s15, s14, 31
	s_add_nc_u64 s[24:25], s[0:1], 0xd0
	s_mov_b32 s3, 0xbbbac73d
.LBB77_9:                               ; =>This Inner Loop Header: Depth=1
	s_ashr_i32 s11, s10, 31
	s_wait_alu 0xfffe
	s_mul_u64 s[26:27], s[10:11], s[20:21]
	s_wait_alu 0xfffe
	s_lshl_b64 s[26:27], s[26:27], 2
	s_wait_alu 0xfffe
	s_add_nc_u64 s[26:27], s[6:7], s[26:27]
	s_wait_alu 0xfffe
	v_add_co_u32 v35, vcc_lo, s26, v3
	s_wait_alu 0xfffd
	v_add_co_ci_u32_e64 v36, null, s27, v4, vcc_lo
	v_add_co_u32 v70, vcc_lo, s26, v5
	s_wait_alu 0xfffd
	v_add_co_ci_u32_e64 v71, null, s27, v6, vcc_lo
	;; [unrolled: 3-line block ×4, first 2 shown]
	s_clause 0x1
	global_load_b128 v[70:73], v[35:36], off
	global_load_b128 v[74:77], v[74:75], off
	v_add_co_u32 v35, vcc_lo, s26, v7
	s_wait_alu 0xfffd
	v_add_co_ci_u32_e64 v36, null, s27, v8, vcc_lo
	v_add_co_u32 v78, vcc_lo, s26, v9
	s_wait_alu 0xfffd
	v_add_co_ci_u32_e64 v79, null, s27, v10, vcc_lo
	;; [unrolled: 3-line block ×12, first 2 shown]
	s_clause 0x5
	global_load_b128 v[78:81], v[35:36], off
	global_load_b128 v[82:85], v[82:83], off
	;; [unrolled: 1-line block ×6, first 2 shown]
	s_wait_loadcnt 0x7
	ds_store_b128 v42, v[70:73]
	s_wait_loadcnt 0x6
	ds_store_b128 v43, v[74:77]
	;; [unrolled: 2-line block ×8, first 2 shown]
	s_wait_dscnt 0x0
	s_barrier_signal -1
	s_barrier_wait -1
	global_inv scope:SCOPE_SE
	ds_load_b128 v[79:82], v51
	ds_load_b128 v[83:86], v50
	ds_load_b128 v[87:90], v50 offset:256
	ds_load_b128 v[91:94], v51 offset:8704
	v_dual_mov_b32 v70, 0 :: v_dual_mov_b32 v75, 0
	ds_load_b128 v[95:98], v51 offset:17408
	ds_load_b128 v[99:102], v51 offset:26112
	s_wait_dscnt 0x4
	;;#ASMSTART
	v_dot2_f32_f16 v70, v79, v83, v70
	;;#ASMEND
	;;#ASMSTART
	v_dot2_f32_f16 v70, v80, v84, v70
	;;#ASMEND
	;;#ASMSTART
	v_dot2_f32_f16 v70, v81, v85, v70
	;;#ASMEND
	;;#ASMSTART
	v_dot2_f32_f16 v70, v82, v86, v70
	;;#ASMEND
	s_wait_dscnt 0x3
	;;#ASMSTART
	v_dot2_f32_f16 v75, v79, v87, v75
	;;#ASMEND
	;;#ASMSTART
	v_dot2_f32_f16 v75, v80, v88, v75
	;;#ASMEND
	v_dual_mov_b32 v71, 0 :: v_dual_mov_b32 v76, 0
	;;#ASMSTART
	v_dot2_f32_f16 v75, v81, v89, v75
	;;#ASMEND
	;;#ASMSTART
	v_dot2_f32_f16 v75, v82, v90, v75
	;;#ASMEND
	s_wait_dscnt 0x2
	;;#ASMSTART
	v_dot2_f32_f16 v71, v91, v83, v71
	;;#ASMEND
	;;#ASMSTART
	v_dot2_f32_f16 v71, v92, v84, v71
	;;#ASMEND
	;;#ASMSTART
	v_dot2_f32_f16 v71, v93, v85, v71
	;;#ASMEND
	;;#ASMSTART
	v_dot2_f32_f16 v71, v94, v86, v71
	;;#ASMEND
	;;#ASMSTART
	v_dot2_f32_f16 v76, v91, v87, v76
	;;#ASMEND
	;;#ASMSTART
	v_dot2_f32_f16 v76, v92, v88, v76
	;;#ASMEND
	v_dual_mov_b32 v72, 0 :: v_dual_mov_b32 v77, 0
	;;#ASMSTART
	v_dot2_f32_f16 v76, v93, v89, v76
	;;#ASMEND
	;;#ASMSTART
	v_dot2_f32_f16 v76, v94, v90, v76
	;;#ASMEND
	s_wait_dscnt 0x1
	;;#ASMSTART
	v_dot2_f32_f16 v72, v95, v83, v72
	;;#ASMEND
	;;#ASMSTART
	v_dot2_f32_f16 v72, v96, v84, v72
	;;#ASMEND
	;;#ASMSTART
	v_dot2_f32_f16 v72, v97, v85, v72
	;;#ASMEND
	;;#ASMSTART
	v_dot2_f32_f16 v72, v98, v86, v72
	;;#ASMEND
	;; [unrolled: 26-line block ×3, first 2 shown]
	;;#ASMSTART
	v_dot2_f32_f16 v78, v99, v87, v78
	;;#ASMEND
	;;#ASMSTART
	v_dot2_f32_f16 v78, v100, v88, v78
	;;#ASMEND
	;; [unrolled: 3-line block ×4, first 2 shown]
	ds_load_b128 v[79:82], v51 offset:16
	ds_load_b128 v[83:86], v50 offset:16
	;; [unrolled: 1-line block ×6, first 2 shown]
	s_wait_dscnt 0x4
	;;#ASMSTART
	v_dot2_f32_f16 v70, v79, v83, v70
	;;#ASMEND
	;;#ASMSTART
	v_dot2_f32_f16 v70, v80, v84, v70
	;;#ASMEND
	;;#ASMSTART
	v_dot2_f32_f16 v70, v81, v85, v70
	;;#ASMEND
	;;#ASMSTART
	v_dot2_f32_f16 v70, v82, v86, v70
	;;#ASMEND
	s_wait_dscnt 0x3
	;;#ASMSTART
	v_dot2_f32_f16 v75, v79, v87, v75
	;;#ASMEND
	;;#ASMSTART
	v_dot2_f32_f16 v75, v80, v88, v75
	;;#ASMEND
	;;#ASMSTART
	v_dot2_f32_f16 v75, v81, v89, v75
	;;#ASMEND
	;;#ASMSTART
	v_dot2_f32_f16 v75, v82, v90, v75
	;;#ASMEND
	;; [unrolled: 13-line block ×3, first 2 shown]
	;;#ASMSTART
	v_dot2_f32_f16 v76, v91, v87, v76
	;;#ASMEND
	;;#ASMSTART
	v_dot2_f32_f16 v76, v92, v88, v76
	;;#ASMEND
	;;#ASMSTART
	v_dot2_f32_f16 v76, v93, v89, v76
	;;#ASMEND
	;;#ASMSTART
	v_dot2_f32_f16 v76, v94, v90, v76
	;;#ASMEND
	s_wait_dscnt 0x1
	;;#ASMSTART
	v_dot2_f32_f16 v72, v95, v83, v72
	;;#ASMEND
	;;#ASMSTART
	v_dot2_f32_f16 v72, v96, v84, v72
	;;#ASMEND
	;; [unrolled: 3-line block ×8, first 2 shown]
	s_wait_dscnt 0x0
	;;#ASMSTART
	v_dot2_f32_f16 v73, v99, v83, v73
	;;#ASMEND
	;;#ASMSTART
	v_dot2_f32_f16 v73, v100, v84, v73
	;;#ASMEND
	;; [unrolled: 3-line block ×8, first 2 shown]
	ds_load_b128 v[79:82], v51 offset:32
	ds_load_b128 v[83:86], v50 offset:32
	;; [unrolled: 1-line block ×6, first 2 shown]
	s_wait_dscnt 0x4
	;;#ASMSTART
	v_dot2_f32_f16 v70, v79, v83, v70
	;;#ASMEND
	;;#ASMSTART
	v_dot2_f32_f16 v70, v80, v84, v70
	;;#ASMEND
	;;#ASMSTART
	v_dot2_f32_f16 v70, v81, v85, v70
	;;#ASMEND
	;;#ASMSTART
	v_dot2_f32_f16 v70, v82, v86, v70
	;;#ASMEND
	s_wait_dscnt 0x3
	;;#ASMSTART
	v_dot2_f32_f16 v75, v79, v87, v75
	;;#ASMEND
	;;#ASMSTART
	v_dot2_f32_f16 v75, v80, v88, v75
	;;#ASMEND
	;;#ASMSTART
	v_dot2_f32_f16 v75, v81, v89, v75
	;;#ASMEND
	;;#ASMSTART
	v_dot2_f32_f16 v75, v82, v90, v75
	;;#ASMEND
	;; [unrolled: 13-line block ×3, first 2 shown]
	;;#ASMSTART
	v_dot2_f32_f16 v76, v91, v87, v76
	;;#ASMEND
	;;#ASMSTART
	v_dot2_f32_f16 v76, v92, v88, v76
	;;#ASMEND
	;; [unrolled: 3-line block ×4, first 2 shown]
	s_wait_dscnt 0x1
	;;#ASMSTART
	v_dot2_f32_f16 v72, v95, v83, v72
	;;#ASMEND
	;;#ASMSTART
	v_dot2_f32_f16 v72, v96, v84, v72
	;;#ASMEND
	;; [unrolled: 3-line block ×8, first 2 shown]
	s_wait_dscnt 0x0
	;;#ASMSTART
	v_dot2_f32_f16 v73, v99, v83, v73
	;;#ASMEND
	;;#ASMSTART
	v_dot2_f32_f16 v73, v100, v84, v73
	;;#ASMEND
	;; [unrolled: 3-line block ×8, first 2 shown]
	ds_load_b128 v[79:82], v51 offset:48
	ds_load_b128 v[83:86], v50 offset:48
	;; [unrolled: 1-line block ×6, first 2 shown]
	s_wait_dscnt 0x4
	;;#ASMSTART
	v_dot2_f32_f16 v70, v79, v83, v70
	;;#ASMEND
	;;#ASMSTART
	v_dot2_f32_f16 v70, v80, v84, v70
	;;#ASMEND
	;;#ASMSTART
	v_dot2_f32_f16 v70, v81, v85, v70
	;;#ASMEND
	;;#ASMSTART
	v_dot2_f32_f16 v70, v82, v86, v70
	;;#ASMEND
	s_wait_dscnt 0x3
	;;#ASMSTART
	v_dot2_f32_f16 v75, v79, v87, v75
	;;#ASMEND
	;;#ASMSTART
	v_dot2_f32_f16 v75, v80, v88, v75
	;;#ASMEND
	;;#ASMSTART
	v_dot2_f32_f16 v75, v81, v89, v75
	;;#ASMEND
	;;#ASMSTART
	v_dot2_f32_f16 v75, v82, v90, v75
	;;#ASMEND
	;; [unrolled: 13-line block ×3, first 2 shown]
	;;#ASMSTART
	v_dot2_f32_f16 v76, v91, v87, v76
	;;#ASMEND
	;;#ASMSTART
	v_dot2_f32_f16 v76, v92, v88, v76
	;;#ASMEND
	;; [unrolled: 3-line block ×4, first 2 shown]
	s_wait_dscnt 0x1
	;;#ASMSTART
	v_dot2_f32_f16 v72, v95, v83, v72
	;;#ASMEND
	;;#ASMSTART
	v_dot2_f32_f16 v72, v96, v84, v72
	;;#ASMEND
	;; [unrolled: 3-line block ×8, first 2 shown]
	s_wait_dscnt 0x0
	;;#ASMSTART
	v_dot2_f32_f16 v73, v99, v83, v73
	;;#ASMEND
	;;#ASMSTART
	v_dot2_f32_f16 v73, v100, v84, v73
	;;#ASMEND
	;; [unrolled: 3-line block ×8, first 2 shown]
	ds_load_b128 v[79:82], v51 offset:64
	ds_load_b128 v[83:86], v50 offset:64
	;; [unrolled: 1-line block ×6, first 2 shown]
	s_wait_dscnt 0x4
	;;#ASMSTART
	v_dot2_f32_f16 v70, v79, v83, v70
	;;#ASMEND
	;;#ASMSTART
	v_dot2_f32_f16 v70, v80, v84, v70
	;;#ASMEND
	;;#ASMSTART
	v_dot2_f32_f16 v70, v81, v85, v70
	;;#ASMEND
	;;#ASMSTART
	v_dot2_f32_f16 v70, v82, v86, v70
	;;#ASMEND
	s_wait_dscnt 0x3
	;;#ASMSTART
	v_dot2_f32_f16 v75, v79, v87, v75
	;;#ASMEND
	;;#ASMSTART
	v_dot2_f32_f16 v75, v80, v88, v75
	;;#ASMEND
	;;#ASMSTART
	v_dot2_f32_f16 v75, v81, v89, v75
	;;#ASMEND
	;;#ASMSTART
	v_dot2_f32_f16 v75, v82, v90, v75
	;;#ASMEND
	s_wait_dscnt 0x2
	;;#ASMSTART
	v_dot2_f32_f16 v71, v91, v83, v71
	;;#ASMEND
	;;#ASMSTART
	v_dot2_f32_f16 v71, v92, v84, v71
	;;#ASMEND
	;;#ASMSTART
	v_dot2_f32_f16 v71, v93, v85, v71
	;;#ASMEND
	;;#ASMSTART
	v_dot2_f32_f16 v71, v94, v86, v71
	;;#ASMEND
	;;#ASMSTART
	v_dot2_f32_f16 v76, v91, v87, v76
	;;#ASMEND
	;;#ASMSTART
	v_dot2_f32_f16 v76, v92, v88, v76
	;;#ASMEND
	;; [unrolled: 3-line block ×4, first 2 shown]
	s_wait_dscnt 0x1
	;;#ASMSTART
	v_dot2_f32_f16 v72, v95, v83, v72
	;;#ASMEND
	;;#ASMSTART
	v_dot2_f32_f16 v72, v96, v84, v72
	;;#ASMEND
	;; [unrolled: 3-line block ×8, first 2 shown]
	s_wait_dscnt 0x0
	;;#ASMSTART
	v_dot2_f32_f16 v73, v99, v83, v73
	;;#ASMEND
	;;#ASMSTART
	v_dot2_f32_f16 v73, v100, v84, v73
	;;#ASMEND
	;;#ASMSTART
	v_dot2_f32_f16 v73, v101, v85, v73
	;;#ASMEND
	;;#ASMSTART
	v_dot2_f32_f16 v73, v102, v86, v73
	;;#ASMEND
	;;#ASMSTART
	v_dot2_f32_f16 v78, v99, v87, v78
	;;#ASMEND
	;;#ASMSTART
	v_dot2_f32_f16 v78, v100, v88, v78
	;;#ASMEND
	;;#ASMSTART
	v_dot2_f32_f16 v78, v101, v89, v78
	;;#ASMEND
	;;#ASMSTART
	v_dot2_f32_f16 v78, v102, v90, v78
	;;#ASMEND
	ds_load_b128 v[79:82], v51 offset:80
	ds_load_b128 v[83:86], v50 offset:80
	;; [unrolled: 1-line block ×6, first 2 shown]
	s_wait_dscnt 0x4
	;;#ASMSTART
	v_dot2_f32_f16 v70, v79, v83, v70
	;;#ASMEND
	;;#ASMSTART
	v_dot2_f32_f16 v70, v80, v84, v70
	;;#ASMEND
	;;#ASMSTART
	v_dot2_f32_f16 v70, v81, v85, v70
	;;#ASMEND
	;;#ASMSTART
	v_dot2_f32_f16 v70, v82, v86, v70
	;;#ASMEND
	s_wait_dscnt 0x3
	;;#ASMSTART
	v_dot2_f32_f16 v75, v79, v87, v75
	;;#ASMEND
	;;#ASMSTART
	v_dot2_f32_f16 v75, v80, v88, v75
	;;#ASMEND
	;;#ASMSTART
	v_dot2_f32_f16 v75, v81, v89, v75
	;;#ASMEND
	;;#ASMSTART
	v_dot2_f32_f16 v75, v82, v90, v75
	;;#ASMEND
	s_wait_dscnt 0x2
	;;#ASMSTART
	v_dot2_f32_f16 v71, v91, v83, v71
	;;#ASMEND
	;;#ASMSTART
	v_dot2_f32_f16 v71, v92, v84, v71
	;;#ASMEND
	;;#ASMSTART
	v_dot2_f32_f16 v71, v93, v85, v71
	;;#ASMEND
	;;#ASMSTART
	v_dot2_f32_f16 v71, v94, v86, v71
	;;#ASMEND
	;;#ASMSTART
	v_dot2_f32_f16 v76, v91, v87, v76
	;;#ASMEND
	;;#ASMSTART
	v_dot2_f32_f16 v76, v92, v88, v76
	;;#ASMEND
	;; [unrolled: 3-line block ×4, first 2 shown]
	s_wait_dscnt 0x1
	;;#ASMSTART
	v_dot2_f32_f16 v72, v95, v83, v72
	;;#ASMEND
	;;#ASMSTART
	v_dot2_f32_f16 v72, v96, v84, v72
	;;#ASMEND
	;; [unrolled: 3-line block ×8, first 2 shown]
	s_wait_dscnt 0x0
	;;#ASMSTART
	v_dot2_f32_f16 v73, v99, v83, v73
	;;#ASMEND
	;;#ASMSTART
	v_dot2_f32_f16 v73, v100, v84, v73
	;;#ASMEND
	;; [unrolled: 3-line block ×8, first 2 shown]
	ds_load_b128 v[79:82], v51 offset:96
	ds_load_b128 v[83:86], v50 offset:96
	;; [unrolled: 1-line block ×6, first 2 shown]
	s_wait_dscnt 0x4
	;;#ASMSTART
	v_dot2_f32_f16 v70, v79, v83, v70
	;;#ASMEND
	;;#ASMSTART
	v_dot2_f32_f16 v70, v80, v84, v70
	;;#ASMEND
	;;#ASMSTART
	v_dot2_f32_f16 v70, v81, v85, v70
	;;#ASMEND
	;;#ASMSTART
	v_dot2_f32_f16 v70, v82, v86, v70
	;;#ASMEND
	s_wait_dscnt 0x3
	;;#ASMSTART
	v_dot2_f32_f16 v75, v79, v87, v75
	;;#ASMEND
	;;#ASMSTART
	v_dot2_f32_f16 v75, v80, v88, v75
	;;#ASMEND
	;;#ASMSTART
	v_dot2_f32_f16 v75, v81, v89, v75
	;;#ASMEND
	;;#ASMSTART
	v_dot2_f32_f16 v75, v82, v90, v75
	;;#ASMEND
	;; [unrolled: 13-line block ×3, first 2 shown]
	;;#ASMSTART
	v_dot2_f32_f16 v76, v91, v87, v76
	;;#ASMEND
	;;#ASMSTART
	v_dot2_f32_f16 v76, v92, v88, v76
	;;#ASMEND
	;; [unrolled: 3-line block ×4, first 2 shown]
	s_wait_dscnt 0x1
	;;#ASMSTART
	v_dot2_f32_f16 v72, v95, v83, v72
	;;#ASMEND
	;;#ASMSTART
	v_dot2_f32_f16 v72, v96, v84, v72
	;;#ASMEND
	;; [unrolled: 3-line block ×8, first 2 shown]
	s_wait_dscnt 0x0
	;;#ASMSTART
	v_dot2_f32_f16 v73, v99, v83, v73
	;;#ASMEND
	;;#ASMSTART
	v_dot2_f32_f16 v73, v100, v84, v73
	;;#ASMEND
	;; [unrolled: 3-line block ×8, first 2 shown]
	ds_load_b128 v[79:82], v51 offset:112
	ds_load_b128 v[83:86], v50 offset:112
	ds_load_b128 v[87:90], v50 offset:368
	ds_load_b128 v[91:94], v51 offset:8816
	ds_load_b128 v[95:98], v51 offset:17520
	ds_load_b128 v[99:102], v51 offset:26224
	s_wait_dscnt 0x4
	;;#ASMSTART
	v_dot2_f32_f16 v70, v79, v83, v70
	;;#ASMEND
	;;#ASMSTART
	v_dot2_f32_f16 v70, v80, v84, v70
	;;#ASMEND
	;;#ASMSTART
	v_dot2_f32_f16 v70, v81, v85, v70
	;;#ASMEND
	;;#ASMSTART
	v_dot2_f32_f16 v70, v82, v86, v70
	;;#ASMEND
	s_wait_dscnt 0x3
	;;#ASMSTART
	v_dot2_f32_f16 v75, v79, v87, v75
	;;#ASMEND
	;;#ASMSTART
	v_dot2_f32_f16 v75, v80, v88, v75
	;;#ASMEND
	;;#ASMSTART
	v_dot2_f32_f16 v75, v81, v89, v75
	;;#ASMEND
	;;#ASMSTART
	v_dot2_f32_f16 v75, v82, v90, v75
	;;#ASMEND
	;; [unrolled: 13-line block ×3, first 2 shown]
	;;#ASMSTART
	v_dot2_f32_f16 v76, v91, v87, v76
	;;#ASMEND
	;;#ASMSTART
	v_dot2_f32_f16 v76, v92, v88, v76
	;;#ASMEND
	;; [unrolled: 3-line block ×4, first 2 shown]
	s_wait_dscnt 0x1
	;;#ASMSTART
	v_dot2_f32_f16 v72, v95, v83, v72
	;;#ASMEND
	;;#ASMSTART
	v_dot2_f32_f16 v72, v96, v84, v72
	;;#ASMEND
	;; [unrolled: 3-line block ×8, first 2 shown]
	s_wait_dscnt 0x0
	;;#ASMSTART
	v_dot2_f32_f16 v73, v99, v83, v73
	;;#ASMEND
	;;#ASMSTART
	v_dot2_f32_f16 v73, v100, v84, v73
	;;#ASMEND
	;; [unrolled: 3-line block ×8, first 2 shown]
	ds_load_b128 v[79:82], v51 offset:128
	ds_load_b128 v[83:86], v50 offset:128
	;; [unrolled: 1-line block ×6, first 2 shown]
	s_wait_dscnt 0x4
	;;#ASMSTART
	v_dot2_f32_f16 v70, v79, v83, v70
	;;#ASMEND
	;;#ASMSTART
	v_dot2_f32_f16 v70, v80, v84, v70
	;;#ASMEND
	;;#ASMSTART
	v_dot2_f32_f16 v70, v81, v85, v70
	;;#ASMEND
	;;#ASMSTART
	v_dot2_f32_f16 v70, v82, v86, v70
	;;#ASMEND
	s_wait_dscnt 0x3
	;;#ASMSTART
	v_dot2_f32_f16 v75, v79, v87, v75
	;;#ASMEND
	;;#ASMSTART
	v_dot2_f32_f16 v75, v80, v88, v75
	;;#ASMEND
	;;#ASMSTART
	v_dot2_f32_f16 v75, v81, v89, v75
	;;#ASMEND
	;;#ASMSTART
	v_dot2_f32_f16 v75, v82, v90, v75
	;;#ASMEND
	s_wait_dscnt 0x2
	;;#ASMSTART
	v_dot2_f32_f16 v71, v91, v83, v71
	;;#ASMEND
	;;#ASMSTART
	v_dot2_f32_f16 v71, v92, v84, v71
	;;#ASMEND
	;;#ASMSTART
	v_dot2_f32_f16 v71, v93, v85, v71
	;;#ASMEND
	;;#ASMSTART
	v_dot2_f32_f16 v71, v94, v86, v71
	;;#ASMEND
	;;#ASMSTART
	v_dot2_f32_f16 v76, v91, v87, v76
	;;#ASMEND
	;;#ASMSTART
	v_dot2_f32_f16 v76, v92, v88, v76
	;;#ASMEND
	;; [unrolled: 3-line block ×4, first 2 shown]
	s_wait_dscnt 0x1
	;;#ASMSTART
	v_dot2_f32_f16 v72, v95, v83, v72
	;;#ASMEND
	;;#ASMSTART
	v_dot2_f32_f16 v72, v96, v84, v72
	;;#ASMEND
	;;#ASMSTART
	v_dot2_f32_f16 v72, v97, v85, v72
	;;#ASMEND
	;;#ASMSTART
	v_dot2_f32_f16 v72, v98, v86, v72
	;;#ASMEND
	;;#ASMSTART
	v_dot2_f32_f16 v77, v95, v87, v77
	;;#ASMEND
	;;#ASMSTART
	v_dot2_f32_f16 v77, v96, v88, v77
	;;#ASMEND
	;;#ASMSTART
	v_dot2_f32_f16 v77, v97, v89, v77
	;;#ASMEND
	;;#ASMSTART
	v_dot2_f32_f16 v77, v98, v90, v77
	;;#ASMEND
	s_wait_dscnt 0x0
	;;#ASMSTART
	v_dot2_f32_f16 v73, v99, v83, v73
	;;#ASMEND
	;;#ASMSTART
	v_dot2_f32_f16 v73, v100, v84, v73
	;;#ASMEND
	;; [unrolled: 3-line block ×8, first 2 shown]
	ds_load_b128 v[79:82], v51 offset:144
	ds_load_b128 v[83:86], v50 offset:144
	ds_load_b128 v[87:90], v50 offset:400
	ds_load_b128 v[91:94], v51 offset:8848
	ds_load_b128 v[95:98], v51 offset:17552
	ds_load_b128 v[99:102], v51 offset:26256
	s_wait_dscnt 0x4
	;;#ASMSTART
	v_dot2_f32_f16 v70, v79, v83, v70
	;;#ASMEND
	;;#ASMSTART
	v_dot2_f32_f16 v70, v80, v84, v70
	;;#ASMEND
	;;#ASMSTART
	v_dot2_f32_f16 v70, v81, v85, v70
	;;#ASMEND
	;;#ASMSTART
	v_dot2_f32_f16 v70, v82, v86, v70
	;;#ASMEND
	s_wait_dscnt 0x3
	;;#ASMSTART
	v_dot2_f32_f16 v75, v79, v87, v75
	;;#ASMEND
	;;#ASMSTART
	v_dot2_f32_f16 v75, v80, v88, v75
	;;#ASMEND
	;;#ASMSTART
	v_dot2_f32_f16 v75, v81, v89, v75
	;;#ASMEND
	;;#ASMSTART
	v_dot2_f32_f16 v75, v82, v90, v75
	;;#ASMEND
	;; [unrolled: 13-line block ×3, first 2 shown]
	;;#ASMSTART
	v_dot2_f32_f16 v76, v91, v87, v76
	;;#ASMEND
	;;#ASMSTART
	v_dot2_f32_f16 v76, v92, v88, v76
	;;#ASMEND
	;; [unrolled: 3-line block ×4, first 2 shown]
	s_wait_dscnt 0x1
	;;#ASMSTART
	v_dot2_f32_f16 v72, v95, v83, v72
	;;#ASMEND
	;;#ASMSTART
	v_dot2_f32_f16 v72, v96, v84, v72
	;;#ASMEND
	;; [unrolled: 3-line block ×8, first 2 shown]
	s_wait_dscnt 0x0
	;;#ASMSTART
	v_dot2_f32_f16 v73, v99, v83, v73
	;;#ASMEND
	;;#ASMSTART
	v_dot2_f32_f16 v73, v100, v84, v73
	;;#ASMEND
	;; [unrolled: 3-line block ×8, first 2 shown]
	ds_load_b128 v[79:82], v51 offset:160
	ds_load_b128 v[83:86], v50 offset:160
	;; [unrolled: 1-line block ×6, first 2 shown]
	s_wait_dscnt 0x4
	;;#ASMSTART
	v_dot2_f32_f16 v70, v79, v83, v70
	;;#ASMEND
	;;#ASMSTART
	v_dot2_f32_f16 v70, v80, v84, v70
	;;#ASMEND
	;;#ASMSTART
	v_dot2_f32_f16 v70, v81, v85, v70
	;;#ASMEND
	;;#ASMSTART
	v_dot2_f32_f16 v70, v82, v86, v70
	;;#ASMEND
	s_wait_dscnt 0x3
	;;#ASMSTART
	v_dot2_f32_f16 v75, v79, v87, v75
	;;#ASMEND
	;;#ASMSTART
	v_dot2_f32_f16 v75, v80, v88, v75
	;;#ASMEND
	;;#ASMSTART
	v_dot2_f32_f16 v75, v81, v89, v75
	;;#ASMEND
	;;#ASMSTART
	v_dot2_f32_f16 v75, v82, v90, v75
	;;#ASMEND
	;; [unrolled: 13-line block ×3, first 2 shown]
	;;#ASMSTART
	v_dot2_f32_f16 v76, v91, v87, v76
	;;#ASMEND
	;;#ASMSTART
	v_dot2_f32_f16 v76, v92, v88, v76
	;;#ASMEND
	;; [unrolled: 3-line block ×4, first 2 shown]
	s_wait_dscnt 0x1
	;;#ASMSTART
	v_dot2_f32_f16 v72, v95, v83, v72
	;;#ASMEND
	;;#ASMSTART
	v_dot2_f32_f16 v72, v96, v84, v72
	;;#ASMEND
	;; [unrolled: 3-line block ×8, first 2 shown]
	s_wait_dscnt 0x0
	;;#ASMSTART
	v_dot2_f32_f16 v73, v99, v83, v73
	;;#ASMEND
	;;#ASMSTART
	v_dot2_f32_f16 v73, v100, v84, v73
	;;#ASMEND
	;; [unrolled: 3-line block ×8, first 2 shown]
	ds_load_b128 v[79:82], v51 offset:176
	ds_load_b128 v[83:86], v50 offset:176
	;; [unrolled: 1-line block ×6, first 2 shown]
	s_wait_dscnt 0x4
	;;#ASMSTART
	v_dot2_f32_f16 v70, v79, v83, v70
	;;#ASMEND
	;;#ASMSTART
	v_dot2_f32_f16 v70, v80, v84, v70
	;;#ASMEND
	;;#ASMSTART
	v_dot2_f32_f16 v70, v81, v85, v70
	;;#ASMEND
	;;#ASMSTART
	v_dot2_f32_f16 v70, v82, v86, v70
	;;#ASMEND
	s_wait_dscnt 0x3
	;;#ASMSTART
	v_dot2_f32_f16 v75, v79, v87, v75
	;;#ASMEND
	;;#ASMSTART
	v_dot2_f32_f16 v75, v80, v88, v75
	;;#ASMEND
	;;#ASMSTART
	v_dot2_f32_f16 v75, v81, v89, v75
	;;#ASMEND
	;;#ASMSTART
	v_dot2_f32_f16 v75, v82, v90, v75
	;;#ASMEND
	s_wait_dscnt 0x2
	;;#ASMSTART
	v_dot2_f32_f16 v71, v91, v83, v71
	;;#ASMEND
	;;#ASMSTART
	v_dot2_f32_f16 v71, v92, v84, v71
	;;#ASMEND
	;;#ASMSTART
	v_dot2_f32_f16 v71, v93, v85, v71
	;;#ASMEND
	;;#ASMSTART
	v_dot2_f32_f16 v71, v94, v86, v71
	;;#ASMEND
	;;#ASMSTART
	v_dot2_f32_f16 v76, v91, v87, v76
	;;#ASMEND
	;;#ASMSTART
	v_dot2_f32_f16 v76, v92, v88, v76
	;;#ASMEND
	;; [unrolled: 3-line block ×4, first 2 shown]
	s_wait_dscnt 0x1
	;;#ASMSTART
	v_dot2_f32_f16 v72, v95, v83, v72
	;;#ASMEND
	;;#ASMSTART
	v_dot2_f32_f16 v72, v96, v84, v72
	;;#ASMEND
	;; [unrolled: 3-line block ×8, first 2 shown]
	s_wait_dscnt 0x0
	;;#ASMSTART
	v_dot2_f32_f16 v73, v99, v83, v73
	;;#ASMEND
	;;#ASMSTART
	v_dot2_f32_f16 v73, v100, v84, v73
	;;#ASMEND
	;; [unrolled: 3-line block ×8, first 2 shown]
	ds_load_b128 v[79:82], v51 offset:192
	ds_load_b128 v[83:86], v50 offset:192
	ds_load_b128 v[87:90], v50 offset:448
	ds_load_b128 v[91:94], v51 offset:8896
	ds_load_b128 v[95:98], v51 offset:17600
	ds_load_b128 v[99:102], v51 offset:26304
	s_wait_dscnt 0x4
	;;#ASMSTART
	v_dot2_f32_f16 v70, v79, v83, v70
	;;#ASMEND
	;;#ASMSTART
	v_dot2_f32_f16 v70, v80, v84, v70
	;;#ASMEND
	;;#ASMSTART
	v_dot2_f32_f16 v70, v81, v85, v70
	;;#ASMEND
	;;#ASMSTART
	v_dot2_f32_f16 v70, v82, v86, v70
	;;#ASMEND
	s_wait_dscnt 0x3
	;;#ASMSTART
	v_dot2_f32_f16 v75, v79, v87, v75
	;;#ASMEND
	;;#ASMSTART
	v_dot2_f32_f16 v75, v80, v88, v75
	;;#ASMEND
	;;#ASMSTART
	v_dot2_f32_f16 v75, v81, v89, v75
	;;#ASMEND
	;;#ASMSTART
	v_dot2_f32_f16 v75, v82, v90, v75
	;;#ASMEND
	s_wait_dscnt 0x2
	;;#ASMSTART
	v_dot2_f32_f16 v71, v91, v83, v71
	;;#ASMEND
	;;#ASMSTART
	v_dot2_f32_f16 v71, v92, v84, v71
	;;#ASMEND
	;;#ASMSTART
	v_dot2_f32_f16 v71, v93, v85, v71
	;;#ASMEND
	;;#ASMSTART
	v_dot2_f32_f16 v71, v94, v86, v71
	;;#ASMEND
	;;#ASMSTART
	v_dot2_f32_f16 v76, v91, v87, v76
	;;#ASMEND
	;;#ASMSTART
	v_dot2_f32_f16 v76, v92, v88, v76
	;;#ASMEND
	;; [unrolled: 3-line block ×4, first 2 shown]
	s_wait_dscnt 0x1
	;;#ASMSTART
	v_dot2_f32_f16 v72, v95, v83, v72
	;;#ASMEND
	;;#ASMSTART
	v_dot2_f32_f16 v72, v96, v84, v72
	;;#ASMEND
	;;#ASMSTART
	v_dot2_f32_f16 v72, v97, v85, v72
	;;#ASMEND
	;;#ASMSTART
	v_dot2_f32_f16 v72, v98, v86, v72
	;;#ASMEND
	;;#ASMSTART
	v_dot2_f32_f16 v77, v95, v87, v77
	;;#ASMEND
	;;#ASMSTART
	v_dot2_f32_f16 v77, v96, v88, v77
	;;#ASMEND
	;;#ASMSTART
	v_dot2_f32_f16 v77, v97, v89, v77
	;;#ASMEND
	;;#ASMSTART
	v_dot2_f32_f16 v77, v98, v90, v77
	;;#ASMEND
	s_wait_dscnt 0x0
	;;#ASMSTART
	v_dot2_f32_f16 v73, v99, v83, v73
	;;#ASMEND
	;;#ASMSTART
	v_dot2_f32_f16 v73, v100, v84, v73
	;;#ASMEND
	;; [unrolled: 3-line block ×8, first 2 shown]
	ds_load_b128 v[79:82], v51 offset:208
	ds_load_b128 v[83:86], v50 offset:208
	;; [unrolled: 1-line block ×6, first 2 shown]
	s_wait_dscnt 0x4
	;;#ASMSTART
	v_dot2_f32_f16 v70, v79, v83, v70
	;;#ASMEND
	;;#ASMSTART
	v_dot2_f32_f16 v70, v80, v84, v70
	;;#ASMEND
	;;#ASMSTART
	v_dot2_f32_f16 v70, v81, v85, v70
	;;#ASMEND
	;;#ASMSTART
	v_dot2_f32_f16 v70, v82, v86, v70
	;;#ASMEND
	s_wait_dscnt 0x3
	;;#ASMSTART
	v_dot2_f32_f16 v75, v79, v87, v75
	;;#ASMEND
	;;#ASMSTART
	v_dot2_f32_f16 v75, v80, v88, v75
	;;#ASMEND
	;;#ASMSTART
	v_dot2_f32_f16 v75, v81, v89, v75
	;;#ASMEND
	;;#ASMSTART
	v_dot2_f32_f16 v75, v82, v90, v75
	;;#ASMEND
	;; [unrolled: 13-line block ×3, first 2 shown]
	;;#ASMSTART
	v_dot2_f32_f16 v76, v91, v87, v76
	;;#ASMEND
	;;#ASMSTART
	v_dot2_f32_f16 v76, v92, v88, v76
	;;#ASMEND
	;; [unrolled: 3-line block ×4, first 2 shown]
	s_wait_dscnt 0x1
	;;#ASMSTART
	v_dot2_f32_f16 v72, v95, v83, v72
	;;#ASMEND
	;;#ASMSTART
	v_dot2_f32_f16 v72, v96, v84, v72
	;;#ASMEND
	;; [unrolled: 3-line block ×8, first 2 shown]
	s_wait_dscnt 0x0
	;;#ASMSTART
	v_dot2_f32_f16 v73, v99, v83, v73
	;;#ASMEND
	;;#ASMSTART
	v_dot2_f32_f16 v73, v100, v84, v73
	;;#ASMEND
	;; [unrolled: 3-line block ×8, first 2 shown]
	ds_load_b128 v[79:82], v51 offset:224
	ds_load_b128 v[83:86], v50 offset:224
	;; [unrolled: 1-line block ×6, first 2 shown]
	s_wait_dscnt 0x4
	;;#ASMSTART
	v_dot2_f32_f16 v70, v79, v83, v70
	;;#ASMEND
	;;#ASMSTART
	v_dot2_f32_f16 v70, v80, v84, v70
	;;#ASMEND
	;;#ASMSTART
	v_dot2_f32_f16 v70, v81, v85, v70
	;;#ASMEND
	;;#ASMSTART
	v_dot2_f32_f16 v70, v82, v86, v70
	;;#ASMEND
	s_wait_dscnt 0x3
	;;#ASMSTART
	v_dot2_f32_f16 v75, v79, v87, v75
	;;#ASMEND
	;;#ASMSTART
	v_dot2_f32_f16 v75, v80, v88, v75
	;;#ASMEND
	;;#ASMSTART
	v_dot2_f32_f16 v75, v81, v89, v75
	;;#ASMEND
	;;#ASMSTART
	v_dot2_f32_f16 v75, v82, v90, v75
	;;#ASMEND
	;; [unrolled: 13-line block ×3, first 2 shown]
	;;#ASMSTART
	v_dot2_f32_f16 v76, v91, v87, v76
	;;#ASMEND
	;;#ASMSTART
	v_dot2_f32_f16 v76, v92, v88, v76
	;;#ASMEND
	;; [unrolled: 3-line block ×4, first 2 shown]
	s_wait_dscnt 0x1
	;;#ASMSTART
	v_dot2_f32_f16 v72, v95, v83, v72
	;;#ASMEND
	;;#ASMSTART
	v_dot2_f32_f16 v72, v96, v84, v72
	;;#ASMEND
	;;#ASMSTART
	v_dot2_f32_f16 v72, v97, v85, v72
	;;#ASMEND
	;;#ASMSTART
	v_dot2_f32_f16 v72, v98, v86, v72
	;;#ASMEND
	;;#ASMSTART
	v_dot2_f32_f16 v77, v95, v87, v77
	;;#ASMEND
	;;#ASMSTART
	v_dot2_f32_f16 v77, v96, v88, v77
	;;#ASMEND
	;;#ASMSTART
	v_dot2_f32_f16 v77, v97, v89, v77
	;;#ASMEND
	;;#ASMSTART
	v_dot2_f32_f16 v77, v98, v90, v77
	;;#ASMEND
	s_wait_dscnt 0x0
	;;#ASMSTART
	v_dot2_f32_f16 v73, v99, v83, v73
	;;#ASMEND
	;;#ASMSTART
	v_dot2_f32_f16 v73, v100, v84, v73
	;;#ASMEND
	;; [unrolled: 3-line block ×8, first 2 shown]
	ds_load_b128 v[79:82], v51 offset:240
	ds_load_b128 v[83:86], v50 offset:240
	;; [unrolled: 1-line block ×6, first 2 shown]
	s_wait_dscnt 0x4
	;;#ASMSTART
	v_dot2_f32_f16 v70, v79, v83, v70
	;;#ASMEND
	;;#ASMSTART
	v_dot2_f32_f16 v70, v80, v84, v70
	;;#ASMEND
	;;#ASMSTART
	v_dot2_f32_f16 v70, v81, v85, v70
	;;#ASMEND
	;;#ASMSTART
	v_dot2_f32_f16 v70, v82, v86, v70
	;;#ASMEND
	s_wait_dscnt 0x3
	;;#ASMSTART
	v_dot2_f32_f16 v75, v79, v87, v75
	;;#ASMEND
	;;#ASMSTART
	v_dot2_f32_f16 v75, v80, v88, v75
	;;#ASMEND
	;;#ASMSTART
	v_dot2_f32_f16 v75, v81, v89, v75
	;;#ASMEND
	;;#ASMSTART
	v_dot2_f32_f16 v75, v82, v90, v75
	;;#ASMEND
	;; [unrolled: 13-line block ×3, first 2 shown]
	;;#ASMSTART
	v_dot2_f32_f16 v76, v91, v87, v76
	;;#ASMEND
	;;#ASMSTART
	v_dot2_f32_f16 v76, v92, v88, v76
	;;#ASMEND
	;; [unrolled: 3-line block ×4, first 2 shown]
	s_wait_dscnt 0x1
	;;#ASMSTART
	v_dot2_f32_f16 v72, v95, v83, v72
	;;#ASMEND
	;;#ASMSTART
	v_dot2_f32_f16 v72, v96, v84, v72
	;;#ASMEND
	;; [unrolled: 3-line block ×8, first 2 shown]
	s_wait_dscnt 0x0
	;;#ASMSTART
	v_dot2_f32_f16 v73, v99, v83, v73
	;;#ASMEND
	v_cmp_ngt_f32_e64 s26, 0x3f200000, |v70|
	;;#ASMSTART
	v_dot2_f32_f16 v73, v100, v84, v73
	;;#ASMEND
	;;#ASMSTART
	v_dot2_f32_f16 v73, v101, v85, v73
	;;#ASMEND
	;; [unrolled: 3-line block ×7, first 2 shown]
                                        ; implicit-def: $vgpr74
	s_and_saveexec_b32 s27, s26
	s_wait_alu 0xfffe
	s_xor_b32 s26, exec_lo, s27
	s_cbranch_execz .LBB77_11
; %bb.10:                               ;   in Loop: Header=BB77_9 Depth=1
	v_add_f32_e64 v35, |v70|, |v70|
	s_delay_alu instid0(VALU_DEP_1) | instskip(SKIP_1) | instid1(VALU_DEP_2)
	v_mul_f32_e32 v36, 0x3fb8aa3b, v35
	v_cmp_ngt_f32_e32 vcc_lo, 0xc2ce8ed0, v35
	v_rndne_f32_e32 v74, v36
	v_fma_f32 v79, 0x3fb8aa3b, v35, -v36
	s_delay_alu instid0(VALU_DEP_1) | instskip(SKIP_1) | instid1(VALU_DEP_2)
	v_dual_sub_f32 v36, v36, v74 :: v_dual_fmac_f32 v79, 0x32a5705f, v35
	v_cvt_i32_f32_e32 v74, v74
	v_add_f32_e32 v36, v36, v79
	s_delay_alu instid0(VALU_DEP_1) | instskip(NEXT) | instid1(TRANS32_DEP_1)
	v_exp_f32_e32 v36, v36
	v_ldexp_f32 v36, v36, v74
	s_wait_alu 0xfffd
	s_delay_alu instid0(VALU_DEP_1) | instskip(SKIP_2) | instid1(VALU_DEP_2)
	v_cndmask_b32_e32 v36, 0, v36, vcc_lo
	v_cmp_nlt_f32_e32 vcc_lo, 0x42b17218, v35
	s_wait_alu 0xfffd
	v_cndmask_b32_e32 v35, 0x7f800000, v36, vcc_lo
	s_delay_alu instid0(VALU_DEP_1) | instskip(NEXT) | instid1(VALU_DEP_1)
	v_add_f32_e32 v35, 1.0, v35
	v_rcp_f32_e32 v35, v35
	s_delay_alu instid0(TRANS32_DEP_1)
	v_fma_f32 v74, v35, -2.0, 1.0
.LBB77_11:                              ;   in Loop: Header=BB77_9 Depth=1
	s_wait_alu 0xfffe
	s_and_not1_saveexec_b32 s26, s26
	s_cbranch_execz .LBB77_13
; %bb.12:                               ;   in Loop: Header=BB77_9 Depth=1
	v_mul_f32_e32 v35, v70, v70
	s_delay_alu instid0(VALU_DEP_1) | instskip(NEXT) | instid1(VALU_DEP_1)
	v_fmaak_f32 v36, s3, v35, 0x3ca908c9
	v_fmaak_f32 v36, v35, v36, 0xbd5c1c4e
	s_delay_alu instid0(VALU_DEP_1) | instskip(NEXT) | instid1(VALU_DEP_1)
	v_fmaak_f32 v36, v35, v36, 0x3e088382
	v_fmaak_f32 v36, v35, v36, 0xbeaaaa99
	s_delay_alu instid0(VALU_DEP_1) | instskip(NEXT) | instid1(VALU_DEP_1)
	v_mul_f32_e64 v36, |v70|, v36
	v_fma_f32 v74, v35, v36, |v70|
.LBB77_13:                              ;   in Loop: Header=BB77_9 Depth=1
	s_wait_alu 0xfffe
	s_or_b32 exec_lo, exec_lo, s26
	v_add_nc_u32_e32 v35, s10, v2
	v_cmp_ngt_f32_e64 s26, 0x3f200000, |v71|
                                        ; implicit-def: $vgpr79
	s_delay_alu instid0(VALU_DEP_2) | instskip(NEXT) | instid1(VALU_DEP_1)
	v_ashrrev_i32_e32 v36, 31, v35
	v_lshlrev_b64_e32 v[35:36], 1, v[35:36]
	s_delay_alu instid0(VALU_DEP_1) | instskip(SKIP_1) | instid1(VALU_DEP_2)
	v_add_co_u32 v35, vcc_lo, s30, v35
	s_wait_alu 0xfffd
	v_add_co_ci_u32_e64 v36, null, s31, v36, vcc_lo
	global_load_u16 v84, v[35:36], off
	s_and_saveexec_b32 s27, s26
	s_wait_alu 0xfffe
	s_xor_b32 s26, exec_lo, s27
	s_cbranch_execz .LBB77_15
; %bb.14:                               ;   in Loop: Header=BB77_9 Depth=1
	v_add_f32_e64 v79, |v71|, |v71|
	s_delay_alu instid0(VALU_DEP_1) | instskip(SKIP_1) | instid1(VALU_DEP_2)
	v_mul_f32_e32 v80, 0x3fb8aa3b, v79
	v_cmp_ngt_f32_e32 vcc_lo, 0xc2ce8ed0, v79
	v_rndne_f32_e32 v81, v80
	v_fma_f32 v82, 0x3fb8aa3b, v79, -v80
	s_delay_alu instid0(VALU_DEP_2) | instskip(NEXT) | instid1(VALU_DEP_2)
	v_sub_f32_e32 v80, v80, v81
	v_fmac_f32_e32 v82, 0x32a5705f, v79
	v_cvt_i32_f32_e32 v81, v81
	s_delay_alu instid0(VALU_DEP_2) | instskip(NEXT) | instid1(VALU_DEP_1)
	v_add_f32_e32 v80, v80, v82
	v_exp_f32_e32 v80, v80
	s_delay_alu instid0(TRANS32_DEP_1) | instskip(SKIP_1) | instid1(VALU_DEP_1)
	v_ldexp_f32 v80, v80, v81
	s_wait_alu 0xfffd
	v_cndmask_b32_e32 v80, 0, v80, vcc_lo
	v_cmp_nlt_f32_e32 vcc_lo, 0x42b17218, v79
	s_wait_alu 0xfffd
	s_delay_alu instid0(VALU_DEP_2) | instskip(NEXT) | instid1(VALU_DEP_1)
	v_cndmask_b32_e32 v79, 0x7f800000, v80, vcc_lo
	v_add_f32_e32 v79, 1.0, v79
	s_delay_alu instid0(VALU_DEP_1) | instskip(NEXT) | instid1(TRANS32_DEP_1)
	v_rcp_f32_e32 v79, v79
	v_fma_f32 v79, v79, -2.0, 1.0
.LBB77_15:                              ;   in Loop: Header=BB77_9 Depth=1
	s_wait_alu 0xfffe
	s_and_not1_saveexec_b32 s26, s26
	s_cbranch_execz .LBB77_17
; %bb.16:                               ;   in Loop: Header=BB77_9 Depth=1
	v_mul_f32_e32 v79, v71, v71
	s_delay_alu instid0(VALU_DEP_1) | instskip(NEXT) | instid1(VALU_DEP_1)
	v_fmaak_f32 v80, s3, v79, 0x3ca908c9
	v_fmaak_f32 v80, v79, v80, 0xbd5c1c4e
	s_delay_alu instid0(VALU_DEP_1) | instskip(NEXT) | instid1(VALU_DEP_1)
	v_fmaak_f32 v80, v79, v80, 0x3e088382
	v_fmaak_f32 v80, v79, v80, 0xbeaaaa99
	s_delay_alu instid0(VALU_DEP_1) | instskip(NEXT) | instid1(VALU_DEP_1)
	v_mul_f32_e64 v80, |v71|, v80
	v_fma_f32 v79, v79, v80, |v71|
.LBB77_17:                              ;   in Loop: Header=BB77_9 Depth=1
	s_wait_alu 0xfffe
	s_or_b32 exec_lo, exec_lo, s26
	global_load_u16 v85, v[35:36], off offset:64
	v_cmp_ngt_f32_e64 s26, 0x3f200000, |v72|
                                        ; implicit-def: $vgpr81
	s_and_saveexec_b32 s27, s26
	s_wait_alu 0xfffe
	s_xor_b32 s26, exec_lo, s27
	s_cbranch_execz .LBB77_19
; %bb.18:                               ;   in Loop: Header=BB77_9 Depth=1
	v_add_f32_e64 v80, |v72|, |v72|
	s_delay_alu instid0(VALU_DEP_1) | instskip(SKIP_1) | instid1(VALU_DEP_2)
	v_mul_f32_e32 v81, 0x3fb8aa3b, v80
	v_cmp_ngt_f32_e32 vcc_lo, 0xc2ce8ed0, v80
	v_rndne_f32_e32 v82, v81
	v_fma_f32 v83, 0x3fb8aa3b, v80, -v81
	s_delay_alu instid0(VALU_DEP_2) | instskip(NEXT) | instid1(VALU_DEP_2)
	v_sub_f32_e32 v81, v81, v82
	v_fmac_f32_e32 v83, 0x32a5705f, v80
	v_cvt_i32_f32_e32 v82, v82
	s_delay_alu instid0(VALU_DEP_2) | instskip(NEXT) | instid1(VALU_DEP_1)
	v_add_f32_e32 v81, v81, v83
	v_exp_f32_e32 v81, v81
	s_delay_alu instid0(TRANS32_DEP_1) | instskip(SKIP_1) | instid1(VALU_DEP_1)
	v_ldexp_f32 v81, v81, v82
	s_wait_alu 0xfffd
	v_cndmask_b32_e32 v81, 0, v81, vcc_lo
	v_cmp_nlt_f32_e32 vcc_lo, 0x42b17218, v80
	s_wait_alu 0xfffd
	s_delay_alu instid0(VALU_DEP_2) | instskip(NEXT) | instid1(VALU_DEP_1)
	v_cndmask_b32_e32 v80, 0x7f800000, v81, vcc_lo
	v_add_f32_e32 v80, 1.0, v80
	s_delay_alu instid0(VALU_DEP_1) | instskip(NEXT) | instid1(TRANS32_DEP_1)
	v_rcp_f32_e32 v80, v80
	v_fma_f32 v81, v80, -2.0, 1.0
.LBB77_19:                              ;   in Loop: Header=BB77_9 Depth=1
	s_wait_alu 0xfffe
	s_and_not1_saveexec_b32 s26, s26
	s_cbranch_execz .LBB77_21
; %bb.20:                               ;   in Loop: Header=BB77_9 Depth=1
	v_mul_f32_e32 v80, v72, v72
	s_delay_alu instid0(VALU_DEP_1) | instskip(NEXT) | instid1(VALU_DEP_1)
	v_fmaak_f32 v81, s3, v80, 0x3ca908c9
	v_fmaak_f32 v81, v80, v81, 0xbd5c1c4e
	s_delay_alu instid0(VALU_DEP_1) | instskip(NEXT) | instid1(VALU_DEP_1)
	v_fmaak_f32 v81, v80, v81, 0x3e088382
	v_fmaak_f32 v81, v80, v81, 0xbeaaaa99
	s_delay_alu instid0(VALU_DEP_1) | instskip(NEXT) | instid1(VALU_DEP_1)
	v_mul_f32_e64 v81, |v72|, v81
	v_fma_f32 v81, v80, v81, |v72|
.LBB77_21:                              ;   in Loop: Header=BB77_9 Depth=1
	s_wait_alu 0xfffe
	s_or_b32 exec_lo, exec_lo, s26
	global_load_u16 v86, v[35:36], off offset:128
	v_cmp_ngt_f32_e64 s26, 0x3f200000, |v73|
                                        ; implicit-def: $vgpr82
	s_and_saveexec_b32 s27, s26
	s_wait_alu 0xfffe
	s_xor_b32 s26, exec_lo, s27
	s_cbranch_execz .LBB77_23
; %bb.22:                               ;   in Loop: Header=BB77_9 Depth=1
	v_add_f32_e64 v80, |v73|, |v73|
	s_delay_alu instid0(VALU_DEP_1) | instskip(SKIP_1) | instid1(VALU_DEP_2)
	v_mul_f32_e32 v82, 0x3fb8aa3b, v80
	v_cmp_ngt_f32_e32 vcc_lo, 0xc2ce8ed0, v80
	v_rndne_f32_e32 v83, v82
	v_fma_f32 v87, 0x3fb8aa3b, v80, -v82
	s_delay_alu instid0(VALU_DEP_1) | instskip(SKIP_1) | instid1(VALU_DEP_2)
	v_dual_sub_f32 v82, v82, v83 :: v_dual_fmac_f32 v87, 0x32a5705f, v80
	v_cvt_i32_f32_e32 v83, v83
	v_add_f32_e32 v82, v82, v87
	s_delay_alu instid0(VALU_DEP_1) | instskip(NEXT) | instid1(TRANS32_DEP_1)
	v_exp_f32_e32 v82, v82
	v_ldexp_f32 v82, v82, v83
	s_wait_alu 0xfffd
	s_delay_alu instid0(VALU_DEP_1) | instskip(SKIP_2) | instid1(VALU_DEP_2)
	v_cndmask_b32_e32 v82, 0, v82, vcc_lo
	v_cmp_nlt_f32_e32 vcc_lo, 0x42b17218, v80
	s_wait_alu 0xfffd
	v_cndmask_b32_e32 v80, 0x7f800000, v82, vcc_lo
	s_delay_alu instid0(VALU_DEP_1) | instskip(NEXT) | instid1(VALU_DEP_1)
	v_add_f32_e32 v80, 1.0, v80
	v_rcp_f32_e32 v80, v80
	s_delay_alu instid0(TRANS32_DEP_1)
	v_fma_f32 v82, v80, -2.0, 1.0
.LBB77_23:                              ;   in Loop: Header=BB77_9 Depth=1
	s_wait_alu 0xfffe
	s_and_not1_saveexec_b32 s26, s26
	s_cbranch_execz .LBB77_25
; %bb.24:                               ;   in Loop: Header=BB77_9 Depth=1
	v_mul_f32_e32 v80, v73, v73
	s_delay_alu instid0(VALU_DEP_1) | instskip(NEXT) | instid1(VALU_DEP_1)
	v_fmaak_f32 v82, s3, v80, 0x3ca908c9
	v_fmaak_f32 v82, v80, v82, 0xbd5c1c4e
	s_delay_alu instid0(VALU_DEP_1) | instskip(NEXT) | instid1(VALU_DEP_1)
	v_fmaak_f32 v82, v80, v82, 0x3e088382
	v_fmaak_f32 v82, v80, v82, 0xbeaaaa99
	s_delay_alu instid0(VALU_DEP_1) | instskip(NEXT) | instid1(VALU_DEP_1)
	v_mul_f32_e64 v82, |v73|, v82
	v_fma_f32 v82, v80, v82, |v73|
.LBB77_25:                              ;   in Loop: Header=BB77_9 Depth=1
	s_wait_alu 0xfffe
	s_or_b32 exec_lo, exec_lo, s26
	global_load_u16 v35, v[35:36], off offset:192
	v_bfi_b32 v36, 0x7fffffff, v74, v70
	v_bfi_b32 v70, 0x7fffffff, v79, v71
	v_xor_b32_e32 v74, 16, v40
	v_bfi_b32 v71, 0x7fffffff, v82, v73
	v_cmp_ngt_f32_e64 s26, 0x3f200000, |v75|
	s_wait_loadcnt 0x3
	v_fma_mix_f32 v79, s5, v36, v84 op_sel_hi:[0,0,1]
	s_wait_loadcnt 0x2
	v_fma_mix_f32 v80, s5, v70, v85 op_sel_hi:[0,0,1]
	v_bfi_b32 v36, 0x7fffffff, v81, v72
	v_cmp_gt_i32_e32 vcc_lo, 32, v74
	v_add_f32_e32 v70, 0x40051340, v79
	s_wait_loadcnt 0x1
	s_delay_alu instid0(VALU_DEP_3) | instskip(SKIP_4) | instid1(VALU_DEP_1)
	v_fma_mix_f32 v81, s5, v36, v86 op_sel_hi:[0,0,1]
	s_wait_loadcnt 0x0
	v_fma_mix_f32 v82, s5, v71, v35 op_sel_hi:[0,0,1]
	s_wait_alu 0xfffd
	v_dual_cndmask_b32 v71, v40, v74 :: v_dual_add_f32 v72, 0x40051340, v80
	v_lshlrev_b32_e32 v87, 2, v71
	s_delay_alu instid0(VALU_DEP_2) | instskip(SKIP_2) | instid1(VALU_DEP_1)
	v_max3_num_f32 v36, v69, v70, v72
	v_add_f32_e32 v70, 0x40051340, v81
	v_add_f32_e32 v72, 0x40051340, v82
	v_max3_num_f32 v36, v36, v70, v72
	v_xor_b32_e32 v70, 8, v40
	ds_bpermute_b32 v71, v87, v36
	v_cmp_gt_i32_e32 vcc_lo, 32, v70
	s_wait_dscnt 0x0
	s_wait_alu 0xfffd
	v_dual_cndmask_b32 v72, v40, v70 :: v_dual_max_num_f32 v71, v71, v71
	s_delay_alu instid0(VALU_DEP_1) | instskip(SKIP_1) | instid1(VALU_DEP_1)
	v_max_num_f32_e32 v36, v36, v71
	v_xor_b32_e32 v71, 4, v40
	v_cmp_gt_i32_e32 vcc_lo, 32, v71
	s_wait_alu 0xfffd
	v_cndmask_b32_e32 v73, v40, v71, vcc_lo
	s_delay_alu instid0(VALU_DEP_1) | instskip(SKIP_4) | instid1(VALU_DEP_1)
	v_lshlrev_b32_e32 v89, 2, v73
	v_lshlrev_b32_e32 v88, 2, v72
	ds_bpermute_b32 v72, v88, v36
	s_wait_dscnt 0x0
	v_max_num_f32_e32 v72, v72, v72
	v_max_num_f32_e32 v36, v36, v72
	v_xor_b32_e32 v72, 2, v40
	ds_bpermute_b32 v73, v89, v36
	v_cmp_gt_i32_e32 vcc_lo, 32, v72
	s_wait_alu 0xfffd
	v_cndmask_b32_e32 v83, v40, v72, vcc_lo
	s_delay_alu instid0(VALU_DEP_1) | instskip(SKIP_2) | instid1(VALU_DEP_1)
	v_lshlrev_b32_e32 v83, 2, v83
	s_wait_dscnt 0x0
	v_max_num_f32_e32 v73, v73, v73
	v_max_num_f32_e32 v90, v36, v73
	v_xor_b32_e32 v73, 1, v40
	ds_bpermute_b32 v36, v83, v90
	v_cmp_gt_i32_e32 vcc_lo, 32, v73
	s_wait_dscnt 0x0
	v_max_num_f32_e32 v92, v36, v36
	s_wait_alu 0xfffd
	s_delay_alu instid0(VALU_DEP_1) | instskip(NEXT) | instid1(VALU_DEP_1)
	v_dual_cndmask_b32 v91, v40, v73 :: v_dual_max_num_f32 v90, v90, v92
	v_lshlrev_b32_e32 v36, 2, v91
                                        ; implicit-def: $vgpr92
	ds_bpermute_b32 v91, v36, v90
	s_and_saveexec_b32 s27, s26
	s_wait_alu 0xfffe
	s_xor_b32 s26, exec_lo, s27
	s_cbranch_execz .LBB77_27
; %bb.26:                               ;   in Loop: Header=BB77_9 Depth=1
	v_add_f32_e64 v92, |v75|, |v75|
	s_delay_alu instid0(VALU_DEP_1) | instskip(SKIP_1) | instid1(VALU_DEP_2)
	v_mul_f32_e32 v93, 0x3fb8aa3b, v92
	v_cmp_ngt_f32_e32 vcc_lo, 0xc2ce8ed0, v92
	v_rndne_f32_e32 v94, v93
	v_fma_f32 v95, 0x3fb8aa3b, v92, -v93
	s_delay_alu instid0(VALU_DEP_2) | instskip(NEXT) | instid1(VALU_DEP_2)
	v_sub_f32_e32 v93, v93, v94
	v_fmac_f32_e32 v95, 0x32a5705f, v92
	v_cvt_i32_f32_e32 v94, v94
	s_delay_alu instid0(VALU_DEP_2) | instskip(NEXT) | instid1(VALU_DEP_1)
	v_add_f32_e32 v93, v93, v95
	v_exp_f32_e32 v93, v93
	s_delay_alu instid0(TRANS32_DEP_1) | instskip(SKIP_1) | instid1(VALU_DEP_1)
	v_ldexp_f32 v93, v93, v94
	s_wait_alu 0xfffd
	v_cndmask_b32_e32 v93, 0, v93, vcc_lo
	v_cmp_nlt_f32_e32 vcc_lo, 0x42b17218, v92
	s_wait_alu 0xfffd
	s_delay_alu instid0(VALU_DEP_2) | instskip(NEXT) | instid1(VALU_DEP_1)
	v_cndmask_b32_e32 v92, 0x7f800000, v93, vcc_lo
	v_add_f32_e32 v92, 1.0, v92
	s_delay_alu instid0(VALU_DEP_1) | instskip(NEXT) | instid1(TRANS32_DEP_1)
	v_rcp_f32_e32 v92, v92
	v_fma_f32 v92, v92, -2.0, 1.0
.LBB77_27:                              ;   in Loop: Header=BB77_9 Depth=1
	s_wait_alu 0xfffe
	s_and_not1_saveexec_b32 s26, s26
	s_cbranch_execz .LBB77_29
; %bb.28:                               ;   in Loop: Header=BB77_9 Depth=1
	v_mul_f32_e32 v92, v75, v75
	s_delay_alu instid0(VALU_DEP_1) | instskip(NEXT) | instid1(VALU_DEP_1)
	v_fmaak_f32 v93, s3, v92, 0x3ca908c9
	v_fmaak_f32 v93, v92, v93, 0xbd5c1c4e
	s_delay_alu instid0(VALU_DEP_1) | instskip(NEXT) | instid1(VALU_DEP_1)
	v_fmaak_f32 v93, v92, v93, 0x3e088382
	v_fmaak_f32 v93, v92, v93, 0xbeaaaa99
	s_delay_alu instid0(VALU_DEP_1) | instskip(NEXT) | instid1(VALU_DEP_1)
	v_mul_f32_e64 v93, |v75|, v93
	v_fma_f32 v92, v92, v93, |v75|
.LBB77_29:                              ;   in Loop: Header=BB77_9 Depth=1
	s_wait_alu 0xfffe
	s_or_b32 exec_lo, exec_lo, s26
	v_cmp_ngt_f32_e64 s26, 0x3f200000, |v76|
                                        ; implicit-def: $vgpr93
	s_and_saveexec_b32 s27, s26
	s_wait_alu 0xfffe
	s_xor_b32 s26, exec_lo, s27
	s_cbranch_execz .LBB77_31
; %bb.30:                               ;   in Loop: Header=BB77_9 Depth=1
	v_add_f32_e64 v93, |v76|, |v76|
	s_delay_alu instid0(VALU_DEP_1) | instskip(SKIP_1) | instid1(VALU_DEP_2)
	v_mul_f32_e32 v94, 0x3fb8aa3b, v93
	v_cmp_ngt_f32_e32 vcc_lo, 0xc2ce8ed0, v93
	v_rndne_f32_e32 v95, v94
	v_fma_f32 v96, 0x3fb8aa3b, v93, -v94
	s_delay_alu instid0(VALU_DEP_2) | instskip(NEXT) | instid1(VALU_DEP_2)
	v_sub_f32_e32 v94, v94, v95
	v_fmac_f32_e32 v96, 0x32a5705f, v93
	v_cvt_i32_f32_e32 v95, v95
	s_delay_alu instid0(VALU_DEP_2) | instskip(NEXT) | instid1(VALU_DEP_1)
	v_add_f32_e32 v94, v94, v96
	v_exp_f32_e32 v94, v94
	s_delay_alu instid0(TRANS32_DEP_1) | instskip(SKIP_1) | instid1(VALU_DEP_1)
	v_ldexp_f32 v94, v94, v95
	s_wait_alu 0xfffd
	v_cndmask_b32_e32 v94, 0, v94, vcc_lo
	v_cmp_nlt_f32_e32 vcc_lo, 0x42b17218, v93
	s_wait_alu 0xfffd
	s_delay_alu instid0(VALU_DEP_2) | instskip(NEXT) | instid1(VALU_DEP_1)
	v_cndmask_b32_e32 v93, 0x7f800000, v94, vcc_lo
	v_add_f32_e32 v93, 1.0, v93
	s_delay_alu instid0(VALU_DEP_1) | instskip(NEXT) | instid1(TRANS32_DEP_1)
	v_rcp_f32_e32 v93, v93
	v_fma_f32 v93, v93, -2.0, 1.0
.LBB77_31:                              ;   in Loop: Header=BB77_9 Depth=1
	s_wait_alu 0xfffe
	s_and_not1_saveexec_b32 s26, s26
	s_cbranch_execz .LBB77_33
; %bb.32:                               ;   in Loop: Header=BB77_9 Depth=1
	v_mul_f32_e32 v93, v76, v76
	s_delay_alu instid0(VALU_DEP_1) | instskip(NEXT) | instid1(VALU_DEP_1)
	v_fmaak_f32 v94, s3, v93, 0x3ca908c9
	v_fmaak_f32 v94, v93, v94, 0xbd5c1c4e
	s_delay_alu instid0(VALU_DEP_1) | instskip(NEXT) | instid1(VALU_DEP_1)
	v_fmaak_f32 v94, v93, v94, 0x3e088382
	v_fmaak_f32 v94, v93, v94, 0xbeaaaa99
	s_delay_alu instid0(VALU_DEP_1) | instskip(NEXT) | instid1(VALU_DEP_1)
	v_mul_f32_e64 v94, |v76|, v94
	v_fma_f32 v93, v93, v94, |v76|
.LBB77_33:                              ;   in Loop: Header=BB77_9 Depth=1
	s_wait_alu 0xfffe
	s_or_b32 exec_lo, exec_lo, s26
	v_cmp_ngt_f32_e64 s26, 0x3f200000, |v77|
                                        ; implicit-def: $vgpr94
	s_and_saveexec_b32 s27, s26
	s_wait_alu 0xfffe
	s_xor_b32 s26, exec_lo, s27
	s_cbranch_execz .LBB77_35
; %bb.34:                               ;   in Loop: Header=BB77_9 Depth=1
	v_add_f32_e64 v94, |v77|, |v77|
	s_delay_alu instid0(VALU_DEP_1) | instskip(SKIP_1) | instid1(VALU_DEP_2)
	v_mul_f32_e32 v95, 0x3fb8aa3b, v94
	v_cmp_ngt_f32_e32 vcc_lo, 0xc2ce8ed0, v94
	v_rndne_f32_e32 v96, v95
	v_fma_f32 v97, 0x3fb8aa3b, v94, -v95
	s_delay_alu instid0(VALU_DEP_2) | instskip(NEXT) | instid1(VALU_DEP_2)
	v_sub_f32_e32 v95, v95, v96
	v_fmac_f32_e32 v97, 0x32a5705f, v94
	v_cvt_i32_f32_e32 v96, v96
	s_delay_alu instid0(VALU_DEP_2) | instskip(NEXT) | instid1(VALU_DEP_1)
	v_add_f32_e32 v95, v95, v97
	v_exp_f32_e32 v95, v95
	s_delay_alu instid0(TRANS32_DEP_1) | instskip(SKIP_1) | instid1(VALU_DEP_1)
	v_ldexp_f32 v95, v95, v96
	s_wait_alu 0xfffd
	v_cndmask_b32_e32 v95, 0, v95, vcc_lo
	v_cmp_nlt_f32_e32 vcc_lo, 0x42b17218, v94
	s_wait_alu 0xfffd
	s_delay_alu instid0(VALU_DEP_2) | instskip(NEXT) | instid1(VALU_DEP_1)
	v_cndmask_b32_e32 v94, 0x7f800000, v95, vcc_lo
	v_add_f32_e32 v94, 1.0, v94
	s_delay_alu instid0(VALU_DEP_1) | instskip(NEXT) | instid1(TRANS32_DEP_1)
	v_rcp_f32_e32 v94, v94
	v_fma_f32 v94, v94, -2.0, 1.0
.LBB77_35:                              ;   in Loop: Header=BB77_9 Depth=1
	s_wait_alu 0xfffe
	s_and_not1_saveexec_b32 s26, s26
	s_cbranch_execz .LBB77_37
; %bb.36:                               ;   in Loop: Header=BB77_9 Depth=1
	v_mul_f32_e32 v94, v77, v77
	s_delay_alu instid0(VALU_DEP_1) | instskip(NEXT) | instid1(VALU_DEP_1)
	v_fmaak_f32 v95, s3, v94, 0x3ca908c9
	v_fmaak_f32 v95, v94, v95, 0xbd5c1c4e
	s_delay_alu instid0(VALU_DEP_1) | instskip(NEXT) | instid1(VALU_DEP_1)
	v_fmaak_f32 v95, v94, v95, 0x3e088382
	v_fmaak_f32 v95, v94, v95, 0xbeaaaa99
	s_delay_alu instid0(VALU_DEP_1) | instskip(NEXT) | instid1(VALU_DEP_1)
	v_mul_f32_e64 v95, |v77|, v95
	v_fma_f32 v94, v94, v95, |v77|
.LBB77_37:                              ;   in Loop: Header=BB77_9 Depth=1
	s_wait_alu 0xfffe
	s_or_b32 exec_lo, exec_lo, s26
	v_cmp_ngt_f32_e64 s26, 0x3f200000, |v78|
                                        ; implicit-def: $vgpr95
	s_and_saveexec_b32 s27, s26
	s_wait_alu 0xfffe
	s_xor_b32 s26, exec_lo, s27
	s_cbranch_execz .LBB77_39
; %bb.38:                               ;   in Loop: Header=BB77_9 Depth=1
	v_add_f32_e64 v95, |v78|, |v78|
	s_delay_alu instid0(VALU_DEP_1) | instskip(SKIP_1) | instid1(VALU_DEP_2)
	v_mul_f32_e32 v96, 0x3fb8aa3b, v95
	v_cmp_ngt_f32_e32 vcc_lo, 0xc2ce8ed0, v95
	v_rndne_f32_e32 v97, v96
	v_fma_f32 v98, 0x3fb8aa3b, v95, -v96
	s_delay_alu instid0(VALU_DEP_2) | instskip(NEXT) | instid1(VALU_DEP_2)
	v_sub_f32_e32 v96, v96, v97
	v_fmac_f32_e32 v98, 0x32a5705f, v95
	v_cvt_i32_f32_e32 v97, v97
	s_delay_alu instid0(VALU_DEP_2) | instskip(NEXT) | instid1(VALU_DEP_1)
	v_add_f32_e32 v96, v96, v98
	v_exp_f32_e32 v96, v96
	s_delay_alu instid0(TRANS32_DEP_1) | instskip(SKIP_1) | instid1(VALU_DEP_1)
	v_ldexp_f32 v96, v96, v97
	s_wait_alu 0xfffd
	v_cndmask_b32_e32 v96, 0, v96, vcc_lo
	v_cmp_nlt_f32_e32 vcc_lo, 0x42b17218, v95
	s_wait_alu 0xfffd
	s_delay_alu instid0(VALU_DEP_2) | instskip(NEXT) | instid1(VALU_DEP_1)
	v_cndmask_b32_e32 v95, 0x7f800000, v96, vcc_lo
	v_add_f32_e32 v95, 1.0, v95
	s_delay_alu instid0(VALU_DEP_1) | instskip(NEXT) | instid1(TRANS32_DEP_1)
	v_rcp_f32_e32 v95, v95
	v_fma_f32 v95, v95, -2.0, 1.0
.LBB77_39:                              ;   in Loop: Header=BB77_9 Depth=1
	s_wait_alu 0xfffe
	s_and_not1_saveexec_b32 s26, s26
	s_cbranch_execz .LBB77_41
; %bb.40:                               ;   in Loop: Header=BB77_9 Depth=1
	v_mul_f32_e32 v95, v78, v78
	s_delay_alu instid0(VALU_DEP_1) | instskip(NEXT) | instid1(VALU_DEP_1)
	v_fmaak_f32 v96, s3, v95, 0x3ca908c9
	v_fmaak_f32 v96, v95, v96, 0xbd5c1c4e
	s_delay_alu instid0(VALU_DEP_1) | instskip(NEXT) | instid1(VALU_DEP_1)
	v_fmaak_f32 v96, v95, v96, 0x3e088382
	v_fmaak_f32 v96, v95, v96, 0xbeaaaa99
	s_delay_alu instid0(VALU_DEP_1) | instskip(NEXT) | instid1(VALU_DEP_1)
	v_mul_f32_e64 v96, |v78|, v96
	v_fma_f32 v95, v95, v96, |v78|
.LBB77_41:                              ;   in Loop: Header=BB77_9 Depth=1
	s_wait_alu 0xfffe
	s_or_b32 exec_lo, exec_lo, s26
	v_cvt_f32_f16_e32 v84, v84
	v_bfi_b32 v75, 0x7fffffff, v92, v75
	v_cvt_f32_f16_e32 v85, v85
	v_bfi_b32 v76, 0x7fffffff, v93, v76
	v_cvt_f32_f16_e32 v86, v86
	v_cvt_f32_f16_e32 v92, v35
	v_fmac_f32_e32 v84, s5, v75
	v_bfi_b32 v35, 0x7fffffff, v94, v77
	v_bfi_b32 v75, 0x7fffffff, v95, v78
	v_fmac_f32_e32 v85, s5, v76
	s_mul_u64 s[26:27], s[10:11], s[14:15]
	v_add_f32_e32 v76, 0x40051340, v84
	s_wait_alu 0xfffe
	s_lshl_b64 s[26:27], s[26:27], 2
	v_fmac_f32_e32 v92, s5, v75
	v_dual_fmac_f32 v86, s5, v35 :: v_dual_add_f32 v35, 0x40051340, v85
	s_wait_alu 0xfffe
	s_add_nc_u64 s[26:27], s[8:9], s[26:27]
	s_wait_dscnt 0x0
	v_add_f32_e32 v77, 0x40051340, v92
	v_add_f32_e32 v75, 0x40051340, v86
	v_max3_num_f32 v35, v68, v76, v35
	s_wait_alu 0xfffe
	v_add_co_u32 v96, vcc_lo, s26, v19
	s_wait_alu 0xfffd
	v_add_co_ci_u32_e64 v97, null, s27, v20, vcc_lo
	v_max3_num_f32 v35, v35, v75, v77
	v_add_co_u32 v98, vcc_lo, s26, v21
	s_wait_alu 0xfffd
	v_add_co_ci_u32_e64 v99, null, s27, v22, vcc_lo
	ds_bpermute_b32 v75, v87, v35
	v_add_co_u32 v96, vcc_lo, v96, v61
	s_wait_alu 0xfffd
	v_add_co_ci_u32_e64 v97, null, 0, v97, vcc_lo
	v_add_co_u32 v100, vcc_lo, v98, v61
	s_wait_alu 0xfffd
	v_add_co_ci_u32_e64 v101, null, 0, v99, vcc_lo
	;; [unrolled: 3-line block ×5, first 2 shown]
	s_wait_dscnt 0x0
	v_max_num_f32_e32 v75, v75, v75
	v_add_co_u32 v108, vcc_lo, v102, v61
	s_wait_alu 0xfffd
	v_add_co_ci_u32_e64 v109, null, 0, v103, vcc_lo
	v_add_co_u32 v98, vcc_lo, s26, v27
	v_max_num_f32_e32 v35, v35, v75
	s_wait_alu 0xfffd
	v_add_co_ci_u32_e64 v99, null, s27, v28, vcc_lo
	v_add_co_u32 v102, vcc_lo, s26, v29
	s_wait_alu 0xfffd
	v_add_co_ci_u32_e64 v103, null, s27, v30, vcc_lo
	v_add_co_u32 v112, vcc_lo, v98, v61
	ds_bpermute_b32 v75, v88, v35
	s_wait_alu 0xfffd
	v_add_co_ci_u32_e64 v113, null, 0, v99, vcc_lo
	v_add_co_u32 v116, vcc_lo, v102, v61
	s_wait_alu 0xfffd
	v_add_co_ci_u32_e64 v117, null, 0, v103, vcc_lo
	v_add_co_u32 v98, vcc_lo, s26, v31
	;; [unrolled: 3-line block ×5, first 2 shown]
	s_wait_alu 0xfffd
	v_add_co_ci_u32_e64 v125, null, 0, v103, vcc_lo
	s_barrier_signal -1
	s_barrier_wait -1
	s_wait_dscnt 0x0
	global_inv scope:SCOPE_SE
	s_clause 0x7
	global_load_b128 v[96:99], v[96:97], off
	global_load_b128 v[100:103], v[100:101], off
	;; [unrolled: 1-line block ×8, first 2 shown]
	v_max_num_f32_e32 v75, v75, v75
	v_dual_max_num_f32 v76, v91, v91 :: v_dual_max_num_f32 v77, v90, v90
	v_add_nc_u32_e32 v128, 0x800, v39
	s_delay_alu instid0(VALU_DEP_3) | instskip(NEXT) | instid1(VALU_DEP_3)
	v_max_num_f32_e32 v75, v35, v75
	v_max_num_f32_e32 v35, v77, v76
	v_add_nc_u32_e32 v76, v53, v38
	s_delay_alu instid0(VALU_DEP_2) | instskip(SKIP_1) | instid1(VALU_DEP_2)
	v_sub_f32_e32 v69, v69, v35
	v_sub_f32_e32 v78, v79, v35
	v_mul_f32_e32 v90, 0x3fb8aa3b, v69
	ds_bpermute_b32 v77, v89, v75
	v_add_nc_u32_e32 v140, 0x1000, v39
	v_rndne_f32_e32 v134, v90
	v_sub_f32_e32 v79, v80, v35
	v_sub_f32_e32 v80, v81, v35
	;; [unrolled: 1-line block ×3, first 2 shown]
	s_delay_alu instid0(VALU_DEP_1) | instskip(SKIP_1) | instid1(VALU_DEP_2)
	v_dual_mul_f32 v89, 0x3fb8aa3b, v81 :: v_dual_mul_f32 v82, 0x3fb8aa3b, v78
	v_cmp_ngt_f32_e32 vcc_lo, 0xc2ce8ed0, v78
	v_rndne_f32_e32 v132, v89
	s_delay_alu instid0(VALU_DEP_3) | instskip(SKIP_3) | instid1(VALU_DEP_3)
	v_fma_f32 v91, 0x3fb8aa3b, v78, -v82
	v_rndne_f32_e32 v93, v82
	s_wait_dscnt 0x0
	v_max_num_f32_e32 v77, v77, v77
	v_fmac_f32_e32 v91, 0x32a5705f, v78
	v_mul_f32_e32 v88, 0x3fb8aa3b, v80
	s_delay_alu instid0(VALU_DEP_1) | instskip(SKIP_1) | instid1(VALU_DEP_1)
	v_fma_f32 v129, 0x3fb8aa3b, v80, -v88
	v_rndne_f32_e32 v130, v88
	v_dual_fmac_f32 v129, 0x32a5705f, v80 :: v_dual_sub_f32 v88, v88, v130
	v_fma_f32 v131, 0x3fb8aa3b, v81, -v89
	s_delay_alu instid0(VALU_DEP_2) | instskip(SKIP_2) | instid1(VALU_DEP_3)
	v_add_f32_e32 v88, v88, v129
	v_fma_f32 v133, 0x3fb8aa3b, v69, -v90
	v_sub_f32_e32 v90, v90, v134
	v_exp_f32_e32 v88, v88
	s_delay_alu instid0(VALU_DEP_2) | instskip(NEXT) | instid1(VALU_DEP_1)
	v_fmac_f32_e32 v133, 0x32a5705f, v69
	v_dual_mul_f32 v87, 0x3fb8aa3b, v79 :: v_dual_add_f32 v90, v90, v133
	s_delay_alu instid0(VALU_DEP_1)
	v_fma_f32 v94, 0x3fb8aa3b, v79, -v87
	v_max_num_f32_e32 v75, v75, v77
	v_rndne_f32_e32 v95, v87
	v_sub_f32_e32 v77, v82, v93
	v_cvt_i32_f32_e32 v82, v93
	v_fmac_f32_e32 v94, 0x32a5705f, v79
	ds_bpermute_b32 v83, v83, v75
	v_sub_f32_e32 v87, v87, v95
	v_add_f32_e32 v77, v77, v91
	v_cvt_i32_f32_e32 v91, v95
	v_cvt_i32_f32_e32 v93, v130
	v_exp_f32_e32 v90, v90
	v_add_f32_e32 v87, v87, v94
	v_exp_f32_e32 v77, v77
	v_cvt_i32_f32_e32 v94, v132
	v_cvt_i32_f32_e32 v95, v134
	s_delay_alu instid0(VALU_DEP_3) | instskip(NEXT) | instid1(TRANS32_DEP_2)
	v_exp_f32_e32 v87, v87
	v_ldexp_f32 v77, v77, v82
	s_wait_dscnt 0x0
	v_max_num_f32_e32 v83, v83, v83
	s_delay_alu instid0(TRANS32_DEP_1)
	v_ldexp_f32 v82, v87, v91
	s_wait_alu 0xfffd
	v_cndmask_b32_e32 v77, 0, v77, vcc_lo
	v_cmp_ngt_f32_e32 vcc_lo, 0xc2ce8ed0, v79
	v_ldexp_f32 v87, v88, v93
	v_max_num_f32_e32 v75, v75, v83
	v_ldexp_f32 v88, v90, v95
	s_wait_alu 0xfffd
	v_dual_cndmask_b32 v82, 0, v82 :: v_dual_sub_f32 v89, v89, v132
	ds_bpermute_b32 v36, v36, v75
	v_fmac_f32_e32 v131, 0x32a5705f, v81
	v_cmp_ngt_f32_e32 vcc_lo, 0xc2ce8ed0, v80
	s_wait_alu 0xfffd
	v_cndmask_b32_e32 v87, 0, v87, vcc_lo
	v_cmp_ngt_f32_e32 vcc_lo, 0xc2ce8ed0, v81
	s_wait_dscnt 0x0
	v_max_num_f32_e32 v36, v36, v36
	s_delay_alu instid0(VALU_DEP_1) | instskip(NEXT) | instid1(VALU_DEP_1)
	v_dual_max_num_f32 v36, v75, v36 :: v_dual_add_f32 v89, v89, v131
	v_sub_f32_e32 v68, v68, v36
	s_delay_alu instid0(VALU_DEP_2) | instskip(NEXT) | instid1(VALU_DEP_1)
	v_exp_f32_e32 v89, v89
	v_mul_f32_e32 v90, 0x3fb8aa3b, v68
	s_delay_alu instid0(VALU_DEP_1) | instskip(NEXT) | instid1(TRANS32_DEP_1)
	v_fma_f32 v132, 0x3fb8aa3b, v68, -v90
	v_ldexp_f32 v83, v89, v94
	v_rndne_f32_e32 v133, v90
	s_wait_alu 0xfffd
	s_delay_alu instid0(VALU_DEP_2) | instskip(SKIP_1) | instid1(VALU_DEP_3)
	v_dual_fmac_f32 v132, 0x32a5705f, v68 :: v_dual_cndmask_b32 v83, 0, v83
	v_cmp_ngt_f32_e32 vcc_lo, 0xc2ce8ed0, v69
	v_sub_f32_e32 v90, v90, v133
	s_wait_alu 0xfffd
	v_cndmask_b32_e32 v88, 0, v88, vcc_lo
	v_cmp_nlt_f32_e32 vcc_lo, 0x42b17218, v78
	s_wait_alu 0xfffd
	v_dual_add_f32 v90, v90, v132 :: v_dual_cndmask_b32 v77, 0x7f800000, v77
	v_cmp_nlt_f32_e32 vcc_lo, 0x42b17218, v79
	s_delay_alu instid0(VALU_DEP_2)
	v_exp_f32_e32 v90, v90
	s_wait_alu 0xfffd
	v_cndmask_b32_e32 v78, 0x7f800000, v82, vcc_lo
	v_cmp_nlt_f32_e32 vcc_lo, 0x42b17218, v80
	s_wait_alu 0xfffd
	v_cndmask_b32_e32 v79, 0x7f800000, v87, vcc_lo
	v_cmp_nlt_f32_e32 vcc_lo, 0x42b17218, v81
	;; [unrolled: 3-line block ×3, first 2 shown]
	v_add_f32_e32 v69, v77, v78
	v_cvt_f16_f32_e32 v78, v78
	s_delay_alu instid0(VALU_DEP_4) | instskip(SKIP_3) | instid1(VALU_DEP_2)
	v_cvt_f16_f32_e32 v83, v80
	s_wait_alu 0xfffd
	v_cndmask_b32_e32 v81, 0x7f800000, v88, vcc_lo
	v_add_f32_e32 v69, v79, v69
	v_cvt_f16_f32_e32 v82, v81
	s_delay_alu instid0(VALU_DEP_2) | instskip(SKIP_4) | instid1(VALU_DEP_4)
	v_add_f32_e32 v75, v80, v69
	v_sub_f32_e32 v69, v84, v36
	v_sub_f32_e32 v84, v86, v36
	;; [unrolled: 1-line block ×3, first 2 shown]
	v_and_b32_e32 v82, 0xffff, v82
	v_mul_f32_e32 v86, 0x3fb8aa3b, v69
	s_delay_alu instid0(VALU_DEP_4) | instskip(SKIP_1) | instid1(VALU_DEP_4)
	v_mul_f32_e32 v88, 0x3fb8aa3b, v84
	v_cmp_ngt_f32_e32 vcc_lo, 0xc2ce8ed0, v69
	v_mul_u32_u24_e32 v141, 0x10001, v82
	s_delay_alu instid0(VALU_DEP_4) | instskip(NEXT) | instid1(VALU_DEP_4)
	v_fma_f32 v91, 0x3fb8aa3b, v69, -v86
	v_fma_f32 v95, 0x3fb8aa3b, v84, -v88
	v_rndne_f32_e32 v129, v88
	s_delay_alu instid0(VALU_DEP_3) | instskip(NEXT) | instid1(VALU_DEP_2)
	v_fmac_f32_e32 v91, 0x32a5705f, v69
	v_dual_fmac_f32 v95, 0x32a5705f, v84 :: v_dual_sub_f32 v88, v88, v129
	v_mul_f32_e32 v87, 0x3fb8aa3b, v80
	v_cvt_f16_f32_e32 v79, v79
	s_delay_alu instid0(VALU_DEP_3) | instskip(SKIP_1) | instid1(VALU_DEP_4)
	v_add_f32_e32 v88, v88, v95
	v_cvt_i32_f32_e32 v95, v133
	v_fma_f32 v93, 0x3fb8aa3b, v80, -v87
	v_rndne_f32_e32 v94, v87
	s_delay_alu instid0(VALU_DEP_4) | instskip(NEXT) | instid1(VALU_DEP_3)
	v_exp_f32_e32 v88, v88
	v_ldexp_f32 v90, v90, v95
	v_sub_f32_e32 v85, v92, v36
	v_rndne_f32_e32 v92, v86
	v_fmac_f32_e32 v93, 0x32a5705f, v80
	s_delay_alu instid0(VALU_DEP_2) | instskip(SKIP_1) | instid1(VALU_DEP_2)
	v_dual_sub_f32 v87, v87, v94 :: v_dual_sub_f32 v86, v86, v92
	v_cvt_f16_f32_e32 v77, v77
	v_add_f32_e32 v87, v87, v93
	v_cvt_i32_f32_e32 v93, v129
	s_delay_alu instid0(VALU_DEP_4) | instskip(SKIP_1) | instid1(VALU_DEP_4)
	v_add_f32_e32 v86, v86, v91
	v_cvt_i32_f32_e32 v91, v92
	v_exp_f32_e32 v87, v87
	v_cvt_i32_f32_e32 v92, v94
	v_ldexp_f32 v88, v88, v93
	v_exp_f32_e32 v86, v86
	s_delay_alu instid0(TRANS32_DEP_2) | instid1(VALU_DEP_2)
	v_ldexp_f32 v87, v87, v92
	s_delay_alu instid0(TRANS32_DEP_1) | instskip(SKIP_1) | instid1(VALU_DEP_1)
	v_ldexp_f32 v86, v86, v91
	s_wait_alu 0xfffd
	v_cndmask_b32_e32 v86, 0, v86, vcc_lo
	v_cmp_ngt_f32_e32 vcc_lo, 0xc2ce8ed0, v80
	s_wait_alu 0xfffd
	v_cndmask_b32_e32 v87, 0, v87, vcc_lo
	v_cmp_ngt_f32_e32 vcc_lo, 0xc2ce8ed0, v84
	s_wait_alu 0xfffd
	v_dual_mul_f32 v89, 0x3fb8aa3b, v85 :: v_dual_cndmask_b32 v88, 0, v88
	s_delay_alu instid0(VALU_DEP_1) | instskip(SKIP_2) | instid1(VALU_DEP_2)
	v_fma_f32 v130, 0x3fb8aa3b, v85, -v89
	v_rndne_f32_e32 v131, v89
	v_cmp_ngt_f32_e32 vcc_lo, 0xc2ce8ed0, v85
	v_dual_fmac_f32 v130, 0x32a5705f, v85 :: v_dual_sub_f32 v89, v89, v131
	v_cvt_i32_f32_e32 v94, v131
	s_delay_alu instid0(VALU_DEP_2) | instskip(NEXT) | instid1(VALU_DEP_1)
	v_add_f32_e32 v89, v89, v130
	v_exp_f32_e32 v89, v89
	s_delay_alu instid0(TRANS32_DEP_1) | instskip(SKIP_1) | instid1(VALU_DEP_1)
	v_ldexp_f32 v89, v89, v94
	s_wait_alu 0xfffd
	v_cndmask_b32_e32 v89, 0, v89, vcc_lo
	v_cmp_ngt_f32_e32 vcc_lo, 0xc2ce8ed0, v68
	s_wait_alu 0xfffd
	v_cndmask_b32_e32 v90, 0, v90, vcc_lo
	v_cmp_nlt_f32_e32 vcc_lo, 0x42b17218, v69
	s_wait_alu 0xfffd
	v_cndmask_b32_e32 v86, 0x7f800000, v86, vcc_lo
	v_cmp_nlt_f32_e32 vcc_lo, 0x42b17218, v80
	;; [unrolled: 3-line block ×3, first 2 shown]
	v_cvt_f16_f32_e32 v87, v86
	s_wait_alu 0xfffd
	v_cndmask_b32_e32 v68, 0x7f800000, v90, vcc_lo
	v_cmp_nlt_f32_e32 vcc_lo, 0x42b17218, v84
	s_delay_alu instid0(VALU_DEP_3)
	v_pack_b32_f16 v77, v77, v87
	s_wait_alu 0xfffd
	v_cndmask_b32_e32 v84, 0x7f800000, v88, vcc_lo
	v_cmp_nlt_f32_e32 vcc_lo, 0x42b17218, v85
	v_cvt_f16_f32_e32 v88, v80
	v_cvt_f16_f32_e32 v85, v68
	s_wait_alu 0xfffd
	v_dual_add_f32 v80, v86, v80 :: v_dual_cndmask_b32 v69, 0x7f800000, v89
	v_cvt_f16_f32_e32 v89, v84
	v_pack_b32_f16 v78, v78, v88
	v_and_b32_e32 v85, 0xffff, v85
	s_delay_alu instid0(VALU_DEP_4) | instskip(NEXT) | instid1(VALU_DEP_4)
	v_cvt_f16_f32_e32 v90, v69
	v_pack_b32_f16 v79, v79, v89
	s_delay_alu instid0(VALU_DEP_3) | instskip(NEXT) | instid1(VALU_DEP_3)
	v_mul_u32_u24_e32 v142, 0x10001, v85
	v_pack_b32_f16 v83, v83, v90
	ds_store_2addr_b32 v76, v77, v78 offset1:32
	ds_store_2addr_b32 v76, v79, v83 offset0:64 offset1:96
	s_wait_loadcnt 0x7
	ds_store_b128 v52, v[96:99]
	s_wait_loadcnt 0x6
	ds_store_b128 v54, v[100:103]
	;; [unrolled: 2-line block ×8, first 2 shown]
	s_wait_dscnt 0x0
	s_barrier_signal -1
	s_barrier_wait -1
	global_inv scope:SCOPE_SE
	ds_load_b128 v[76:79], v53
	v_fmac_f32_e32 v75, v67, v81
	v_pk_mul_f16 v67, v66, v141
	v_add_f32_e32 v66, v84, v80
	ds_load_2addr_b64 v[80:83], v39 offset1:32
	ds_load_2addr_b64 v[84:87], v39 offset0:64 offset1:96
	ds_load_2addr_b64 v[88:91], v39 offset0:128 offset1:160
	ds_load_b128 v[92:95], v53 offset:16
	ds_load_2addr_b64 v[96:99], v39 offset0:192 offset1:224
	ds_load_2addr_b64 v[100:103], v128 offset1:32
	ds_load_2addr_b64 v[104:107], v128 offset0:64 offset1:96
	ds_load_2addr_b64 v[108:111], v128 offset0:128 offset1:160
	ds_load_b128 v[112:115], v53 offset:32
	ds_load_b128 v[116:119], v53 offset:48
	ds_load_2addr_b64 v[120:123], v128 offset0:192 offset1:224
	ds_load_2addr_b64 v[124:127], v140 offset1:32
	ds_load_2addr_b64 v[128:131], v140 offset0:64 offset1:96
	ds_load_b128 v[132:135], v53 offset:64
	ds_load_b128 v[136:139], v53 offset:80
	v_pk_mul_f16 v63, v63, v142
	s_wait_dscnt 0xb
	v_lshrrev_b32_e32 v147, 16, v92
	v_and_b32_e32 v92, 0xffff, v92
	v_lshrrev_b32_e32 v148, 16, v93
	v_and_b32_e32 v93, 0xffff, v93
	v_lshrrev_b32_e32 v149, 16, v94
	v_mul_u32_u24_e32 v147, 0x10001, v147
	v_mul_u32_u24_e32 v92, 0x10001, v92
	v_lshrrev_b32_e32 v143, 16, v76
	v_and_b32_e32 v76, 0xffff, v76
	v_lshrrev_b32_e32 v144, 16, v77
	v_and_b32_e32 v77, 0xffff, v77
	v_lshrrev_b32_e32 v145, 16, v78
	v_mul_u32_u24_e32 v143, 0x10001, v143
	v_mul_u32_u24_e32 v76, 0x10001, v76
	v_and_b32_e32 v78, 0xffff, v78
	v_mul_u32_u24_e32 v77, 0x10001, v77
	v_mul_u32_u24_e32 v144, 0x10001, v144
	v_pk_fma_f16 v63, v81, v143, v63
	v_pk_mul_f16 v162, v80, v76
	v_pk_mul_f16 v80, v80, v143
	v_pk_fma_f16 v67, v81, v76, v67
	v_lshrrev_b32_e32 v146, 16, v79
	v_and_b32_e32 v79, 0xffff, v79
	v_pk_fma_f16 v65, v65, v141, v162
	v_pk_fma_f16 v64, v64, v142, v80
	v_mul_u32_u24_e32 v78, 0x10001, v78
	v_mul_u32_u24_e32 v145, 0x10001, v145
	v_pk_fma_f16 v67, v83, v77, v67
	v_pk_fma_f16 v65, v82, v77, v65
	;; [unrolled: 1-line block ×4, first 2 shown]
	v_mul_u32_u24_e32 v79, 0x10001, v79
	v_mul_u32_u24_e32 v146, 0x10001, v146
	v_pk_fma_f16 v65, v84, v78, v65
	v_pk_fma_f16 v64, v84, v145, v64
	;; [unrolled: 1-line block ×4, first 2 shown]
	v_and_b32_e32 v94, 0xffff, v94
	v_pk_fma_f16 v65, v86, v79, v65
	v_pk_fma_f16 v64, v86, v146, v64
	;; [unrolled: 1-line block ×4, first 2 shown]
	v_mul_u32_u24_e32 v93, 0x10001, v93
	v_mul_u32_u24_e32 v148, 0x10001, v148
	v_pk_fma_f16 v65, v88, v92, v65
	v_pk_fma_f16 v64, v88, v147, v64
	;; [unrolled: 1-line block ×4, first 2 shown]
	v_lshrrev_b32_e32 v150, 16, v95
	v_and_b32_e32 v95, 0xffff, v95
	v_mul_u32_u24_e32 v94, 0x10001, v94
	v_mul_u32_u24_e32 v149, 0x10001, v149
	v_pk_fma_f16 v65, v90, v93, v65
	v_pk_fma_f16 v64, v90, v148, v64
	;; [unrolled: 1-line block ×4, first 2 shown]
	s_wait_dscnt 0x6
	v_lshrrev_b32_e32 v151, 16, v112
	v_and_b32_e32 v112, 0xffff, v112
	v_mul_u32_u24_e32 v95, 0x10001, v95
	v_mul_u32_u24_e32 v150, 0x10001, v150
	v_pk_fma_f16 v65, v96, v94, v65
	v_pk_fma_f16 v64, v96, v149, v64
	v_pk_fma_f16 v67, v97, v94, v67
	v_pk_fma_f16 v63, v97, v149, v63
	v_lshrrev_b32_e32 v152, 16, v113
	v_and_b32_e32 v113, 0xffff, v113
	v_mul_u32_u24_e32 v112, 0x10001, v112
	v_mul_u32_u24_e32 v151, 0x10001, v151
	v_pk_fma_f16 v65, v98, v95, v65
	v_pk_fma_f16 v64, v98, v150, v64
	v_pk_fma_f16 v67, v99, v95, v67
	v_pk_fma_f16 v63, v99, v150, v63
	;; [unrolled: 8-line block ×4, first 2 shown]
	s_wait_dscnt 0x5
	v_lshrrev_b32_e32 v155, 16, v116
	v_and_b32_e32 v116, 0xffff, v116
	v_mul_u32_u24_e32 v78, 0x10001, v115
	v_mul_u32_u24_e32 v79, 0x10001, v154
	v_pk_fma_f16 v65, v104, v76, v65
	v_pk_fma_f16 v64, v104, v77, v64
	v_pk_fma_f16 v67, v105, v76, v67
	v_pk_fma_f16 v63, v105, v77, v63
	v_lshrrev_b32_e32 v156, 16, v117
	v_and_b32_e32 v117, 0xffff, v117
	v_mul_u32_u24_e32 v80, 0x10001, v116
	v_mul_u32_u24_e32 v81, 0x10001, v155
	v_pk_fma_f16 v65, v106, v78, v65
	v_pk_fma_f16 v64, v106, v79, v64
	v_pk_fma_f16 v67, v107, v78, v67
	v_pk_fma_f16 v63, v107, v79, v63
	;; [unrolled: 8-line block ×4, first 2 shown]
	s_wait_dscnt 0x1
	v_lshrrev_b32_e32 v159, 16, v132
	v_and_b32_e32 v132, 0xffff, v132
	v_mul_u32_u24_e32 v76, 0x10001, v119
	v_mul_u32_u24_e32 v77, 0x10001, v158
	v_pk_fma_f16 v65, v120, v84, v65
	v_pk_fma_f16 v64, v120, v85, v64
	;; [unrolled: 1-line block ×4, first 2 shown]
	v_lshrrev_b32_e32 v160, 16, v133
	v_and_b32_e32 v133, 0xffff, v133
	v_mul_u32_u24_e32 v78, 0x10001, v132
	v_mul_u32_u24_e32 v79, 0x10001, v159
	v_pk_fma_f16 v65, v122, v76, v65
	v_pk_fma_f16 v64, v122, v77, v64
	;; [unrolled: 1-line block ×4, first 2 shown]
	v_mul_u32_u24_e32 v80, 0x10001, v133
	v_mul_u32_u24_e32 v76, 0x10001, v160
	v_pk_fma_f16 v65, v124, v78, v65
	v_pk_fma_f16 v64, v124, v79, v64
	;; [unrolled: 1-line block ×4, first 2 shown]
	v_and_b32_e32 v77, 0xffff, v134
	v_lshrrev_b32_e32 v161, 16, v134
	v_pk_fma_f16 v65, v126, v80, v65
	v_pk_fma_f16 v64, v126, v76, v64
	;; [unrolled: 1-line block ×4, first 2 shown]
	v_mul_u32_u24_e32 v80, 0x10001, v77
	ds_load_2addr_b64 v[76:79], v140 offset0:128 offset1:160
	v_mul_u32_u24_e32 v81, 0x10001, v161
	v_and_b32_e32 v82, 0xffff, v135
	v_lshrrev_b32_e32 v83, 16, v135
	v_pk_fma_f16 v65, v128, v80, v65
	v_pk_fma_f16 v67, v129, v80, v67
	;; [unrolled: 1-line block ×3, first 2 shown]
	v_mul_u32_u24_e32 v80, 0x10001, v82
	v_mul_u32_u24_e32 v84, 0x10001, v83
	v_pk_fma_f16 v63, v129, v81, v63
	s_wait_dscnt 0x1
	v_and_b32_e32 v81, 0xffff, v136
	v_lshrrev_b32_e32 v82, 16, v136
	v_pk_fma_f16 v65, v130, v80, v65
	v_pk_fma_f16 v64, v130, v84, v64
	;; [unrolled: 1-line block ×3, first 2 shown]
	v_mul_u32_u24_e32 v85, 0x10001, v81
	v_mul_u32_u24_e32 v88, 0x10001, v82
	v_pk_fma_f16 v63, v131, v84, v63
	v_and_b32_e32 v84, 0xffff, v137
	v_lshrrev_b32_e32 v86, 16, v137
	ds_load_2addr_b64 v[80:83], v140 offset0:192 offset1:224
	s_wait_dscnt 0x1
	v_pk_fma_f16 v65, v76, v85, v65
	v_pk_fma_f16 v64, v76, v88, v64
	;; [unrolled: 1-line block ×3, first 2 shown]
	v_mul_u32_u24_e32 v76, 0x10001, v84
	v_mul_u32_u24_e32 v89, 0x10001, v86
	ds_load_b128 v[84:87], v53 offset:96
	v_pk_fma_f16 v63, v77, v88, v63
	v_lshrrev_b32_e32 v77, 16, v138
	v_add_nc_u32_e32 v96, 0x1800, v39
	v_and_b32_e32 v90, 0xffff, v138
	v_pk_fma_f16 v65, v78, v76, v65
	v_pk_fma_f16 v64, v78, v89, v64
	;; [unrolled: 1-line block ×4, first 2 shown]
	v_mul_u32_u24_e32 v89, 0x10001, v77
	ds_load_2addr_b64 v[76:79], v96 offset1:32
	v_mul_u32_u24_e32 v88, 0x10001, v90
	v_and_b32_e32 v90, 0xffff, v139
	v_lshrrev_b32_e32 v91, 16, v139
	s_wait_dscnt 0x2
	v_pk_fma_f16 v64, v80, v89, v64
	v_pk_fma_f16 v63, v81, v89, v63
	;; [unrolled: 1-line block ×4, first 2 shown]
	v_mul_u32_u24_e32 v80, 0x10001, v90
	v_mul_u32_u24_e32 v81, 0x10001, v91
	ds_load_b128 v[88:91], v53 offset:112
	s_wait_dscnt 0x2
	v_and_b32_e32 v92, 0xffff, v84
	v_lshrrev_b32_e32 v84, 16, v84
	v_pk_fma_f16 v65, v82, v80, v65
	v_pk_fma_f16 v64, v82, v81, v64
	;; [unrolled: 1-line block ×3, first 2 shown]
	v_mul_u32_u24_e32 v80, 0x10001, v92
	v_mul_u32_u24_e32 v82, 0x10001, v84
	v_and_b32_e32 v84, 0xffff, v85
	ds_load_2addr_b64 v[92:95], v96 offset0:64 offset1:96
	v_pk_fma_f16 v63, v83, v81, v63
	v_lshrrev_b32_e32 v81, 16, v85
	s_wait_dscnt 0x2
	v_pk_fma_f16 v65, v76, v80, v65
	v_mul_u32_u24_e32 v83, 0x10001, v84
	v_pk_fma_f16 v64, v76, v82, v64
	v_pk_fma_f16 v67, v77, v80, v67
	v_mul_u32_u24_e32 v76, 0x10001, v81
	v_pk_fma_f16 v63, v77, v82, v63
	v_and_b32_e32 v77, 0xffff, v86
	v_pk_fma_f16 v65, v78, v83, v65
	v_lshrrev_b32_e32 v80, 16, v86
	v_pk_fma_f16 v64, v78, v76, v64
	v_pk_fma_f16 v67, v79, v83, v67
	;; [unrolled: 1-line block ×3, first 2 shown]
	v_mul_u32_u24_e32 v81, 0x10001, v77
	ds_load_2addr_b64 v[76:79], v96 offset0:128 offset1:160
	v_mul_u32_u24_e32 v80, 0x10001, v80
	v_and_b32_e32 v82, 0xffff, v87
	v_lshrrev_b32_e32 v83, 16, v87
	s_wait_dscnt 0x1
	v_pk_fma_f16 v65, v92, v81, v65
	v_pk_fma_f16 v67, v93, v81, v67
	;; [unrolled: 1-line block ×3, first 2 shown]
	v_mul_u32_u24_e32 v81, 0x10001, v82
	v_mul_u32_u24_e32 v84, 0x10001, v83
	v_pk_fma_f16 v63, v93, v80, v63
	v_and_b32_e32 v80, 0xffff, v88
	v_lshrrev_b32_e32 v82, 16, v88
	v_pk_fma_f16 v65, v94, v81, v65
	v_pk_fma_f16 v64, v94, v84, v64
	;; [unrolled: 1-line block ×3, first 2 shown]
	v_mul_u32_u24_e32 v85, 0x10001, v80
	v_mul_u32_u24_e32 v88, 0x10001, v82
	v_pk_fma_f16 v63, v95, v84, v63
	v_and_b32_e32 v84, 0xffff, v89
	v_lshrrev_b32_e32 v86, 16, v89
	ds_load_2addr_b64 v[80:83], v96 offset0:192 offset1:224
	s_wait_dscnt 0x1
	v_pk_fma_f16 v65, v76, v85, v65
	v_pk_fma_f16 v64, v76, v88, v64
	;; [unrolled: 1-line block ×3, first 2 shown]
	v_mul_u32_u24_e32 v76, 0x10001, v84
	v_mul_u32_u24_e32 v89, 0x10001, v86
	ds_load_b128 v[84:87], v53 offset:128
	v_pk_fma_f16 v63, v77, v88, v63
	v_lshrrev_b32_e32 v77, 16, v90
	v_add_nc_u32_e32 v96, 0x2000, v39
	v_and_b32_e32 v92, 0xffff, v90
	v_pk_fma_f16 v65, v78, v76, v65
	v_pk_fma_f16 v64, v78, v89, v64
	;; [unrolled: 1-line block ×4, first 2 shown]
	v_mul_u32_u24_e32 v89, 0x10001, v77
	ds_load_2addr_b64 v[76:79], v96 offset1:32
	v_mul_u32_u24_e32 v88, 0x10001, v92
	v_and_b32_e32 v90, 0xffff, v91
	v_lshrrev_b32_e32 v91, 16, v91
	s_wait_dscnt 0x2
	v_pk_fma_f16 v64, v80, v89, v64
	v_pk_fma_f16 v63, v81, v89, v63
	;; [unrolled: 1-line block ×4, first 2 shown]
	v_mul_u32_u24_e32 v80, 0x10001, v90
	v_mul_u32_u24_e32 v81, 0x10001, v91
	ds_load_b128 v[88:91], v53 offset:144
	s_wait_dscnt 0x2
	v_and_b32_e32 v92, 0xffff, v84
	v_lshrrev_b32_e32 v84, 16, v84
	v_pk_fma_f16 v65, v82, v80, v65
	v_pk_fma_f16 v64, v82, v81, v64
	;; [unrolled: 1-line block ×3, first 2 shown]
	v_mul_u32_u24_e32 v80, 0x10001, v92
	v_mul_u32_u24_e32 v82, 0x10001, v84
	v_and_b32_e32 v84, 0xffff, v85
	ds_load_2addr_b64 v[92:95], v96 offset0:64 offset1:96
	v_pk_fma_f16 v63, v83, v81, v63
	v_lshrrev_b32_e32 v81, 16, v85
	s_wait_dscnt 0x2
	v_pk_fma_f16 v65, v76, v80, v65
	v_mul_u32_u24_e32 v83, 0x10001, v84
	v_pk_fma_f16 v64, v76, v82, v64
	v_pk_fma_f16 v67, v77, v80, v67
	v_mul_u32_u24_e32 v76, 0x10001, v81
	v_pk_fma_f16 v63, v77, v82, v63
	v_and_b32_e32 v77, 0xffff, v86
	v_pk_fma_f16 v65, v78, v83, v65
	v_lshrrev_b32_e32 v80, 16, v86
	v_pk_fma_f16 v64, v78, v76, v64
	v_pk_fma_f16 v67, v79, v83, v67
	;; [unrolled: 1-line block ×3, first 2 shown]
	v_mul_u32_u24_e32 v81, 0x10001, v77
	ds_load_2addr_b64 v[76:79], v96 offset0:128 offset1:160
	v_mul_u32_u24_e32 v80, 0x10001, v80
	v_and_b32_e32 v82, 0xffff, v87
	v_lshrrev_b32_e32 v83, 16, v87
	s_wait_dscnt 0x1
	v_pk_fma_f16 v65, v92, v81, v65
	v_pk_fma_f16 v67, v93, v81, v67
	;; [unrolled: 1-line block ×3, first 2 shown]
	v_mul_u32_u24_e32 v81, 0x10001, v82
	v_mul_u32_u24_e32 v84, 0x10001, v83
	v_pk_fma_f16 v63, v93, v80, v63
	v_and_b32_e32 v80, 0xffff, v88
	v_lshrrev_b32_e32 v82, 16, v88
	v_pk_fma_f16 v65, v94, v81, v65
	v_pk_fma_f16 v64, v94, v84, v64
	;; [unrolled: 1-line block ×3, first 2 shown]
	v_mul_u32_u24_e32 v85, 0x10001, v80
	v_mul_u32_u24_e32 v88, 0x10001, v82
	v_pk_fma_f16 v63, v95, v84, v63
	v_and_b32_e32 v84, 0xffff, v89
	v_lshrrev_b32_e32 v86, 16, v89
	ds_load_2addr_b64 v[80:83], v96 offset0:192 offset1:224
	s_wait_dscnt 0x1
	v_pk_fma_f16 v65, v76, v85, v65
	v_pk_fma_f16 v64, v76, v88, v64
	;; [unrolled: 1-line block ×3, first 2 shown]
	v_mul_u32_u24_e32 v76, 0x10001, v84
	v_mul_u32_u24_e32 v89, 0x10001, v86
	ds_load_b128 v[84:87], v53 offset:160
	v_pk_fma_f16 v63, v77, v88, v63
	v_lshrrev_b32_e32 v77, 16, v90
	v_add_nc_u32_e32 v96, 0x2800, v39
	v_and_b32_e32 v92, 0xffff, v90
	v_pk_fma_f16 v65, v78, v76, v65
	v_pk_fma_f16 v64, v78, v89, v64
	;; [unrolled: 1-line block ×4, first 2 shown]
	v_mul_u32_u24_e32 v89, 0x10001, v77
	ds_load_2addr_b64 v[76:79], v96 offset1:32
	v_mul_u32_u24_e32 v88, 0x10001, v92
	v_and_b32_e32 v90, 0xffff, v91
	v_lshrrev_b32_e32 v91, 16, v91
	s_wait_dscnt 0x2
	v_pk_fma_f16 v64, v80, v89, v64
	v_pk_fma_f16 v63, v81, v89, v63
	;; [unrolled: 1-line block ×4, first 2 shown]
	v_mul_u32_u24_e32 v80, 0x10001, v90
	v_mul_u32_u24_e32 v81, 0x10001, v91
	ds_load_b128 v[88:91], v53 offset:176
	s_wait_dscnt 0x2
	v_and_b32_e32 v92, 0xffff, v84
	v_lshrrev_b32_e32 v84, 16, v84
	v_pk_fma_f16 v65, v82, v80, v65
	v_pk_fma_f16 v64, v82, v81, v64
	v_pk_fma_f16 v67, v83, v80, v67
	v_mul_u32_u24_e32 v80, 0x10001, v92
	v_mul_u32_u24_e32 v82, 0x10001, v84
	v_and_b32_e32 v84, 0xffff, v85
	ds_load_2addr_b64 v[92:95], v96 offset0:64 offset1:96
	v_pk_fma_f16 v63, v83, v81, v63
	v_lshrrev_b32_e32 v81, 16, v85
	s_wait_dscnt 0x2
	v_pk_fma_f16 v65, v76, v80, v65
	v_mul_u32_u24_e32 v83, 0x10001, v84
	v_pk_fma_f16 v64, v76, v82, v64
	v_pk_fma_f16 v67, v77, v80, v67
	v_mul_u32_u24_e32 v76, 0x10001, v81
	v_pk_fma_f16 v63, v77, v82, v63
	v_and_b32_e32 v77, 0xffff, v86
	v_pk_fma_f16 v65, v78, v83, v65
	v_lshrrev_b32_e32 v80, 16, v86
	v_pk_fma_f16 v64, v78, v76, v64
	v_pk_fma_f16 v67, v79, v83, v67
	;; [unrolled: 1-line block ×3, first 2 shown]
	v_mul_u32_u24_e32 v81, 0x10001, v77
	ds_load_2addr_b64 v[76:79], v96 offset0:128 offset1:160
	v_mul_u32_u24_e32 v80, 0x10001, v80
	v_and_b32_e32 v82, 0xffff, v87
	v_lshrrev_b32_e32 v83, 16, v87
	s_wait_dscnt 0x1
	v_pk_fma_f16 v65, v92, v81, v65
	v_pk_fma_f16 v67, v93, v81, v67
	v_pk_fma_f16 v64, v92, v80, v64
	v_mul_u32_u24_e32 v81, 0x10001, v82
	v_mul_u32_u24_e32 v84, 0x10001, v83
	v_pk_fma_f16 v63, v93, v80, v63
	v_and_b32_e32 v80, 0xffff, v88
	v_lshrrev_b32_e32 v82, 16, v88
	v_pk_fma_f16 v65, v94, v81, v65
	v_pk_fma_f16 v64, v94, v84, v64
	;; [unrolled: 1-line block ×3, first 2 shown]
	v_mul_u32_u24_e32 v85, 0x10001, v80
	v_mul_u32_u24_e32 v88, 0x10001, v82
	v_pk_fma_f16 v63, v95, v84, v63
	v_and_b32_e32 v84, 0xffff, v89
	v_lshrrev_b32_e32 v86, 16, v89
	ds_load_2addr_b64 v[80:83], v96 offset0:192 offset1:224
	s_wait_dscnt 0x1
	v_pk_fma_f16 v65, v76, v85, v65
	v_pk_fma_f16 v64, v76, v88, v64
	;; [unrolled: 1-line block ×3, first 2 shown]
	v_mul_u32_u24_e32 v76, 0x10001, v84
	v_mul_u32_u24_e32 v89, 0x10001, v86
	ds_load_b128 v[84:87], v53 offset:192
	v_pk_fma_f16 v63, v77, v88, v63
	v_lshrrev_b32_e32 v77, 16, v90
	v_add_nc_u32_e32 v96, 0x3000, v39
	v_and_b32_e32 v92, 0xffff, v90
	v_pk_fma_f16 v65, v78, v76, v65
	v_pk_fma_f16 v64, v78, v89, v64
	;; [unrolled: 1-line block ×4, first 2 shown]
	v_mul_u32_u24_e32 v89, 0x10001, v77
	ds_load_2addr_b64 v[76:79], v96 offset1:32
	v_mul_u32_u24_e32 v88, 0x10001, v92
	v_and_b32_e32 v90, 0xffff, v91
	v_lshrrev_b32_e32 v91, 16, v91
	s_wait_dscnt 0x2
	v_pk_fma_f16 v64, v80, v89, v64
	v_pk_fma_f16 v63, v81, v89, v63
	;; [unrolled: 1-line block ×4, first 2 shown]
	v_mul_u32_u24_e32 v80, 0x10001, v90
	v_mul_u32_u24_e32 v81, 0x10001, v91
	ds_load_b128 v[88:91], v53 offset:208
	s_wait_dscnt 0x2
	v_and_b32_e32 v92, 0xffff, v84
	v_lshrrev_b32_e32 v84, 16, v84
	v_pk_fma_f16 v65, v82, v80, v65
	v_pk_fma_f16 v64, v82, v81, v64
	;; [unrolled: 1-line block ×3, first 2 shown]
	v_mul_u32_u24_e32 v80, 0x10001, v92
	v_mul_u32_u24_e32 v82, 0x10001, v84
	v_and_b32_e32 v84, 0xffff, v85
	ds_load_2addr_b64 v[92:95], v96 offset0:64 offset1:96
	v_pk_fma_f16 v63, v83, v81, v63
	v_lshrrev_b32_e32 v81, 16, v85
	s_wait_dscnt 0x2
	v_pk_fma_f16 v65, v76, v80, v65
	v_mul_u32_u24_e32 v83, 0x10001, v84
	v_pk_fma_f16 v64, v76, v82, v64
	v_pk_fma_f16 v67, v77, v80, v67
	v_mul_u32_u24_e32 v76, 0x10001, v81
	v_pk_fma_f16 v63, v77, v82, v63
	v_and_b32_e32 v77, 0xffff, v86
	v_pk_fma_f16 v65, v78, v83, v65
	v_lshrrev_b32_e32 v80, 16, v86
	v_pk_fma_f16 v64, v78, v76, v64
	v_pk_fma_f16 v67, v79, v83, v67
	;; [unrolled: 1-line block ×3, first 2 shown]
	v_mul_u32_u24_e32 v81, 0x10001, v77
	ds_load_2addr_b64 v[76:79], v96 offset0:128 offset1:160
	v_mul_u32_u24_e32 v80, 0x10001, v80
	v_and_b32_e32 v82, 0xffff, v87
	v_lshrrev_b32_e32 v83, 16, v87
	s_wait_dscnt 0x1
	v_pk_fma_f16 v65, v92, v81, v65
	v_pk_fma_f16 v67, v93, v81, v67
	v_pk_fma_f16 v64, v92, v80, v64
	v_mul_u32_u24_e32 v81, 0x10001, v82
	v_mul_u32_u24_e32 v84, 0x10001, v83
	v_pk_fma_f16 v63, v93, v80, v63
	v_and_b32_e32 v80, 0xffff, v88
	v_lshrrev_b32_e32 v82, 16, v88
	v_pk_fma_f16 v65, v94, v81, v65
	v_pk_fma_f16 v64, v94, v84, v64
	;; [unrolled: 1-line block ×3, first 2 shown]
	v_mul_u32_u24_e32 v85, 0x10001, v80
	v_mul_u32_u24_e32 v88, 0x10001, v82
	v_pk_fma_f16 v63, v95, v84, v63
	v_and_b32_e32 v84, 0xffff, v89
	v_lshrrev_b32_e32 v86, 16, v89
	ds_load_2addr_b64 v[80:83], v96 offset0:192 offset1:224
	s_wait_dscnt 0x1
	v_pk_fma_f16 v65, v76, v85, v65
	v_pk_fma_f16 v64, v76, v88, v64
	;; [unrolled: 1-line block ×3, first 2 shown]
	v_mul_u32_u24_e32 v76, 0x10001, v84
	v_mul_u32_u24_e32 v89, 0x10001, v86
	ds_load_b128 v[84:87], v53 offset:224
	v_pk_fma_f16 v63, v77, v88, v63
	v_lshrrev_b32_e32 v77, 16, v90
	v_add_nc_u32_e32 v96, 0x3800, v39
	v_and_b32_e32 v92, 0xffff, v90
	v_pk_fma_f16 v65, v78, v76, v65
	v_pk_fma_f16 v64, v78, v89, v64
	v_pk_fma_f16 v67, v79, v76, v67
	v_pk_fma_f16 v63, v79, v89, v63
	v_mul_u32_u24_e32 v89, 0x10001, v77
	ds_load_2addr_b64 v[76:79], v96 offset1:32
	v_mul_u32_u24_e32 v88, 0x10001, v92
	v_and_b32_e32 v90, 0xffff, v91
	v_lshrrev_b32_e32 v91, 16, v91
	s_wait_dscnt 0x2
	v_pk_fma_f16 v64, v80, v89, v64
	v_pk_fma_f16 v63, v81, v89, v63
	;; [unrolled: 1-line block ×4, first 2 shown]
	v_mul_u32_u24_e32 v80, 0x10001, v90
	v_mul_u32_u24_e32 v81, 0x10001, v91
	ds_load_b128 v[88:91], v53 offset:240
	s_wait_dscnt 0x2
	v_and_b32_e32 v92, 0xffff, v84
	v_lshrrev_b32_e32 v84, 16, v84
	v_pk_fma_f16 v65, v82, v80, v65
	v_pk_fma_f16 v64, v82, v81, v64
	;; [unrolled: 1-line block ×3, first 2 shown]
	v_mul_u32_u24_e32 v80, 0x10001, v92
	v_mul_u32_u24_e32 v82, 0x10001, v84
	v_and_b32_e32 v84, 0xffff, v85
	ds_load_2addr_b64 v[92:95], v96 offset0:64 offset1:96
	v_pk_fma_f16 v63, v83, v81, v63
	v_lshrrev_b32_e32 v81, 16, v85
	s_wait_dscnt 0x2
	v_pk_fma_f16 v65, v76, v80, v65
	v_mul_u32_u24_e32 v83, 0x10001, v84
	v_pk_fma_f16 v64, v76, v82, v64
	v_pk_fma_f16 v67, v77, v80, v67
	v_mul_u32_u24_e32 v76, 0x10001, v81
	v_pk_fma_f16 v63, v77, v82, v63
	v_and_b32_e32 v77, 0xffff, v86
	v_pk_fma_f16 v65, v78, v83, v65
	v_lshrrev_b32_e32 v80, 16, v86
	v_pk_fma_f16 v64, v78, v76, v64
	v_pk_fma_f16 v67, v79, v83, v67
	;; [unrolled: 1-line block ×3, first 2 shown]
	v_mul_u32_u24_e32 v81, 0x10001, v77
	ds_load_2addr_b64 v[76:79], v96 offset0:128 offset1:160
	v_mul_u32_u24_e32 v80, 0x10001, v80
	v_and_b32_e32 v82, 0xffff, v87
	v_lshrrev_b32_e32 v83, 16, v87
	s_wait_dscnt 0x1
	v_pk_fma_f16 v65, v92, v81, v65
	v_pk_fma_f16 v67, v93, v81, v67
	;; [unrolled: 1-line block ×3, first 2 shown]
	v_mul_u32_u24_e32 v81, 0x10001, v82
	v_mul_u32_u24_e32 v84, 0x10001, v83
	v_pk_fma_f16 v63, v93, v80, v63
	v_and_b32_e32 v80, 0xffff, v88
	v_lshrrev_b32_e32 v82, 16, v88
	v_pk_fma_f16 v65, v94, v81, v65
	v_pk_fma_f16 v64, v94, v84, v64
	;; [unrolled: 1-line block ×3, first 2 shown]
	v_mul_u32_u24_e32 v85, 0x10001, v80
	v_mul_u32_u24_e32 v88, 0x10001, v82
	v_pk_fma_f16 v63, v95, v84, v63
	v_and_b32_e32 v84, 0xffff, v89
	v_lshrrev_b32_e32 v86, 16, v89
	ds_load_2addr_b64 v[80:83], v96 offset0:192 offset1:224
	s_wait_dscnt 0x1
	v_pk_fma_f16 v65, v76, v85, v65
	v_pk_fma_f16 v64, v76, v88, v64
	;; [unrolled: 1-line block ×3, first 2 shown]
	v_mul_u32_u24_e32 v76, 0x10001, v84
	v_mul_u32_u24_e32 v89, 0x10001, v86
	ds_load_b128 v[84:87], v53 offset:256
	v_pk_fma_f16 v63, v77, v88, v63
	v_lshrrev_b32_e32 v77, 16, v90
	v_add_nc_u32_e32 v96, 0x4000, v39
	v_and_b32_e32 v92, 0xffff, v90
	v_pk_fma_f16 v65, v78, v76, v65
	v_pk_fma_f16 v64, v78, v89, v64
	v_pk_fma_f16 v67, v79, v76, v67
	v_pk_fma_f16 v63, v79, v89, v63
	v_mul_u32_u24_e32 v89, 0x10001, v77
	ds_load_2addr_b64 v[76:79], v96 offset1:32
	v_mul_u32_u24_e32 v88, 0x10001, v92
	v_and_b32_e32 v90, 0xffff, v91
	v_lshrrev_b32_e32 v91, 16, v91
	s_wait_dscnt 0x2
	v_pk_fma_f16 v64, v80, v89, v64
	v_pk_fma_f16 v63, v81, v89, v63
	;; [unrolled: 1-line block ×4, first 2 shown]
	v_mul_u32_u24_e32 v80, 0x10001, v90
	v_mul_u32_u24_e32 v81, 0x10001, v91
	ds_load_b128 v[88:91], v53 offset:272
	s_wait_dscnt 0x2
	v_and_b32_e32 v92, 0xffff, v84
	v_lshrrev_b32_e32 v84, 16, v84
	v_pk_fma_f16 v65, v82, v80, v65
	v_pk_fma_f16 v64, v82, v81, v64
	;; [unrolled: 1-line block ×3, first 2 shown]
	v_mul_u32_u24_e32 v80, 0x10001, v92
	v_mul_u32_u24_e32 v82, 0x10001, v84
	v_and_b32_e32 v84, 0xffff, v85
	ds_load_2addr_b64 v[92:95], v96 offset0:64 offset1:96
	v_pk_fma_f16 v63, v83, v81, v63
	v_lshrrev_b32_e32 v81, 16, v85
	s_wait_dscnt 0x2
	v_pk_fma_f16 v65, v76, v80, v65
	v_mul_u32_u24_e32 v83, 0x10001, v84
	v_pk_fma_f16 v64, v76, v82, v64
	v_pk_fma_f16 v67, v77, v80, v67
	v_mul_u32_u24_e32 v76, 0x10001, v81
	v_pk_fma_f16 v63, v77, v82, v63
	v_and_b32_e32 v77, 0xffff, v86
	v_pk_fma_f16 v65, v78, v83, v65
	v_lshrrev_b32_e32 v80, 16, v86
	v_pk_fma_f16 v64, v78, v76, v64
	v_pk_fma_f16 v67, v79, v83, v67
	;; [unrolled: 1-line block ×3, first 2 shown]
	v_mul_u32_u24_e32 v81, 0x10001, v77
	ds_load_2addr_b64 v[76:79], v96 offset0:128 offset1:160
	v_mul_u32_u24_e32 v80, 0x10001, v80
	v_and_b32_e32 v82, 0xffff, v87
	v_lshrrev_b32_e32 v83, 16, v87
	s_wait_dscnt 0x1
	v_pk_fma_f16 v65, v92, v81, v65
	v_pk_fma_f16 v67, v93, v81, v67
	;; [unrolled: 1-line block ×3, first 2 shown]
	v_mul_u32_u24_e32 v81, 0x10001, v82
	v_mul_u32_u24_e32 v84, 0x10001, v83
	v_pk_fma_f16 v63, v93, v80, v63
	v_and_b32_e32 v80, 0xffff, v88
	v_lshrrev_b32_e32 v82, 16, v88
	v_pk_fma_f16 v65, v94, v81, v65
	v_pk_fma_f16 v64, v94, v84, v64
	;; [unrolled: 1-line block ×3, first 2 shown]
	v_mul_u32_u24_e32 v85, 0x10001, v80
	v_mul_u32_u24_e32 v88, 0x10001, v82
	v_pk_fma_f16 v63, v95, v84, v63
	v_and_b32_e32 v84, 0xffff, v89
	v_lshrrev_b32_e32 v86, 16, v89
	ds_load_2addr_b64 v[80:83], v96 offset0:192 offset1:224
	s_wait_dscnt 0x1
	v_pk_fma_f16 v65, v76, v85, v65
	v_pk_fma_f16 v64, v76, v88, v64
	;; [unrolled: 1-line block ×3, first 2 shown]
	v_mul_u32_u24_e32 v76, 0x10001, v84
	v_mul_u32_u24_e32 v89, 0x10001, v86
	ds_load_b128 v[84:87], v53 offset:288
	v_pk_fma_f16 v63, v77, v88, v63
	v_lshrrev_b32_e32 v77, 16, v90
	v_add_nc_u32_e32 v96, 0x4800, v39
	v_and_b32_e32 v92, 0xffff, v90
	v_pk_fma_f16 v65, v78, v76, v65
	v_pk_fma_f16 v64, v78, v89, v64
	;; [unrolled: 1-line block ×4, first 2 shown]
	v_mul_u32_u24_e32 v89, 0x10001, v77
	ds_load_2addr_b64 v[76:79], v96 offset1:32
	v_mul_u32_u24_e32 v88, 0x10001, v92
	v_and_b32_e32 v90, 0xffff, v91
	v_lshrrev_b32_e32 v91, 16, v91
	s_wait_dscnt 0x2
	v_pk_fma_f16 v64, v80, v89, v64
	v_pk_fma_f16 v63, v81, v89, v63
	;; [unrolled: 1-line block ×4, first 2 shown]
	v_mul_u32_u24_e32 v80, 0x10001, v90
	v_mul_u32_u24_e32 v81, 0x10001, v91
	ds_load_b128 v[88:91], v53 offset:304
	s_wait_dscnt 0x2
	v_and_b32_e32 v92, 0xffff, v84
	v_lshrrev_b32_e32 v84, 16, v84
	v_pk_fma_f16 v65, v82, v80, v65
	v_pk_fma_f16 v64, v82, v81, v64
	;; [unrolled: 1-line block ×3, first 2 shown]
	v_mul_u32_u24_e32 v80, 0x10001, v92
	v_mul_u32_u24_e32 v82, 0x10001, v84
	v_and_b32_e32 v84, 0xffff, v85
	ds_load_2addr_b64 v[92:95], v96 offset0:64 offset1:96
	v_pk_fma_f16 v63, v83, v81, v63
	v_lshrrev_b32_e32 v81, 16, v85
	s_wait_dscnt 0x2
	v_pk_fma_f16 v65, v76, v80, v65
	v_mul_u32_u24_e32 v83, 0x10001, v84
	v_pk_fma_f16 v64, v76, v82, v64
	v_pk_fma_f16 v67, v77, v80, v67
	v_mul_u32_u24_e32 v76, 0x10001, v81
	v_pk_fma_f16 v63, v77, v82, v63
	v_and_b32_e32 v77, 0xffff, v86
	v_pk_fma_f16 v65, v78, v83, v65
	v_lshrrev_b32_e32 v80, 16, v86
	v_pk_fma_f16 v64, v78, v76, v64
	v_pk_fma_f16 v67, v79, v83, v67
	;; [unrolled: 1-line block ×3, first 2 shown]
	v_mul_u32_u24_e32 v81, 0x10001, v77
	ds_load_2addr_b64 v[76:79], v96 offset0:128 offset1:160
	v_mul_u32_u24_e32 v80, 0x10001, v80
	v_and_b32_e32 v82, 0xffff, v87
	v_lshrrev_b32_e32 v83, 16, v87
	s_wait_dscnt 0x1
	v_pk_fma_f16 v65, v92, v81, v65
	v_pk_fma_f16 v67, v93, v81, v67
	;; [unrolled: 1-line block ×3, first 2 shown]
	v_mul_u32_u24_e32 v81, 0x10001, v82
	v_mul_u32_u24_e32 v84, 0x10001, v83
	v_pk_fma_f16 v63, v93, v80, v63
	v_and_b32_e32 v80, 0xffff, v88
	v_lshrrev_b32_e32 v82, 16, v88
	v_pk_fma_f16 v65, v94, v81, v65
	v_pk_fma_f16 v64, v94, v84, v64
	;; [unrolled: 1-line block ×3, first 2 shown]
	v_mul_u32_u24_e32 v85, 0x10001, v80
	v_mul_u32_u24_e32 v88, 0x10001, v82
	v_pk_fma_f16 v63, v95, v84, v63
	v_and_b32_e32 v84, 0xffff, v89
	v_lshrrev_b32_e32 v86, 16, v89
	ds_load_2addr_b64 v[80:83], v96 offset0:192 offset1:224
	s_wait_dscnt 0x1
	v_pk_fma_f16 v65, v76, v85, v65
	v_pk_fma_f16 v64, v76, v88, v64
	v_pk_fma_f16 v67, v77, v85, v67
	v_mul_u32_u24_e32 v76, 0x10001, v84
	v_mul_u32_u24_e32 v89, 0x10001, v86
	ds_load_b128 v[84:87], v53 offset:320
	v_pk_fma_f16 v63, v77, v88, v63
	v_lshrrev_b32_e32 v77, 16, v90
	v_add_nc_u32_e32 v96, 0x5000, v39
	v_and_b32_e32 v92, 0xffff, v90
	v_pk_fma_f16 v65, v78, v76, v65
	v_pk_fma_f16 v64, v78, v89, v64
	;; [unrolled: 1-line block ×4, first 2 shown]
	v_mul_u32_u24_e32 v89, 0x10001, v77
	ds_load_2addr_b64 v[76:79], v96 offset1:32
	v_mul_u32_u24_e32 v88, 0x10001, v92
	v_and_b32_e32 v90, 0xffff, v91
	v_lshrrev_b32_e32 v91, 16, v91
	s_wait_dscnt 0x2
	v_pk_fma_f16 v64, v80, v89, v64
	v_pk_fma_f16 v63, v81, v89, v63
	;; [unrolled: 1-line block ×4, first 2 shown]
	v_mul_u32_u24_e32 v80, 0x10001, v90
	v_mul_u32_u24_e32 v81, 0x10001, v91
	ds_load_b128 v[88:91], v53 offset:336
	s_wait_dscnt 0x2
	v_and_b32_e32 v92, 0xffff, v84
	v_lshrrev_b32_e32 v84, 16, v84
	v_pk_fma_f16 v65, v82, v80, v65
	v_pk_fma_f16 v64, v82, v81, v64
	;; [unrolled: 1-line block ×3, first 2 shown]
	v_mul_u32_u24_e32 v80, 0x10001, v92
	v_mul_u32_u24_e32 v82, 0x10001, v84
	v_and_b32_e32 v84, 0xffff, v85
	ds_load_2addr_b64 v[92:95], v96 offset0:64 offset1:96
	v_pk_fma_f16 v63, v83, v81, v63
	v_lshrrev_b32_e32 v81, 16, v85
	s_wait_dscnt 0x2
	v_pk_fma_f16 v65, v76, v80, v65
	v_mul_u32_u24_e32 v83, 0x10001, v84
	v_pk_fma_f16 v64, v76, v82, v64
	v_pk_fma_f16 v67, v77, v80, v67
	v_mul_u32_u24_e32 v76, 0x10001, v81
	v_pk_fma_f16 v63, v77, v82, v63
	v_and_b32_e32 v77, 0xffff, v86
	v_pk_fma_f16 v65, v78, v83, v65
	v_lshrrev_b32_e32 v80, 16, v86
	v_pk_fma_f16 v64, v78, v76, v64
	v_pk_fma_f16 v67, v79, v83, v67
	v_pk_fma_f16 v63, v79, v76, v63
	v_mul_u32_u24_e32 v81, 0x10001, v77
	ds_load_2addr_b64 v[76:79], v96 offset0:128 offset1:160
	v_mul_u32_u24_e32 v80, 0x10001, v80
	v_and_b32_e32 v82, 0xffff, v87
	v_lshrrev_b32_e32 v83, 16, v87
	s_wait_dscnt 0x1
	v_pk_fma_f16 v65, v92, v81, v65
	v_pk_fma_f16 v67, v93, v81, v67
	;; [unrolled: 1-line block ×3, first 2 shown]
	v_mul_u32_u24_e32 v81, 0x10001, v82
	v_mul_u32_u24_e32 v84, 0x10001, v83
	v_pk_fma_f16 v63, v93, v80, v63
	v_and_b32_e32 v80, 0xffff, v88
	v_lshrrev_b32_e32 v82, 16, v88
	v_pk_fma_f16 v65, v94, v81, v65
	v_pk_fma_f16 v64, v94, v84, v64
	;; [unrolled: 1-line block ×3, first 2 shown]
	v_mul_u32_u24_e32 v85, 0x10001, v80
	v_mul_u32_u24_e32 v88, 0x10001, v82
	v_pk_fma_f16 v63, v95, v84, v63
	v_and_b32_e32 v84, 0xffff, v89
	v_lshrrev_b32_e32 v86, 16, v89
	ds_load_2addr_b64 v[80:83], v96 offset0:192 offset1:224
	s_wait_dscnt 0x1
	v_pk_fma_f16 v65, v76, v85, v65
	v_pk_fma_f16 v64, v76, v88, v64
	;; [unrolled: 1-line block ×3, first 2 shown]
	v_mul_u32_u24_e32 v76, 0x10001, v84
	v_mul_u32_u24_e32 v89, 0x10001, v86
	ds_load_b128 v[84:87], v53 offset:352
	v_pk_fma_f16 v63, v77, v88, v63
	v_lshrrev_b32_e32 v77, 16, v90
	v_add_nc_u32_e32 v96, 0x5800, v39
	v_and_b32_e32 v92, 0xffff, v90
	v_pk_fma_f16 v65, v78, v76, v65
	v_pk_fma_f16 v64, v78, v89, v64
	;; [unrolled: 1-line block ×4, first 2 shown]
	v_mul_u32_u24_e32 v89, 0x10001, v77
	ds_load_2addr_b64 v[76:79], v96 offset1:32
	v_mul_u32_u24_e32 v88, 0x10001, v92
	v_and_b32_e32 v90, 0xffff, v91
	v_lshrrev_b32_e32 v91, 16, v91
	s_wait_dscnt 0x2
	v_pk_fma_f16 v64, v80, v89, v64
	v_pk_fma_f16 v63, v81, v89, v63
	;; [unrolled: 1-line block ×4, first 2 shown]
	v_mul_u32_u24_e32 v80, 0x10001, v90
	v_mul_u32_u24_e32 v81, 0x10001, v91
	ds_load_b128 v[88:91], v53 offset:368
	s_wait_dscnt 0x2
	v_and_b32_e32 v92, 0xffff, v84
	v_lshrrev_b32_e32 v84, 16, v84
	v_pk_fma_f16 v65, v82, v80, v65
	v_pk_fma_f16 v64, v82, v81, v64
	;; [unrolled: 1-line block ×3, first 2 shown]
	v_mul_u32_u24_e32 v80, 0x10001, v92
	v_mul_u32_u24_e32 v82, 0x10001, v84
	v_and_b32_e32 v84, 0xffff, v85
	ds_load_2addr_b64 v[92:95], v96 offset0:64 offset1:96
	v_pk_fma_f16 v63, v83, v81, v63
	v_lshrrev_b32_e32 v81, 16, v85
	s_wait_dscnt 0x2
	v_pk_fma_f16 v65, v76, v80, v65
	v_mul_u32_u24_e32 v83, 0x10001, v84
	v_pk_fma_f16 v64, v76, v82, v64
	v_pk_fma_f16 v67, v77, v80, v67
	v_mul_u32_u24_e32 v76, 0x10001, v81
	v_pk_fma_f16 v63, v77, v82, v63
	v_and_b32_e32 v77, 0xffff, v86
	v_pk_fma_f16 v65, v78, v83, v65
	v_lshrrev_b32_e32 v80, 16, v86
	v_pk_fma_f16 v64, v78, v76, v64
	v_pk_fma_f16 v67, v79, v83, v67
	;; [unrolled: 1-line block ×3, first 2 shown]
	v_mul_u32_u24_e32 v81, 0x10001, v77
	ds_load_2addr_b64 v[76:79], v96 offset0:128 offset1:160
	v_mul_u32_u24_e32 v80, 0x10001, v80
	v_and_b32_e32 v82, 0xffff, v87
	v_lshrrev_b32_e32 v83, 16, v87
	s_wait_dscnt 0x1
	v_pk_fma_f16 v65, v92, v81, v65
	v_pk_fma_f16 v67, v93, v81, v67
	;; [unrolled: 1-line block ×3, first 2 shown]
	v_mul_u32_u24_e32 v81, 0x10001, v82
	v_mul_u32_u24_e32 v84, 0x10001, v83
	v_pk_fma_f16 v63, v93, v80, v63
	v_and_b32_e32 v80, 0xffff, v88
	v_lshrrev_b32_e32 v82, 16, v88
	v_pk_fma_f16 v65, v94, v81, v65
	v_pk_fma_f16 v64, v94, v84, v64
	;; [unrolled: 1-line block ×3, first 2 shown]
	v_mul_u32_u24_e32 v85, 0x10001, v80
	v_mul_u32_u24_e32 v88, 0x10001, v82
	v_pk_fma_f16 v63, v95, v84, v63
	v_and_b32_e32 v84, 0xffff, v89
	v_lshrrev_b32_e32 v86, 16, v89
	ds_load_2addr_b64 v[80:83], v96 offset0:192 offset1:224
	s_wait_dscnt 0x1
	v_pk_fma_f16 v65, v76, v85, v65
	v_pk_fma_f16 v64, v76, v88, v64
	;; [unrolled: 1-line block ×3, first 2 shown]
	v_mul_u32_u24_e32 v76, 0x10001, v84
	v_mul_u32_u24_e32 v89, 0x10001, v86
	ds_load_b128 v[84:87], v53 offset:384
	v_pk_fma_f16 v63, v77, v88, v63
	v_lshrrev_b32_e32 v77, 16, v90
	v_add_nc_u32_e32 v96, 0x6000, v39
	v_and_b32_e32 v92, 0xffff, v90
	v_pk_fma_f16 v65, v78, v76, v65
	v_pk_fma_f16 v64, v78, v89, v64
	;; [unrolled: 1-line block ×4, first 2 shown]
	v_mul_u32_u24_e32 v89, 0x10001, v77
	ds_load_2addr_b64 v[76:79], v96 offset1:32
	v_mul_u32_u24_e32 v88, 0x10001, v92
	v_and_b32_e32 v90, 0xffff, v91
	v_lshrrev_b32_e32 v91, 16, v91
	s_wait_dscnt 0x2
	v_pk_fma_f16 v64, v80, v89, v64
	v_pk_fma_f16 v63, v81, v89, v63
	v_pk_fma_f16 v65, v80, v88, v65
	v_pk_fma_f16 v67, v81, v88, v67
	v_mul_u32_u24_e32 v80, 0x10001, v90
	v_mul_u32_u24_e32 v81, 0x10001, v91
	ds_load_b128 v[88:91], v53 offset:400
	s_wait_dscnt 0x2
	v_and_b32_e32 v92, 0xffff, v84
	v_lshrrev_b32_e32 v84, 16, v84
	v_pk_fma_f16 v65, v82, v80, v65
	v_pk_fma_f16 v64, v82, v81, v64
	v_pk_fma_f16 v67, v83, v80, v67
	v_mul_u32_u24_e32 v80, 0x10001, v92
	v_mul_u32_u24_e32 v82, 0x10001, v84
	v_and_b32_e32 v84, 0xffff, v85
	ds_load_2addr_b64 v[92:95], v96 offset0:64 offset1:96
	v_pk_fma_f16 v63, v83, v81, v63
	v_lshrrev_b32_e32 v81, 16, v85
	s_wait_dscnt 0x2
	v_pk_fma_f16 v65, v76, v80, v65
	v_mul_u32_u24_e32 v83, 0x10001, v84
	v_pk_fma_f16 v64, v76, v82, v64
	v_pk_fma_f16 v67, v77, v80, v67
	v_mul_u32_u24_e32 v76, 0x10001, v81
	v_pk_fma_f16 v63, v77, v82, v63
	v_and_b32_e32 v77, 0xffff, v86
	v_pk_fma_f16 v65, v78, v83, v65
	v_lshrrev_b32_e32 v80, 16, v86
	v_pk_fma_f16 v64, v78, v76, v64
	v_pk_fma_f16 v67, v79, v83, v67
	;; [unrolled: 1-line block ×3, first 2 shown]
	v_mul_u32_u24_e32 v81, 0x10001, v77
	ds_load_2addr_b64 v[76:79], v96 offset0:128 offset1:160
	v_mul_u32_u24_e32 v80, 0x10001, v80
	v_and_b32_e32 v82, 0xffff, v87
	v_lshrrev_b32_e32 v83, 16, v87
	s_wait_dscnt 0x1
	v_pk_fma_f16 v65, v92, v81, v65
	v_pk_fma_f16 v67, v93, v81, v67
	;; [unrolled: 1-line block ×3, first 2 shown]
	v_mul_u32_u24_e32 v81, 0x10001, v82
	v_mul_u32_u24_e32 v84, 0x10001, v83
	v_pk_fma_f16 v63, v93, v80, v63
	v_and_b32_e32 v80, 0xffff, v88
	v_lshrrev_b32_e32 v82, 16, v88
	v_pk_fma_f16 v65, v94, v81, v65
	v_pk_fma_f16 v64, v94, v84, v64
	;; [unrolled: 1-line block ×3, first 2 shown]
	v_mul_u32_u24_e32 v85, 0x10001, v80
	v_mul_u32_u24_e32 v88, 0x10001, v82
	v_pk_fma_f16 v63, v95, v84, v63
	v_and_b32_e32 v84, 0xffff, v89
	v_lshrrev_b32_e32 v86, 16, v89
	ds_load_2addr_b64 v[80:83], v96 offset0:192 offset1:224
	s_wait_dscnt 0x1
	v_pk_fma_f16 v65, v76, v85, v65
	v_pk_fma_f16 v64, v76, v88, v64
	;; [unrolled: 1-line block ×3, first 2 shown]
	v_mul_u32_u24_e32 v76, 0x10001, v84
	v_mul_u32_u24_e32 v89, 0x10001, v86
	ds_load_b128 v[84:87], v53 offset:416
	v_pk_fma_f16 v63, v77, v88, v63
	v_lshrrev_b32_e32 v77, 16, v90
	v_add_nc_u32_e32 v96, 0x6800, v39
	v_and_b32_e32 v92, 0xffff, v90
	v_pk_fma_f16 v65, v78, v76, v65
	v_pk_fma_f16 v64, v78, v89, v64
	;; [unrolled: 1-line block ×4, first 2 shown]
	v_mul_u32_u24_e32 v89, 0x10001, v77
	ds_load_2addr_b64 v[76:79], v96 offset1:32
	v_mul_u32_u24_e32 v88, 0x10001, v92
	v_and_b32_e32 v90, 0xffff, v91
	v_lshrrev_b32_e32 v91, 16, v91
	s_wait_dscnt 0x2
	v_pk_fma_f16 v64, v80, v89, v64
	v_pk_fma_f16 v63, v81, v89, v63
	v_pk_fma_f16 v65, v80, v88, v65
	v_pk_fma_f16 v67, v81, v88, v67
	v_mul_u32_u24_e32 v80, 0x10001, v90
	v_mul_u32_u24_e32 v81, 0x10001, v91
	ds_load_b128 v[88:91], v53 offset:432
	s_wait_dscnt 0x2
	v_and_b32_e32 v92, 0xffff, v84
	v_lshrrev_b32_e32 v84, 16, v84
	v_pk_fma_f16 v65, v82, v80, v65
	v_pk_fma_f16 v64, v82, v81, v64
	;; [unrolled: 1-line block ×3, first 2 shown]
	v_mul_u32_u24_e32 v80, 0x10001, v92
	v_mul_u32_u24_e32 v82, 0x10001, v84
	v_and_b32_e32 v84, 0xffff, v85
	ds_load_2addr_b64 v[92:95], v96 offset0:64 offset1:96
	v_pk_fma_f16 v63, v83, v81, v63
	v_lshrrev_b32_e32 v81, 16, v85
	s_wait_dscnt 0x2
	v_pk_fma_f16 v65, v76, v80, v65
	v_mul_u32_u24_e32 v83, 0x10001, v84
	v_pk_fma_f16 v64, v76, v82, v64
	v_pk_fma_f16 v67, v77, v80, v67
	v_mul_u32_u24_e32 v76, 0x10001, v81
	v_pk_fma_f16 v63, v77, v82, v63
	v_and_b32_e32 v77, 0xffff, v86
	v_pk_fma_f16 v65, v78, v83, v65
	v_lshrrev_b32_e32 v80, 16, v86
	v_pk_fma_f16 v64, v78, v76, v64
	v_pk_fma_f16 v67, v79, v83, v67
	;; [unrolled: 1-line block ×3, first 2 shown]
	v_mul_u32_u24_e32 v81, 0x10001, v77
	ds_load_2addr_b64 v[76:79], v96 offset0:128 offset1:160
	v_mul_u32_u24_e32 v80, 0x10001, v80
	v_and_b32_e32 v82, 0xffff, v87
	v_lshrrev_b32_e32 v83, 16, v87
	s_wait_dscnt 0x1
	v_pk_fma_f16 v65, v92, v81, v65
	v_pk_fma_f16 v67, v93, v81, v67
	;; [unrolled: 1-line block ×3, first 2 shown]
	v_mul_u32_u24_e32 v81, 0x10001, v82
	v_mul_u32_u24_e32 v84, 0x10001, v83
	v_pk_fma_f16 v63, v93, v80, v63
	v_and_b32_e32 v80, 0xffff, v88
	v_lshrrev_b32_e32 v82, 16, v88
	v_pk_fma_f16 v65, v94, v81, v65
	v_pk_fma_f16 v64, v94, v84, v64
	;; [unrolled: 1-line block ×3, first 2 shown]
	v_mul_u32_u24_e32 v85, 0x10001, v80
	v_mul_u32_u24_e32 v88, 0x10001, v82
	v_pk_fma_f16 v63, v95, v84, v63
	v_and_b32_e32 v84, 0xffff, v89
	v_lshrrev_b32_e32 v86, 16, v89
	ds_load_2addr_b64 v[80:83], v96 offset0:192 offset1:224
	s_wait_dscnt 0x1
	v_pk_fma_f16 v65, v76, v85, v65
	v_pk_fma_f16 v64, v76, v88, v64
	;; [unrolled: 1-line block ×3, first 2 shown]
	v_mul_u32_u24_e32 v76, 0x10001, v84
	v_mul_u32_u24_e32 v89, 0x10001, v86
	ds_load_b128 v[84:87], v53 offset:448
	v_pk_fma_f16 v63, v77, v88, v63
	v_lshrrev_b32_e32 v77, 16, v90
	v_add_nc_u32_e32 v96, 0x7000, v39
	v_and_b32_e32 v92, 0xffff, v90
	v_pk_fma_f16 v65, v78, v76, v65
	v_pk_fma_f16 v64, v78, v89, v64
	v_pk_fma_f16 v67, v79, v76, v67
	v_pk_fma_f16 v63, v79, v89, v63
	v_mul_u32_u24_e32 v89, 0x10001, v77
	ds_load_2addr_b64 v[76:79], v96 offset1:32
	v_mul_u32_u24_e32 v88, 0x10001, v92
	v_and_b32_e32 v90, 0xffff, v91
	v_lshrrev_b32_e32 v91, 16, v91
	s_wait_dscnt 0x2
	v_pk_fma_f16 v64, v80, v89, v64
	v_pk_fma_f16 v63, v81, v89, v63
	;; [unrolled: 1-line block ×4, first 2 shown]
	v_mul_u32_u24_e32 v80, 0x10001, v90
	v_mul_u32_u24_e32 v81, 0x10001, v91
	ds_load_b128 v[88:91], v53 offset:464
	s_wait_dscnt 0x2
	v_and_b32_e32 v92, 0xffff, v84
	v_lshrrev_b32_e32 v84, 16, v84
	v_pk_fma_f16 v65, v82, v80, v65
	v_pk_fma_f16 v64, v82, v81, v64
	;; [unrolled: 1-line block ×3, first 2 shown]
	v_mul_u32_u24_e32 v80, 0x10001, v92
	v_mul_u32_u24_e32 v82, 0x10001, v84
	v_and_b32_e32 v84, 0xffff, v85
	ds_load_2addr_b64 v[92:95], v96 offset0:64 offset1:96
	v_pk_fma_f16 v63, v83, v81, v63
	v_lshrrev_b32_e32 v81, 16, v85
	s_wait_dscnt 0x2
	v_pk_fma_f16 v65, v76, v80, v65
	v_mul_u32_u24_e32 v83, 0x10001, v84
	v_pk_fma_f16 v64, v76, v82, v64
	v_pk_fma_f16 v67, v77, v80, v67
	v_mul_u32_u24_e32 v76, 0x10001, v81
	v_pk_fma_f16 v63, v77, v82, v63
	v_and_b32_e32 v77, 0xffff, v86
	v_pk_fma_f16 v65, v78, v83, v65
	v_lshrrev_b32_e32 v80, 16, v86
	v_pk_fma_f16 v64, v78, v76, v64
	v_pk_fma_f16 v67, v79, v83, v67
	;; [unrolled: 1-line block ×3, first 2 shown]
	v_mul_u32_u24_e32 v81, 0x10001, v77
	ds_load_2addr_b64 v[76:79], v96 offset0:128 offset1:160
	v_mul_u32_u24_e32 v80, 0x10001, v80
	v_and_b32_e32 v82, 0xffff, v87
	v_lshrrev_b32_e32 v83, 16, v87
	s_wait_dscnt 0x1
	v_pk_fma_f16 v65, v92, v81, v65
	v_pk_fma_f16 v67, v93, v81, v67
	;; [unrolled: 1-line block ×3, first 2 shown]
	v_mul_u32_u24_e32 v81, 0x10001, v82
	v_mul_u32_u24_e32 v84, 0x10001, v83
	v_pk_fma_f16 v63, v93, v80, v63
	v_and_b32_e32 v80, 0xffff, v88
	v_lshrrev_b32_e32 v82, 16, v88
	v_pk_fma_f16 v65, v94, v81, v65
	v_pk_fma_f16 v64, v94, v84, v64
	;; [unrolled: 1-line block ×3, first 2 shown]
	v_mul_u32_u24_e32 v85, 0x10001, v80
	v_mul_u32_u24_e32 v88, 0x10001, v82
	v_pk_fma_f16 v63, v95, v84, v63
	v_and_b32_e32 v84, 0xffff, v89
	v_lshrrev_b32_e32 v86, 16, v89
	ds_load_2addr_b64 v[80:83], v96 offset0:192 offset1:224
	s_wait_dscnt 0x1
	v_pk_fma_f16 v65, v76, v85, v65
	v_pk_fma_f16 v64, v76, v88, v64
	;; [unrolled: 1-line block ×3, first 2 shown]
	v_mul_u32_u24_e32 v76, 0x10001, v84
	v_mul_u32_u24_e32 v89, 0x10001, v86
	ds_load_b128 v[84:87], v53 offset:480
	v_and_b32_e32 v92, 0xffff, v90
	v_pk_fma_f16 v63, v77, v88, v63
	v_lshrrev_b32_e32 v77, 16, v90
	v_add_nc_u32_e32 v96, 0x7800, v39
	v_pk_fma_f16 v65, v78, v76, v65
	v_pk_fma_f16 v64, v78, v89, v64
	v_mul_u32_u24_e32 v88, 0x10001, v92
	v_pk_fma_f16 v67, v79, v76, v67
	v_pk_fma_f16 v63, v79, v89, v63
	v_mul_u32_u24_e32 v89, 0x10001, v77
	ds_load_2addr_b64 v[76:79], v96 offset1:32
	v_and_b32_e32 v90, 0xffff, v91
	v_lshrrev_b32_e32 v91, 16, v91
	s_wait_dscnt 0x2
	v_pk_fma_f16 v65, v80, v88, v65
	v_pk_fma_f16 v64, v80, v89, v64
	;; [unrolled: 1-line block ×4, first 2 shown]
	v_mul_u32_u24_e32 v80, 0x10001, v90
	v_mul_u32_u24_e32 v81, 0x10001, v91
	ds_load_b128 v[88:91], v53 offset:496
	s_wait_dscnt 0x2
	v_and_b32_e32 v92, 0xffff, v84
	v_lshrrev_b32_e32 v84, 16, v84
	v_pk_fma_f16 v65, v82, v80, v65
	v_pk_fma_f16 v67, v83, v80, v67
	;; [unrolled: 1-line block ×3, first 2 shown]
	v_mul_u32_u24_e32 v80, 0x10001, v92
	ds_load_2addr_b64 v[92:95], v96 offset0:64 offset1:96
	v_mul_u32_u24_e32 v82, 0x10001, v84
	v_and_b32_e32 v84, 0xffff, v85
	v_pk_fma_f16 v63, v83, v81, v63
	v_lshrrev_b32_e32 v81, 16, v85
	s_wait_dscnt 0x2
	v_pk_fma_f16 v65, v76, v80, v65
	v_pk_fma_f16 v64, v76, v82, v64
	v_mul_u32_u24_e32 v76, 0x10001, v84
	v_pk_fma_f16 v67, v77, v80, v67
	v_mul_u32_u24_e32 v84, 0x10001, v81
	v_pk_fma_f16 v63, v77, v82, v63
	v_and_b32_e32 v77, 0xffff, v86
	v_lshrrev_b32_e32 v85, 16, v86
	ds_load_2addr_b64 v[80:83], v96 offset0:128 offset1:160
	v_pk_fma_f16 v65, v78, v76, v65
	v_pk_fma_f16 v64, v78, v84, v64
	;; [unrolled: 1-line block ×3, first 2 shown]
	v_mul_u32_u24_e32 v76, 0x10001, v77
	v_mul_u32_u24_e32 v77, 0x10001, v85
	v_pk_fma_f16 v63, v79, v84, v63
	v_and_b32_e32 v78, 0xffff, v87
	v_lshrrev_b32_e32 v79, 16, v87
	s_wait_dscnt 0x1
	v_pk_fma_f16 v65, v92, v76, v65
	v_pk_fma_f16 v64, v92, v77, v64
	;; [unrolled: 1-line block ×3, first 2 shown]
	v_mul_u32_u24_e32 v78, 0x10001, v78
	v_mul_u32_u24_e32 v79, 0x10001, v79
	v_and_b32_e32 v76, 0xffff, v88
	v_lshrrev_b32_e32 v84, 16, v88
	v_pk_fma_f16 v63, v93, v77, v63
	v_pk_fma_f16 v65, v94, v78, v65
	;; [unrolled: 1-line block ×3, first 2 shown]
	v_mul_u32_u24_e32 v77, 0x10001, v76
	v_mul_u32_u24_e32 v84, 0x10001, v84
	v_add_f32_e32 v76, v69, v66
	v_pk_fma_f16 v69, v95, v78, v67
	v_pk_fma_f16 v63, v95, v79, v63
	s_wait_dscnt 0x0
	v_pk_fma_f16 v78, v80, v77, v65
	v_pk_fma_f16 v79, v80, v84, v64
	ds_load_2addr_b64 v[64:67], v96 offset0:192 offset1:224
	s_wait_loadcnt_dscnt 0x0
	s_barrier_signal -1
	s_barrier_wait -1
	global_inv scope:SCOPE_SE
	s_load_b32 s11, s[24:25], 0x4
	v_and_b32_e32 v80, 0xffff, v89
	v_lshrrev_b32_e32 v85, 16, v89
	v_pk_fma_f16 v69, v81, v77, v69
	v_pk_fma_f16 v63, v81, v84, v63
	v_and_b32_e32 v81, 0xffff, v90
	v_mul_u32_u24_e32 v77, 0x10001, v80
	v_mul_u32_u24_e32 v80, 0x10001, v85
	v_lshrrev_b32_e32 v84, 16, v90
	v_fmac_f32_e32 v76, v62, v68
	s_delay_alu instid0(VALU_DEP_4) | instskip(NEXT) | instid1(VALU_DEP_4)
	v_pk_fma_f16 v78, v82, v77, v78
	v_pk_fma_f16 v79, v82, v80, v79
	;; [unrolled: 1-line block ×3, first 2 shown]
	v_mul_u32_u24_e32 v77, 0x10001, v81
	v_mul_u32_u24_e32 v81, 0x10001, v84
	v_and_b32_e32 v82, 0xffff, v91
	v_lshrrev_b32_e32 v84, 16, v91
	v_pk_fma_f16 v63, v83, v80, v63
	v_pk_fma_f16 v78, v64, v77, v78
	;; [unrolled: 1-line block ×3, first 2 shown]
	v_mul_u32_u24_e32 v79, 0x10001, v82
	v_mul_u32_u24_e32 v80, 0x10001, v84
	v_pk_fma_f16 v69, v65, v77, v69
	v_pk_fma_f16 v62, v65, v81, v63
	s_wait_kmcnt 0x0
	s_lshl_b32 s11, s11, 7
	v_pk_fma_f16 v65, v66, v79, v78
	v_pk_fma_f16 v64, v66, v80, v64
	v_pk_fma_f16 v66, v67, v79, v69
	v_pk_fma_f16 v63, v67, v80, v62
	s_wait_alu 0xfffe
	s_add_co_i32 s10, s11, s10
	s_wait_alu 0xfffe
	s_cmp_ge_i32 s10, s28
	s_cbranch_scc1 .LBB77_43
; %bb.42:                               ;   in Loop: Header=BB77_9 Depth=1
	v_dual_mov_b32 v69, v35 :: v_dual_mov_b32 v68, v36
	v_dual_mov_b32 v67, v75 :: v_dual_mov_b32 v62, v76
	s_branch .LBB77_9
.LBB77_43:
	v_mov_b32_e32 v5, v40
.LBB77_44:
	v_cmp_lt_i32_e32 vcc_lo, v74, v41
	s_cmp_lg_u64 s[12:13], 0
	s_cselect_b32 s3, -1, 0
	s_cmp_eq_u32 s4, 0
	s_wait_alu 0xfffd
	v_cndmask_b32_e32 v2, v5, v74, vcc_lo
	v_cmp_lt_i32_e32 vcc_lo, v70, v41
	s_cselect_b32 s5, -1, 0
	s_wait_alu 0xfffe
	s_and_b32 s3, s5, s3
	s_wait_alu 0xfffd
	v_cndmask_b32_e32 v4, v5, v70, vcc_lo
	v_cmp_lt_i32_e32 vcc_lo, v71, v41
	s_wait_alu 0xfffd
	v_dual_cndmask_b32 v7, v5, v71 :: v_dual_lshlrev_b32 v2, 2, v2
	ds_bpermute_b32 v3, v2, v75
	ds_bpermute_b32 v2, v2, v76
	v_cmp_lt_i32_e32 vcc_lo, v72, v41
	v_lshlrev_b32_e32 v7, 2, v7
	s_wait_dscnt 0x1
	v_dual_add_f32 v3, v75, v3 :: v_dual_lshlrev_b32 v4, 2, v4
	s_wait_dscnt 0x0
	v_add_f32_e32 v2, v76, v2
	ds_bpermute_b32 v6, v4, v3
	s_wait_dscnt 0x0
	v_add_f32_e32 v3, v3, v6
	ds_bpermute_b32 v4, v4, v2
	;; [unrolled: 3-line block ×3, first 2 shown]
	ds_bpermute_b32 v6, v7, v2
	s_wait_alu 0xfffd
	v_cndmask_b32_e32 v7, v5, v72, vcc_lo
	v_cmp_lt_i32_e32 vcc_lo, v73, v41
	s_delay_alu instid0(VALU_DEP_2)
	v_lshlrev_b32_e32 v7, 2, v7
	s_wait_dscnt 0x0
	v_dual_add_f32 v3, v3, v4 :: v_dual_add_f32 v2, v2, v6
	ds_bpermute_b32 v4, v7, v3
	ds_bpermute_b32 v6, v7, v2
	s_wait_alu 0xfffd
	v_cndmask_b32_e32 v5, v5, v73, vcc_lo
	s_wait_alu 0xfffe
	s_and_b32 vcc_lo, exec_lo, s3
	s_wait_dscnt 0x0
	v_dual_add_f32 v3, v3, v4 :: v_dual_add_f32 v4, v2, v6
	v_lshlrev_b32_e32 v5, 2, v5
	ds_bpermute_b32 v2, v5, v3
	s_wait_dscnt 0x0
	v_add_f32_e32 v2, v3, v2
	ds_bpermute_b32 v5, v5, v4
	s_wait_dscnt 0x0
	v_add_f32_e32 v3, v4, v5
	s_wait_alu 0xfffe
	s_cbranch_vccz .LBB77_47
; %bb.45:
	v_add_nc_u32_e32 v4, s33, v37
	s_delay_alu instid0(VALU_DEP_1) | instskip(NEXT) | instid1(VALU_DEP_1)
	v_ashrrev_i32_e32 v5, 31, v4
	v_lshlrev_b64_e32 v[4:5], 2, v[4:5]
	s_delay_alu instid0(VALU_DEP_1) | instskip(SKIP_1) | instid1(VALU_DEP_2)
	v_add_co_u32 v4, vcc_lo, s12, v4
	s_wait_alu 0xfffd
	v_add_co_ci_u32_e64 v5, null, s13, v5, vcc_lo
	global_load_b64 v[4:5], v[4:5], off
	v_max_num_f32_e32 v6, v35, v35
	s_wait_loadcnt 0x0
	v_dual_max_num_f32 v8, v36, v36 :: v_dual_max_num_f32 v9, v5, v5
	v_max_num_f32_e32 v7, v4, v4
	s_delay_alu instid0(VALU_DEP_1) | instskip(NEXT) | instid1(VALU_DEP_1)
	v_dual_max_num_f32 v6, v6, v7 :: v_dual_max_num_f32 v7, v8, v9
	v_dual_sub_f32 v8, v35, v6 :: v_dual_sub_f32 v5, v5, v7
	v_sub_f32_e32 v4, v4, v6
	v_dual_sub_f32 v9, v36, v7 :: v_dual_mov_b32 v36, v7
	s_delay_alu instid0(VALU_DEP_3) | instskip(NEXT) | instid1(VALU_DEP_4)
	v_cmp_ngt_f32_e32 vcc_lo, 0xc2ce8ed0, v8
	v_mul_f32_e32 v13, 0x3fb8aa3b, v5
	s_delay_alu instid0(VALU_DEP_3) | instskip(SKIP_1) | instid1(VALU_DEP_3)
	v_dual_mul_f32 v11, 0x3fb8aa3b, v4 :: v_dual_mul_f32 v12, 0x3fb8aa3b, v9
	v_mov_b32_e32 v35, v6
	v_fma_f32 v20, 0x3fb8aa3b, v5, -v13
	s_delay_alu instid0(VALU_DEP_3)
	v_rndne_f32_e32 v19, v11
	v_mul_f32_e32 v10, 0x3fb8aa3b, v8
	v_fma_f32 v16, 0x3fb8aa3b, v4, -v11
	v_fma_f32 v17, 0x3fb8aa3b, v9, -v12
	v_rndne_f32_e32 v18, v12
	v_sub_f32_e32 v11, v11, v19
	v_fma_f32 v14, 0x3fb8aa3b, v8, -v10
	v_rndne_f32_e32 v15, v10
	v_rndne_f32_e32 v21, v13
	v_dual_fmac_f32 v17, 0x32a5705f, v9 :: v_dual_fmac_f32 v16, 0x32a5705f, v4
	s_delay_alu instid0(VALU_DEP_4) | instskip(NEXT) | instid1(VALU_DEP_3)
	v_fmac_f32_e32 v14, 0x32a5705f, v8
	v_dual_sub_f32 v10, v10, v15 :: v_dual_sub_f32 v13, v13, v21
	s_delay_alu instid0(VALU_DEP_3) | instskip(SKIP_1) | instid1(VALU_DEP_3)
	v_dual_sub_f32 v12, v12, v18 :: v_dual_add_f32 v11, v11, v16
	v_fmac_f32_e32 v20, 0x32a5705f, v5
	v_add_f32_e32 v10, v10, v14
	v_cvt_i32_f32_e32 v14, v15
	s_delay_alu instid0(VALU_DEP_4)
	v_add_f32_e32 v12, v12, v17
	v_cvt_i32_f32_e32 v15, v18
	v_add_f32_e32 v13, v13, v20
	v_exp_f32_e32 v10, v10
	v_exp_f32_e32 v11, v11
	;; [unrolled: 1-line block ×3, first 2 shown]
	v_cvt_i32_f32_e32 v16, v19
	v_exp_f32_e32 v13, v13
	v_ldexp_f32 v10, v10, v14
	v_cvt_i32_f32_e32 v14, v21
	s_delay_alu instid0(TRANS32_DEP_2) | instskip(NEXT) | instid1(TRANS32_DEP_3)
	v_ldexp_f32 v12, v12, v15
	v_ldexp_f32 v11, v11, v16
	s_wait_alu 0xfffd
	v_cndmask_b32_e32 v10, 0, v10, vcc_lo
	v_cmp_ngt_f32_e32 vcc_lo, 0xc2ce8ed0, v9
	s_wait_alu 0xfffd
	v_cndmask_b32_e32 v12, 0, v12, vcc_lo
	v_cmp_nlt_f32_e32 vcc_lo, 0x42b17218, v8
	s_wait_alu 0xfffd
	v_cndmask_b32_e32 v8, 0x7f800000, v10, vcc_lo
	v_cmp_nlt_f32_e32 vcc_lo, 0x42b17218, v9
	v_ldexp_f32 v10, v13, v14
	s_wait_alu 0xfffd
	v_cndmask_b32_e32 v9, 0x7f800000, v12, vcc_lo
	v_cmp_ngt_f32_e32 vcc_lo, 0xc2ce8ed0, v4
	s_wait_alu 0xfffd
	v_cndmask_b32_e32 v11, 0, v11, vcc_lo
	v_cmp_ngt_f32_e32 vcc_lo, 0xc2ce8ed0, v5
	s_wait_alu 0xfffd
	v_cndmask_b32_e32 v10, 0, v10, vcc_lo
	v_cmp_nlt_f32_e32 vcc_lo, 0x42b17218, v4
	s_wait_alu 0xfffd
	v_cndmask_b32_e32 v4, 0x7f800000, v11, vcc_lo
	v_cmp_nlt_f32_e32 vcc_lo, 0x42b17218, v5
	s_wait_alu 0xfffd
	v_cndmask_b32_e32 v5, 0x7f800000, v10, vcc_lo
	s_delay_alu instid0(VALU_DEP_1) | instskip(NEXT) | instid1(VALU_DEP_1)
	v_fmac_f32_e32 v5, v3, v9
	v_dual_mov_b32 v3, v5 :: v_dual_fmac_f32 v4, v2, v8
	v_cvt_f16_f32_e32 v12, v8
	s_delay_alu instid0(VALU_DEP_2) | instskip(SKIP_1) | instid1(VALU_DEP_3)
	v_mov_b32_e32 v2, v4
	v_cvt_f16_f32_e32 v13, v9
	v_and_b32_e32 v11, 0xffff, v12
	s_delay_alu instid0(VALU_DEP_2) | instskip(NEXT) | instid1(VALU_DEP_2)
	v_and_b32_e32 v12, 0xffff, v13
	v_mul_u32_u24_e32 v8, 0x10001, v11
	s_delay_alu instid0(VALU_DEP_2) | instskip(NEXT) | instid1(VALU_DEP_2)
	v_mul_u32_u24_e32 v6, 0x10001, v12
	v_pk_mul_f16 v65, v65, v8
	v_pk_mul_f16 v66, v66, v8
	s_delay_alu instid0(VALU_DEP_3)
	v_pk_mul_f16 v64, v64, v6
	v_pk_mul_f16 v63, v63, v6
	s_mov_b32 s3, exec_lo
	v_cmpx_gt_i32_e64 s22, v1
	s_cbranch_execnz .LBB77_48
.LBB77_46:
	s_nop 0
	s_sendmsg sendmsg(MSG_DEALLOC_VGPRS)
	s_endpgm
.LBB77_47:
	s_delay_alu instid0(VALU_DEP_1)
	v_dual_mov_b32 v5, v3 :: v_dual_mov_b32 v4, v2
	s_mov_b32 s3, exec_lo
	v_cmpx_gt_i32_e64 s22, v1
	s_cbranch_execz .LBB77_46
.LBB77_48:
	s_load_b32 s1, s[0:1], 0xd4
	v_mov_b32_e32 v6, 1.0
	s_wait_kmcnt 0x0
	s_cmp_lg_u32 s1, 1
	s_cselect_b32 s5, -1, 0
	s_cmp_eq_u32 s1, 1
	s_cselect_b32 s3, -1, 0
	s_wait_alu 0xfffe
	s_and_b32 vcc_lo, exec_lo, s5
	s_wait_alu 0xfffe
	s_cbranch_vccnz .LBB77_50
; %bb.49:
	v_div_scale_f32 v6, null, v2, v2, 1.0
	s_delay_alu instid0(VALU_DEP_1) | instskip(NEXT) | instid1(TRANS32_DEP_1)
	v_rcp_f32_e32 v7, v6
	v_fma_f32 v8, -v6, v7, 1.0
	s_delay_alu instid0(VALU_DEP_1) | instskip(SKIP_1) | instid1(VALU_DEP_1)
	v_fmac_f32_e32 v7, v8, v7
	v_div_scale_f32 v8, vcc_lo, 1.0, v2, 1.0
	v_mul_f32_e32 v9, v8, v7
	s_delay_alu instid0(VALU_DEP_1) | instskip(NEXT) | instid1(VALU_DEP_1)
	v_fma_f32 v10, -v6, v9, v8
	v_fmac_f32_e32 v9, v10, v7
	s_delay_alu instid0(VALU_DEP_1) | instskip(SKIP_1) | instid1(VALU_DEP_1)
	v_fma_f32 v6, -v6, v9, v8
	s_wait_alu 0xfffd
	v_div_fmas_f32 v6, v6, v7, v9
	s_delay_alu instid0(VALU_DEP_1)
	v_div_fixup_f32 v6, v6, v2, 1.0
.LBB77_50:
	v_mad_co_u64_u32 v[1:2], null, s2, s22, v[1:2]
	v_cvt_f32_f16_e32 v9, v65
	v_mov_b32_e32 v8, 0
	v_cmp_eq_u32_e32 vcc_lo, 0, v0
	v_lshrrev_b32_e32 v0, 16, v65
	v_cvt_f32_f16_e32 v10, v66
	v_mul_lo_u32 v1, v1, s23
	s_delay_alu instid0(VALU_DEP_3) | instskip(NEXT) | instid1(VALU_DEP_2)
	v_cvt_f32_f16_e32 v0, v0
	v_add3_u32 v1, s33, v37, v1
	s_delay_alu instid0(VALU_DEP_1) | instskip(SKIP_1) | instid1(VALU_DEP_1)
	v_mad_co_u64_u32 v[1:2], null, s1, v1, s[4:5]
	v_lshrrev_b32_e32 v2, 16, v66
	v_cvt_f32_f16_e32 v2, v2
	s_delay_alu instid0(VALU_DEP_3) | instskip(NEXT) | instid1(VALU_DEP_1)
	v_lshl_add_u32 v7, v1, 7, v38
	v_lshlrev_b64_e32 v[11:12], 2, v[7:8]
	v_mul_f32_e32 v7, v6, v9
	v_mul_f32_e32 v9, v6, v10
	;; [unrolled: 1-line block ×4, first 2 shown]
	v_add_co_u32 v11, s0, s16, v11
	s_wait_alu 0xf1ff
	v_add_co_ci_u32_e64 v12, null, s17, v12, s0
	s_and_b32 s0, vcc_lo, s5
	global_store_b128 v[11:12], v[7:10], off
	s_wait_alu 0xfffe
	s_and_saveexec_b32 s2, s0
	s_cbranch_execz .LBB77_52
; %bb.51:
	v_ashrrev_i32_e32 v2, 31, v1
	v_dual_mov_b32 v8, v35 :: v_dual_mov_b32 v9, v4
	s_delay_alu instid0(VALU_DEP_2) | instskip(NEXT) | instid1(VALU_DEP_1)
	v_lshlrev_b64_e32 v[6:7], 3, v[1:2]
	v_add_co_u32 v6, vcc_lo, s18, v6
	s_wait_alu 0xfffd
	s_delay_alu instid0(VALU_DEP_2)
	v_add_co_ci_u32_e64 v7, null, s19, v7, vcc_lo
	global_store_b64 v[6:7], v[8:9], off
.LBB77_52:
	s_wait_alu 0xfffe
	s_or_b32 exec_lo, exec_lo, s2
	v_mov_b32_e32 v2, 1.0
	s_and_not1_b32 vcc_lo, exec_lo, s3
	s_wait_alu 0xfffe
	s_cbranch_vccnz .LBB77_54
; %bb.53:
	v_div_scale_f32 v0, null, v3, v3, 1.0
	s_delay_alu instid0(VALU_DEP_1) | instskip(NEXT) | instid1(TRANS32_DEP_1)
	v_rcp_f32_e32 v2, v0
	v_fma_f32 v4, -v0, v2, 1.0
	s_delay_alu instid0(VALU_DEP_1) | instskip(SKIP_1) | instid1(VALU_DEP_1)
	v_fmac_f32_e32 v2, v4, v2
	v_div_scale_f32 v4, vcc_lo, 1.0, v3, 1.0
	v_mul_f32_e32 v6, v4, v2
	s_delay_alu instid0(VALU_DEP_1) | instskip(NEXT) | instid1(VALU_DEP_1)
	v_fma_f32 v7, -v0, v6, v4
	v_fmac_f32_e32 v6, v7, v2
	s_delay_alu instid0(VALU_DEP_1) | instskip(SKIP_1) | instid1(VALU_DEP_1)
	v_fma_f32 v0, -v0, v6, v4
	s_wait_alu 0xfffd
	v_div_fmas_f32 v0, v0, v2, v6
	s_delay_alu instid0(VALU_DEP_1)
	v_div_fixup_f32 v2, v0, v3, 1.0
.LBB77_54:
	v_add_nc_u32_e32 v0, s1, v1
	v_lshrrev_b32_e32 v1, 16, v64
	v_lshrrev_b32_e32 v6, 16, v63
	v_cvt_f32_f16_e32 v7, v64
	v_cvt_f32_f16_e32 v8, v63
	v_lshl_add_u32 v3, v0, 7, v38
	v_cvt_f32_f16_e32 v1, v1
	v_mov_b32_e32 v4, 0
	v_cvt_f32_f16_e32 v9, v6
	v_mul_f32_e32 v6, v2, v7
	v_mul_f32_e32 v8, v2, v8
	;; [unrolled: 1-line block ×3, first 2 shown]
	v_lshlrev_b64_e32 v[3:4], 2, v[3:4]
	v_mul_f32_e32 v9, v2, v9
	s_delay_alu instid0(VALU_DEP_2) | instskip(SKIP_1) | instid1(VALU_DEP_3)
	v_add_co_u32 v1, vcc_lo, s16, v3
	s_wait_alu 0xfffd
	v_add_co_ci_u32_e64 v2, null, s17, v4, vcc_lo
	global_store_b128 v[1:2], v[6:9], off
	s_and_b32 exec_lo, exec_lo, s0
	s_cbranch_execz .LBB77_46
; %bb.55:
	v_ashrrev_i32_e32 v1, 31, v0
	v_mov_b32_e32 v4, v36
	s_delay_alu instid0(VALU_DEP_2) | instskip(NEXT) | instid1(VALU_DEP_1)
	v_lshlrev_b64_e32 v[0:1], 3, v[0:1]
	v_add_co_u32 v0, vcc_lo, s18, v0
	s_wait_alu 0xfffd
	s_delay_alu instid0(VALU_DEP_2)
	v_add_co_ci_u32_e64 v1, null, s19, v1, vcc_lo
	global_store_b64 v[0:1], v[4:5], off
	s_nop 0
	s_sendmsg sendmsg(MSG_DEALLOC_VGPRS)
	s_endpgm
	.section	.rodata,"a",@progbits
	.p2align	6, 0x0
	.amdhsa_kernel _ZL15flash_attn_tileILi128ELi128ELi4ELi4ELb1EEvPKcS1_S1_S1_S1_PKiPfP15HIP_vector_typeIfLj2EEffffjfiS5_IjLj3EEiiiiiiiiiiiliiliiiiil
		.amdhsa_group_segment_fixed_size 43008
		.amdhsa_private_segment_fixed_size 0
		.amdhsa_kernarg_size 464
		.amdhsa_user_sgpr_count 2
		.amdhsa_user_sgpr_dispatch_ptr 0
		.amdhsa_user_sgpr_queue_ptr 0
		.amdhsa_user_sgpr_kernarg_segment_ptr 1
		.amdhsa_user_sgpr_dispatch_id 0
		.amdhsa_user_sgpr_private_segment_size 0
		.amdhsa_wavefront_size32 1
		.amdhsa_uses_dynamic_stack 0
		.amdhsa_enable_private_segment 0
		.amdhsa_system_sgpr_workgroup_id_x 1
		.amdhsa_system_sgpr_workgroup_id_y 1
		.amdhsa_system_sgpr_workgroup_id_z 1
		.amdhsa_system_sgpr_workgroup_info 0
		.amdhsa_system_vgpr_workitem_id 1
		.amdhsa_next_free_vgpr 217
		.amdhsa_next_free_sgpr 42
		.amdhsa_reserve_vcc 1
		.amdhsa_float_round_mode_32 0
		.amdhsa_float_round_mode_16_64 0
		.amdhsa_float_denorm_mode_32 3
		.amdhsa_float_denorm_mode_16_64 3
		.amdhsa_fp16_overflow 0
		.amdhsa_workgroup_processor_mode 1
		.amdhsa_memory_ordered 1
		.amdhsa_forward_progress 1
		.amdhsa_inst_pref_size 148
		.amdhsa_round_robin_scheduling 0
		.amdhsa_exception_fp_ieee_invalid_op 0
		.amdhsa_exception_fp_denorm_src 0
		.amdhsa_exception_fp_ieee_div_zero 0
		.amdhsa_exception_fp_ieee_overflow 0
		.amdhsa_exception_fp_ieee_underflow 0
		.amdhsa_exception_fp_ieee_inexact 0
		.amdhsa_exception_int_div_zero 0
	.end_amdhsa_kernel
	.section	.text._ZL15flash_attn_tileILi128ELi128ELi4ELi4ELb1EEvPKcS1_S1_S1_S1_PKiPfP15HIP_vector_typeIfLj2EEffffjfiS5_IjLj3EEiiiiiiiiiiiliiliiiiil,"axG",@progbits,_ZL15flash_attn_tileILi128ELi128ELi4ELi4ELb1EEvPKcS1_S1_S1_S1_PKiPfP15HIP_vector_typeIfLj2EEffffjfiS5_IjLj3EEiiiiiiiiiiiliiliiiiil,comdat
.Lfunc_end77:
	.size	_ZL15flash_attn_tileILi128ELi128ELi4ELi4ELb1EEvPKcS1_S1_S1_S1_PKiPfP15HIP_vector_typeIfLj2EEffffjfiS5_IjLj3EEiiiiiiiiiiiliiliiiiil, .Lfunc_end77-_ZL15flash_attn_tileILi128ELi128ELi4ELi4ELb1EEvPKcS1_S1_S1_S1_PKiPfP15HIP_vector_typeIfLj2EEffffjfiS5_IjLj3EEiiiiiiiiiiiliiliiiiil
                                        ; -- End function
	.set _ZL15flash_attn_tileILi128ELi128ELi4ELi4ELb1EEvPKcS1_S1_S1_S1_PKiPfP15HIP_vector_typeIfLj2EEffffjfiS5_IjLj3EEiiiiiiiiiiiliiliiiiil.num_vgpr, 163
	.set _ZL15flash_attn_tileILi128ELi128ELi4ELi4ELb1EEvPKcS1_S1_S1_S1_PKiPfP15HIP_vector_typeIfLj2EEffffjfiS5_IjLj3EEiiiiiiiiiiiliiliiiiil.num_agpr, 0
	.set _ZL15flash_attn_tileILi128ELi128ELi4ELi4ELb1EEvPKcS1_S1_S1_S1_PKiPfP15HIP_vector_typeIfLj2EEffffjfiS5_IjLj3EEiiiiiiiiiiiliiliiiiil.numbered_sgpr, 42
	.set _ZL15flash_attn_tileILi128ELi128ELi4ELi4ELb1EEvPKcS1_S1_S1_S1_PKiPfP15HIP_vector_typeIfLj2EEffffjfiS5_IjLj3EEiiiiiiiiiiiliiliiiiil.num_named_barrier, 0
	.set _ZL15flash_attn_tileILi128ELi128ELi4ELi4ELb1EEvPKcS1_S1_S1_S1_PKiPfP15HIP_vector_typeIfLj2EEffffjfiS5_IjLj3EEiiiiiiiiiiiliiliiiiil.private_seg_size, 0
	.set _ZL15flash_attn_tileILi128ELi128ELi4ELi4ELb1EEvPKcS1_S1_S1_S1_PKiPfP15HIP_vector_typeIfLj2EEffffjfiS5_IjLj3EEiiiiiiiiiiiliiliiiiil.uses_vcc, 1
	.set _ZL15flash_attn_tileILi128ELi128ELi4ELi4ELb1EEvPKcS1_S1_S1_S1_PKiPfP15HIP_vector_typeIfLj2EEffffjfiS5_IjLj3EEiiiiiiiiiiiliiliiiiil.uses_flat_scratch, 0
	.set _ZL15flash_attn_tileILi128ELi128ELi4ELi4ELb1EEvPKcS1_S1_S1_S1_PKiPfP15HIP_vector_typeIfLj2EEffffjfiS5_IjLj3EEiiiiiiiiiiiliiliiiiil.has_dyn_sized_stack, 0
	.set _ZL15flash_attn_tileILi128ELi128ELi4ELi4ELb1EEvPKcS1_S1_S1_S1_PKiPfP15HIP_vector_typeIfLj2EEffffjfiS5_IjLj3EEiiiiiiiiiiiliiliiiiil.has_recursion, 0
	.set _ZL15flash_attn_tileILi128ELi128ELi4ELi4ELb1EEvPKcS1_S1_S1_S1_PKiPfP15HIP_vector_typeIfLj2EEffffjfiS5_IjLj3EEiiiiiiiiiiiliiliiiiil.has_indirect_call, 0
	.section	.AMDGPU.csdata,"",@progbits
; Kernel info:
; codeLenInByte = 18840
; TotalNumSgprs: 44
; NumVgprs: 163
; ScratchSize: 0
; MemoryBound: 0
; FloatMode: 240
; IeeeMode: 1
; LDSByteSize: 43008 bytes/workgroup (compile time only)
; SGPRBlocks: 0
; VGPRBlocks: 27
; NumSGPRsForWavesPerEU: 44
; NumVGPRsForWavesPerEU: 217
; Occupancy: 6
; WaveLimiterHint : 1
; COMPUTE_PGM_RSRC2:SCRATCH_EN: 0
; COMPUTE_PGM_RSRC2:USER_SGPR: 2
; COMPUTE_PGM_RSRC2:TRAP_HANDLER: 0
; COMPUTE_PGM_RSRC2:TGID_X_EN: 1
; COMPUTE_PGM_RSRC2:TGID_Y_EN: 1
; COMPUTE_PGM_RSRC2:TGID_Z_EN: 1
; COMPUTE_PGM_RSRC2:TIDIG_COMP_CNT: 1
	.section	.text._ZL15flash_attn_tileILi128ELi128ELi2ELi4ELb1EEvPKcS1_S1_S1_S1_PKiPfP15HIP_vector_typeIfLj2EEffffjfiS5_IjLj3EEiiiiiiiiiiiliiliiiiil,"axG",@progbits,_ZL15flash_attn_tileILi128ELi128ELi2ELi4ELb1EEvPKcS1_S1_S1_S1_PKiPfP15HIP_vector_typeIfLj2EEffffjfiS5_IjLj3EEiiiiiiiiiiiliiliiiiil,comdat
	.globl	_ZL15flash_attn_tileILi128ELi128ELi2ELi4ELb1EEvPKcS1_S1_S1_S1_PKiPfP15HIP_vector_typeIfLj2EEffffjfiS5_IjLj3EEiiiiiiiiiiiliiliiiiil ; -- Begin function _ZL15flash_attn_tileILi128ELi128ELi2ELi4ELb1EEvPKcS1_S1_S1_S1_PKiPfP15HIP_vector_typeIfLj2EEffffjfiS5_IjLj3EEiiiiiiiiiiiliiliiiiil
	.p2align	8
	.type	_ZL15flash_attn_tileILi128ELi128ELi2ELi4ELb1EEvPKcS1_S1_S1_S1_PKiPfP15HIP_vector_typeIfLj2EEffffjfiS5_IjLj3EEiiiiiiiiiiiliiliiiiil,@function
_ZL15flash_attn_tileILi128ELi128ELi2ELi4ELb1EEvPKcS1_S1_S1_S1_PKiPfP15HIP_vector_typeIfLj2EEffffjfiS5_IjLj3EEiiiiiiiiiiiliiliiiiil: ; @_ZL15flash_attn_tileILi128ELi128ELi2ELi4ELb1EEvPKcS1_S1_S1_S1_PKiPfP15HIP_vector_typeIfLj2EEffffjfiS5_IjLj3EEiiiiiiiiiiiliiliiiiil
; %bb.0:
	s_clause 0x1
	s_load_b128 s[20:23], s[0:1], 0x5c
	s_load_b64 s[28:29], s[0:1], 0x80
	s_lshr_b32 s5, ttmp7, 16
	s_load_b64 s[36:37], s[0:1], 0xb8
	s_mov_b32 s35, 0
	s_mov_b64 s[30:31], 0
	s_wait_kmcnt 0x0
	s_ashr_i32 s2, s23, 31
	s_delay_alu instid0(SALU_CYCLE_1) | instskip(NEXT) | instid1(SALU_CYCLE_1)
	s_lshr_b32 s2, s2, 30
	s_add_co_i32 s2, s23, s2
	s_delay_alu instid0(SALU_CYCLE_1) | instskip(NEXT) | instid1(SALU_CYCLE_1)
	s_ashr_i32 s2, s2, 2
	s_cvt_f32_u32 s3, s2
	s_sub_co_i32 s4, 0, s2
	s_delay_alu instid0(SALU_CYCLE_2) | instskip(NEXT) | instid1(TRANS32_DEP_1)
	v_rcp_iflag_f32_e32 v1, s3
	v_readfirstlane_b32 s3, v1
	s_mul_f32 s3, s3, 0x4f7ffffe
	s_wait_alu 0xfffe
	s_delay_alu instid0(SALU_CYCLE_2) | instskip(SKIP_1) | instid1(SALU_CYCLE_2)
	s_cvt_u32_f32 s3, s3
	s_wait_alu 0xfffe
	s_mul_i32 s4, s4, s3
	s_delay_alu instid0(SALU_CYCLE_1) | instskip(NEXT) | instid1(SALU_CYCLE_1)
	s_mul_hi_u32 s4, s3, s4
	s_add_co_i32 s3, s3, s4
	s_wait_alu 0xfffe
	s_mul_hi_u32 s3, s5, s3
	s_wait_alu 0xfffe
	s_mul_i32 s4, s3, s2
	s_add_co_i32 s6, s3, 1
	s_sub_co_i32 s4, s5, s4
	s_delay_alu instid0(SALU_CYCLE_1)
	s_sub_co_i32 s7, s4, s2
	s_cmp_ge_u32 s4, s2
	s_cselect_b32 s3, s6, s3
	s_cselect_b32 s4, s7, s4
	s_wait_alu 0xfffe
	s_add_co_i32 s6, s3, 1
	s_cmp_ge_u32 s4, s2
	s_cselect_b32 s2, s6, s3
	s_abs_i32 s3, s29
	s_abs_i32 s8, s23
	s_wait_alu 0xfffe
	s_cvt_f32_u32 s4, s3
	s_sub_co_i32 s6, 0, s3
	s_lshl_b32 s5, s5, 2
	s_mul_i32 s7, s2, s23
	v_rcp_iflag_f32_e32 v1, s4
	s_sub_co_i32 s33, s5, s7
	s_xor_b32 s5, s23, s29
	s_wait_alu 0xfffe
	s_ashr_i32 s24, s5, 31
	s_delay_alu instid0(TRANS32_DEP_1) | instskip(SKIP_2) | instid1(SALU_CYCLE_2)
	v_readfirstlane_b32 s4, v1
	s_mul_f32 s4, s4, 0x4f7ffffe
	s_wait_alu 0xfffe
	s_cvt_u32_f32 s4, s4
	s_wait_alu 0xfffe
	s_delay_alu instid0(SALU_CYCLE_2) | instskip(NEXT) | instid1(SALU_CYCLE_1)
	s_mul_i32 s6, s6, s4
	s_mul_hi_u32 s6, s4, s6
	s_delay_alu instid0(SALU_CYCLE_1) | instskip(SKIP_4) | instid1(SALU_CYCLE_1)
	s_add_co_i32 s4, s4, s6
	s_wait_alu 0xfffe
	s_mul_hi_u32 s4, s8, s4
	s_wait_alu 0xfffe
	s_mul_i32 s6, s4, s3
	s_sub_co_i32 s5, s8, s6
	s_add_co_i32 s6, s4, 1
	s_wait_alu 0xfffe
	s_sub_co_i32 s7, s5, s3
	s_cmp_ge_u32 s5, s3
	s_cselect_b32 s4, s6, s4
	s_cselect_b32 s5, s7, s5
	s_wait_alu 0xfffe
	s_add_co_i32 s6, s4, 1
	s_cmp_ge_u32 s5, s3
	s_cselect_b32 s3, s6, s4
	s_load_b512 s[4:19], s[0:1], 0x0
	s_xor_b32 s3, s3, s24
	s_wait_alu 0xfffe
	s_sub_co_i32 s38, s3, s24
	s_delay_alu instid0(SALU_CYCLE_1) | instskip(NEXT) | instid1(SALU_CYCLE_1)
	s_abs_i32 s29, s38
	s_cvt_f32_u32 s3, s29
	s_wait_alu 0xfffe
	s_delay_alu instid0(SALU_CYCLE_2) | instskip(SKIP_2) | instid1(TRANS32_DEP_1)
	v_rcp_iflag_f32_e32 v1, s3
	s_wait_kmcnt 0x0
	s_cmp_eq_u64 s[10:11], 0
	v_readfirstlane_b32 s27, v1
	s_cbranch_scc1 .LBB78_2
; %bb.1:
	s_abs_i32 s3, s36
	s_wait_alu 0xfffe
	s_cvt_f32_u32 s24, s3
	s_delay_alu instid0(SALU_CYCLE_3) | instskip(NEXT) | instid1(TRANS32_DEP_1)
	v_rcp_iflag_f32_e32 v1, s24
	v_readfirstlane_b32 s24, v1
	s_mul_f32 s24, s24, 0x4f7ffffe
	s_wait_alu 0xfffe
	s_delay_alu instid0(SALU_CYCLE_2) | instskip(SKIP_2) | instid1(SALU_CYCLE_1)
	s_cvt_u32_f32 s26, s24
	s_sub_co_i32 s24, 0, s3
	s_wait_alu 0xfffe
	s_mul_i32 s24, s24, s26
	s_wait_alu 0xfffe
	s_mul_hi_u32 s30, s26, s24
	s_load_b64 s[24:25], s[0:1], 0xc8
	s_add_co_i32 s26, s26, s30
	s_delay_alu instid0(SALU_CYCLE_1) | instskip(NEXT) | instid1(SALU_CYCLE_1)
	s_mul_hi_u32 s26, s2, s26
	s_mul_i32 s26, s26, s3
	s_delay_alu instid0(SALU_CYCLE_1) | instskip(NEXT) | instid1(SALU_CYCLE_1)
	s_sub_co_i32 s26, s2, s26
	s_sub_co_i32 s30, s26, s3
	s_cmp_ge_u32 s26, s3
	s_cselect_b32 s26, s30, s26
	s_delay_alu instid0(SALU_CYCLE_1) | instskip(SKIP_2) | instid1(SALU_CYCLE_1)
	s_sub_co_i32 s30, s26, s3
	s_cmp_ge_u32 s26, s3
	s_cselect_b32 s30, s30, s26
	s_ashr_i32 s31, s30, 31
	s_wait_kmcnt 0x0
	s_mul_u64 s[24:25], s[24:25], s[30:31]
	s_wait_alu 0xfffe
	s_add_nc_u64 s[30:31], s[10:11], s[24:25]
.LBB78_2:
	v_lshrrev_b32_e32 v1, 10, v0
	s_load_b96 s[24:26], s[0:1], 0x70
	v_and_b32_e32 v69, 0x3ff, v0
	s_delay_alu instid0(VALU_DEP_2) | instskip(NEXT) | instid1(VALU_DEP_2)
	v_bfe_u32 v1, v1, 1, 9
	v_lshlrev_b32_e32 v91, 3, v69
	s_delay_alu instid0(VALU_DEP_2) | instskip(NEXT) | instid1(VALU_DEP_2)
	v_lshl_add_u32 v68, ttmp9, 1, v1
	v_add_nc_u32_e32 v13, 0x2400, v91
	s_delay_alu instid0(VALU_DEP_2) | instskip(SKIP_3) | instid1(VALU_DEP_1)
	v_mul_hi_u32 v1, s20, v68
	s_wait_kmcnt 0x0
	s_mul_i32 s10, s33, s25
	s_mov_b32 s20, s25
	v_add_nc_u32_e32 v1, v68, v1
	s_delay_alu instid0(VALU_DEP_1)
	v_lshrrev_b32_e32 v2, s21, v1
	v_bfe_u32 v1, v0, 10, 10
	s_ashr_i32 s21, s25, 31
	s_ashr_i32 s25, s24, 31
	s_wait_alu 0xfffe
	s_lshr_b32 s3, s21, 2
	v_mul_lo_u32 v2, v2, s22
	v_lshlrev_b32_e32 v3, 1, v1
	s_lshr_b64 s[40:41], s[24:25], 2
	s_lshr_b32 s11, s25, 2
	s_delay_alu instid0(VALU_DEP_1) | instskip(SKIP_1) | instid1(VALU_DEP_4)
	v_or_b32_e32 v12, 1, v3
	v_and_b32_e32 v89, 2, v3
	v_sub_nc_u32_e32 v2, v68, v2
	s_delay_alu instid0(VALU_DEP_3) | instskip(SKIP_1) | instid1(VALU_DEP_3)
	v_and_b32_e32 v10, 3, v12
	s_wait_alu 0xfffe
	v_mul_lo_u32 v11, s3, v89
	s_delay_alu instid0(VALU_DEP_3)
	v_mad_co_u64_u32 v[4:5], null, s40, v2, 0
	s_lshr_b64 s[40:41], s[20:21], 2
	s_mul_i32 s20, s2, s26
	s_wait_alu 0xfffe
	v_mad_co_u64_u32 v[8:9], null, s40, v89, 0
	s_ashr_i32 s21, s20, 31
	s_wait_alu 0xfffe
	s_add_nc_u64 s[4:5], s[4:5], s[20:21]
	v_mad_co_u64_u32 v[5:6], null, s11, v2, v[5:6]
	v_mad_co_u64_u32 v[6:7], null, s40, v10, 0
	v_or_b32_e32 v9, v9, v11
	s_ashr_i32 s11, s10, 31
	s_cmp_eq_u64 s[14:15], 0
	s_wait_alu 0xfffe
	s_add_nc_u64 s[4:5], s[4:5], s[10:11]
	s_delay_alu instid0(VALU_DEP_3) | instskip(SKIP_3) | instid1(VALU_DEP_3)
	v_lshlrev_b64_e32 v[4:5], 2, v[4:5]
	v_lshlrev_b64_e32 v[8:9], 2, v[8:9]
	v_mov_b32_e32 v0, v7
	s_wait_alu 0xfffe
	v_add_co_u32 v4, vcc_lo, s4, v4
	s_delay_alu instid0(VALU_DEP_2)
	v_mad_co_u64_u32 v[10:11], null, s3, v10, v[0:1]
	v_lshlrev_b32_e32 v0, 4, v69
	v_add_co_ci_u32_e64 v5, null, s5, v5, vcc_lo
	s_load_b32 s3, s[0:1], 0x40
	v_mov_b32_e32 v7, v10
	v_add_co_u32 v0, vcc_lo, v4, v0
	s_wait_alu 0xfffd
	v_add_co_ci_u32_e64 v10, null, 0, v5, vcc_lo
	s_delay_alu instid0(VALU_DEP_3) | instskip(NEXT) | instid1(VALU_DEP_3)
	v_lshlrev_b64_e32 v[4:5], 2, v[6:7]
	v_add_co_u32 v6, vcc_lo, v0, v8
	s_wait_alu 0xfffd
	s_delay_alu instid0(VALU_DEP_3) | instskip(NEXT) | instid1(VALU_DEP_3)
	v_add_co_ci_u32_e64 v7, null, v10, v9, vcc_lo
	v_add_co_u32 v8, vcc_lo, v0, v4
	s_wait_alu 0xfffd
	v_add_co_ci_u32_e64 v9, null, v10, v5, vcc_lo
	s_clause 0x1
	global_load_b128 v[4:7], v[6:7], off
	global_load_b128 v[8:11], v[8:9], off
	v_lshlrev_b32_e32 v0, 9, v1
	s_delay_alu instid0(VALU_DEP_1)
	v_add_nc_u32_e32 v14, v13, v0
	s_wait_loadcnt 0x1
	s_wait_kmcnt 0x0
	v_fma_mixlo_f16 v4, s3, v4, 0
	v_fma_mixlo_f16 v5, s3, v5, 0
	s_wait_loadcnt 0x0
	v_fma_mixlo_f16 v8, s3, v8, 0
	v_fma_mixlo_f16 v9, s3, v9, 0
	;; [unrolled: 1-line block ×4, first 2 shown]
	v_lshlrev_b32_e32 v5, 16, v5
	v_and_b32_e32 v4, 0xffff, v4
	v_fma_mixlo_f16 v10, s3, v10, 0
	v_fma_mixlo_f16 v11, s3, v11, 0
	v_lshlrev_b32_e32 v9, 16, v9
	v_and_b32_e32 v8, 0xffff, v8
	v_lshlrev_b32_e32 v7, 16, v7
	v_and_b32_e32 v6, 0xffff, v6
	v_or_b32_e32 v4, v5, v4
	v_lshlrev_b32_e32 v11, 16, v11
	v_and_b32_e32 v10, 0xffff, v10
	v_or_b32_e32 v8, v9, v8
	v_or3_b32 v5, v7, v6, 0
	v_or3_b32 v4, 0, 0, v4
	v_lshl_add_u32 v9, v12, 8, v13
	v_or3_b32 v7, v11, v10, 0
	v_or3_b32 v6, 0, 0, v8
	ds_store_b64 v14, v[4:5]
	ds_store_b64 v9, v[6:7]
	s_wait_dscnt 0x0
	s_barrier_signal -1
	s_barrier_wait -1
	global_inv scope:SCOPE_SE
	s_cbranch_scc1 .LBB78_4
; %bb.3:
	s_load_b32 s3, s[0:1], 0xd0
	s_mov_b32 s5, 0
	s_wait_kmcnt 0x0
	s_mul_i32 s3, s3, s2
	s_wait_alu 0xfffe
	s_add_co_i32 s4, s3, ttmp9
	s_wait_alu 0xfffe
	s_lshl_b64 s[4:5], s[4:5], 2
	s_wait_alu 0xfffe
	s_add_nc_u64 s[4:5], s[14:15], s[4:5]
	s_load_b32 s28, s[4:5], 0x0
.LBB78_4:
	s_and_b32 s4, ttmp7, 0xffff
	v_mbcnt_lo_u32_b32 v92, -1, 0
	s_wait_alu 0xfffe
	s_lshl_b32 s10, s4, 6
	s_wait_kmcnt 0x0
	s_wait_alu 0xfffe
	s_cmp_lt_i32 s10, s28
	s_cbranch_scc1 .LBB78_7
; %bb.5:
	v_mbcnt_lo_u32_b32 v4, -1, 0
	v_mov_b32_e32 v93, 32
	s_delay_alu instid0(VALU_DEP_2)
	v_xor_b32_e32 v111, 16, v4
	v_xor_b32_e32 v107, 8, v4
	;; [unrolled: 1-line block ×5, first 2 shown]
	v_lshlrev_b32_e32 v90, 2, v69
	s_mov_b32 s3, 0
	s_cbranch_execz .LBB78_8
; %bb.6:
	v_dual_mov_b32 v49, 0 :: v_dual_mov_b32 v88, 0xfeffffff
	v_dual_mov_b32 v113, 0 :: v_dual_mov_b32 v112, 0
	;; [unrolled: 1-line block ×4, first 2 shown]
	s_branch .LBB78_28
.LBB78_7:
                                        ; implicit-def: $vgpr4
                                        ; implicit-def: $vgpr93
                                        ; implicit-def: $vgpr111
                                        ; implicit-def: $vgpr107
                                        ; implicit-def: $vgpr108
                                        ; implicit-def: $vgpr109
                                        ; implicit-def: $vgpr110
	v_lshlrev_b32_e32 v90, 2, v69
	s_mov_b32 s3, 0
.LBB78_8:
	s_mul_f32 s5, s27, 0x4f7ffffe
	s_clause 0x1
	s_load_b128 s[24:27], s[0:1], 0x98
	s_load_b64 s[20:21], s[0:1], 0x8c
	s_sub_co_i32 s14, 0, s29
	s_abs_i32 s34, s33
	s_cvt_u32_f32 s11, s5
	s_load_b32 s5, s[0:1], 0x54
	s_mov_b32 s15, s35
	s_ashr_i32 s36, s33, 31
	s_mul_i32 s14, s14, s11
	v_lshrrev_b32_e32 v4, 3, v69
	s_mul_hi_u32 s14, s11, s14
	s_ashr_i32 s37, s37, 1
	s_add_co_i32 s14, s11, s14
	s_ashr_i32 s11, s38, 31
	s_load_b64 s[38:39], s[0:1], 0xa8
	s_mul_u64 s[14:15], s[34:35], s[14:15]
	s_xor_b32 s11, s36, s11
	s_mul_i32 s35, s15, s29
	s_add_co_i32 s36, s15, 1
	v_lshl_add_u32 v5, v1, 2, v4
	s_wait_kmcnt 0x0
	s_ashr_i32 s14, s26, 2
	s_sub_co_i32 s26, s34, s35
	s_ashr_i32 s20, s20, 2
	s_sub_co_i32 s34, s26, s29
	s_cmp_ge_u32 s26, s29
	v_dual_mov_b32 v16, 0 :: v_dual_and_b32 v17, 28, v90
	s_cselect_b32 s15, s36, s15
	s_cselect_b32 s26, s34, s26
	s_add_co_i32 s34, s15, 1
	s_cmp_ge_u32 s26, s29
	s_wait_alu 0xfffe
	v_mul_lo_u32 v4, s20, v5
	s_cselect_b32 s15, s34, s15
	v_lshrrev_b32_e32 v7, 4, v69
	s_xor_b32 s15, s15, s11
	v_dual_mov_b32 v93, 32 :: v_dual_lshlrev_b32 v6, 2, v17
	s_mul_u64 s[24:25], s[24:25], s[2:3]
	s_mul_u64 s[34:35], s[38:39], s[2:3]
	s_sub_co_i32 s3, s15, s11
	s_wait_alu 0xfffe
	s_add_nc_u64 s[6:7], s[6:7], s[24:25]
	s_mul_i32 s24, s3, s21
	s_mul_i32 s26, s3, s27
	s_lshl_b32 s3, s20, 4
	v_dual_mov_b32 v20, 0xfeffffff :: v_dual_add_nc_u32 v3, v7, v3
	v_mad_u32_u24 v94, 0x90, v5, v6
	s_wait_alu 0xfffe
	v_add_nc_u32_e32 v6, s3, v4
	v_lshlrev_b32_e32 v105, 2, v17
	v_mul_lo_u32 v10, s14, v3
	v_mov_b32_e32 v17, 0
	s_delay_alu instid0(VALU_DEP_4) | instskip(SKIP_3) | instid1(VALU_DEP_4)
	v_dual_mov_b32 v49, 0 :: v_dual_add_nc_u32 v8, s3, v6
	v_dual_mov_b32 v19, 0xfeffffff :: v_dual_and_b32 v18, 60, v90
	v_add_nc_u32_e32 v98, 0x2400, v0
	v_mad_co_u64_u32 v[70:71], null, v2, s37, v[69:70]
	v_add_nc_u32_e32 v12, s3, v8
	s_lshl_b32 s3, s14, 3
	v_dual_mov_b32 v50, 0 :: v_dual_lshlrev_b32 v11, 2, v18
	s_wait_alu 0xfffe
	v_add_nc_u32_e32 v14, s3, v10
	v_ashrrev_i32_e32 v5, 31, v4
	v_ashrrev_i32_e32 v7, 31, v6
	;; [unrolled: 1-line block ×4, first 2 shown]
	v_add_nc_u32_e32 v0, s3, v14
	v_lshl_or_b32 v100, v3, 8, v11
	v_lshl_add_u32 v101, v1, 8, 0x2c00
	v_ashrrev_i32_e32 v11, 31, v10
	v_ashrrev_i32_e32 v15, 31, v14
	v_add_nc_u32_e32 v2, s3, v0
	v_ashrrev_i32_e32 v1, 31, v0
	v_lshlrev_b64_e32 v[71:72], 2, v[4:5]
	v_lshlrev_b64_e32 v[73:74], 2, v[6:7]
	;; [unrolled: 1-line block ×3, first 2 shown]
	v_ashrrev_i32_e32 v3, 31, v2
	v_lshlrev_b64_e32 v[77:78], 2, v[12:13]
	v_lshlrev_b64_e32 v[79:80], 2, v[10:11]
	;; [unrolled: 1-line block ×5, first 2 shown]
	v_dual_mov_b32 v48, 0 :: v_dual_add_nc_u32 v95, 0x900, v94
	v_add_nc_u32_e32 v96, 0x1200, v94
	v_add_nc_u32_e32 v97, 0x1b00, v94
	v_mul_u32_u24_e32 v99, 0x90, v69
	v_add_nc_u32_e32 v102, 0x800, v100
	v_add_nc_u32_e32 v103, 0x1000, v100
	;; [unrolled: 1-line block ×3, first 2 shown]
	v_lshlrev_b32_e32 v106, 2, v18
	v_mov_b32_e32 v18, 0
	s_add_nc_u64 s[8:9], s[8:9], s[34:35]
	s_ashr_i32 s25, s24, 31
	s_ashr_i32 s27, s26, 31
	s_wait_alu 0xfffe
	s_add_nc_u64 s[6:7], s[6:7], s[24:25]
	s_add_nc_u64 s[8:9], s[8:9], s[26:27]
	s_ashr_i32 s21, s20, 31
	s_ashr_i32 s15, s14, 31
	s_add_nc_u64 s[24:25], s[0:1], 0xd0
	s_mov_b32 s3, 0xbbbac73d
.LBB78_9:                               ; =>This Inner Loop Header: Depth=1
	s_ashr_i32 s11, s10, 31
	s_wait_alu 0xfffe
	s_mul_u64 s[26:27], s[10:11], s[20:21]
	s_wait_alu 0xfffe
	s_lshl_b64 s[26:27], s[26:27], 2
	s_wait_alu 0xfffe
	s_add_nc_u64 s[26:27], s[6:7], s[26:27]
	s_wait_alu 0xfffe
	v_add_co_u32 v0, vcc_lo, s26, v71
	s_wait_alu 0xfffd
	v_add_co_ci_u32_e64 v1, null, s27, v72, vcc_lo
	v_add_co_u32 v2, vcc_lo, s26, v73
	s_wait_alu 0xfffd
	v_add_co_ci_u32_e64 v3, null, s27, v74, vcc_lo
	v_add_co_u32 v0, vcc_lo, v0, v105
	s_wait_alu 0xfffd
	v_add_co_ci_u32_e64 v1, null, 0, v1, vcc_lo
	v_add_co_u32 v2, vcc_lo, v2, v105
	s_wait_alu 0xfffd
	v_add_co_ci_u32_e64 v3, null, 0, v3, vcc_lo
	v_add_co_u32 v4, vcc_lo, s26, v75
	s_wait_alu 0xfffd
	v_add_co_ci_u32_e64 v5, null, s27, v76, vcc_lo
	v_add_co_u32 v6, vcc_lo, s26, v77
	s_wait_alu 0xfffd
	v_add_co_ci_u32_e64 v7, null, s27, v78, vcc_lo
	v_add_co_u32 v4, vcc_lo, v4, v105
	s_wait_alu 0xfffd
	v_add_co_ci_u32_e64 v5, null, 0, v5, vcc_lo
	v_add_co_u32 v6, vcc_lo, v6, v105
	s_wait_alu 0xfffd
	v_add_co_ci_u32_e64 v7, null, 0, v7, vcc_lo
	s_clause 0x3
	global_load_b128 v[8:11], v[0:1], off
	global_load_b128 v[12:15], v[2:3], off
	;; [unrolled: 1-line block ×4, first 2 shown]
	s_wait_loadcnt 0x3
	ds_store_b128 v94, v[8:11]
	s_wait_loadcnt 0x2
	ds_store_b128 v95, v[12:15]
	;; [unrolled: 2-line block ×4, first 2 shown]
	s_wait_dscnt 0x0
	s_barrier_signal -1
	s_barrier_wait -1
	global_inv scope:SCOPE_SE
	ds_load_b128 v[10:13], v99
	ds_load_b128 v[23:26], v98
	ds_load_b128 v[27:30], v98 offset:256
	ds_load_b128 v[31:34], v99 offset:4608
	v_dual_mov_b32 v8, 0 :: v_dual_mov_b32 v21, 0
	s_wait_dscnt 0x2
	;;#ASMSTART
	v_dot2_f32_f16 v8, v10, v23, v8
	;;#ASMEND
	;;#ASMSTART
	v_dot2_f32_f16 v8, v11, v24, v8
	;;#ASMEND
	;;#ASMSTART
	v_dot2_f32_f16 v8, v12, v25, v8
	;;#ASMEND
	;;#ASMSTART
	v_dot2_f32_f16 v8, v13, v26, v8
	;;#ASMEND
	s_wait_dscnt 0x1
	;;#ASMSTART
	v_dot2_f32_f16 v21, v10, v27, v21
	;;#ASMEND
	;;#ASMSTART
	v_dot2_f32_f16 v21, v11, v28, v21
	;;#ASMEND
	v_dual_mov_b32 v9, 0 :: v_dual_mov_b32 v22, 0
	;;#ASMSTART
	v_dot2_f32_f16 v21, v12, v29, v21
	;;#ASMEND
	;;#ASMSTART
	v_dot2_f32_f16 v21, v13, v30, v21
	;;#ASMEND
	s_wait_dscnt 0x0
	;;#ASMSTART
	v_dot2_f32_f16 v9, v31, v23, v9
	;;#ASMEND
	;;#ASMSTART
	v_dot2_f32_f16 v9, v32, v24, v9
	;;#ASMEND
	;;#ASMSTART
	v_dot2_f32_f16 v9, v33, v25, v9
	;;#ASMEND
	;;#ASMSTART
	v_dot2_f32_f16 v9, v34, v26, v9
	;;#ASMEND
	;;#ASMSTART
	v_dot2_f32_f16 v22, v31, v27, v22
	;;#ASMEND
	;;#ASMSTART
	v_dot2_f32_f16 v22, v32, v28, v22
	;;#ASMEND
	;;#ASMSTART
	v_dot2_f32_f16 v22, v33, v29, v22
	;;#ASMEND
	;;#ASMSTART
	v_dot2_f32_f16 v22, v34, v30, v22
	;;#ASMEND
	ds_load_b128 v[10:13], v99 offset:16
	ds_load_b128 v[23:26], v98 offset:16
	ds_load_b128 v[27:30], v98 offset:272
	ds_load_b128 v[31:34], v99 offset:4624
	s_wait_dscnt 0x2
	;;#ASMSTART
	v_dot2_f32_f16 v8, v10, v23, v8
	;;#ASMEND
	;;#ASMSTART
	v_dot2_f32_f16 v8, v11, v24, v8
	;;#ASMEND
	;;#ASMSTART
	v_dot2_f32_f16 v8, v12, v25, v8
	;;#ASMEND
	;;#ASMSTART
	v_dot2_f32_f16 v8, v13, v26, v8
	;;#ASMEND
	s_wait_dscnt 0x1
	;;#ASMSTART
	v_dot2_f32_f16 v21, v10, v27, v21
	;;#ASMEND
	;;#ASMSTART
	v_dot2_f32_f16 v21, v11, v28, v21
	;;#ASMEND
	;;#ASMSTART
	v_dot2_f32_f16 v21, v12, v29, v21
	;;#ASMEND
	;;#ASMSTART
	v_dot2_f32_f16 v21, v13, v30, v21
	;;#ASMEND
	s_wait_dscnt 0x0
	;;#ASMSTART
	v_dot2_f32_f16 v9, v31, v23, v9
	;;#ASMEND
	;;#ASMSTART
	v_dot2_f32_f16 v9, v32, v24, v9
	;;#ASMEND
	;;#ASMSTART
	v_dot2_f32_f16 v9, v33, v25, v9
	;;#ASMEND
	;;#ASMSTART
	v_dot2_f32_f16 v9, v34, v26, v9
	;;#ASMEND
	;;#ASMSTART
	v_dot2_f32_f16 v22, v31, v27, v22
	;;#ASMEND
	;;#ASMSTART
	v_dot2_f32_f16 v22, v32, v28, v22
	;;#ASMEND
	;;#ASMSTART
	v_dot2_f32_f16 v22, v33, v29, v22
	;;#ASMEND
	;;#ASMSTART
	v_dot2_f32_f16 v22, v34, v30, v22
	;;#ASMEND
	ds_load_b128 v[10:13], v99 offset:32
	ds_load_b128 v[23:26], v98 offset:32
	ds_load_b128 v[27:30], v98 offset:288
	ds_load_b128 v[31:34], v99 offset:4640
	s_wait_dscnt 0x2
	;;#ASMSTART
	v_dot2_f32_f16 v8, v10, v23, v8
	;;#ASMEND
	;;#ASMSTART
	v_dot2_f32_f16 v8, v11, v24, v8
	;;#ASMEND
	;;#ASMSTART
	v_dot2_f32_f16 v8, v12, v25, v8
	;;#ASMEND
	;;#ASMSTART
	v_dot2_f32_f16 v8, v13, v26, v8
	;;#ASMEND
	s_wait_dscnt 0x1
	;;#ASMSTART
	v_dot2_f32_f16 v21, v10, v27, v21
	;;#ASMEND
	;;#ASMSTART
	v_dot2_f32_f16 v21, v11, v28, v21
	;;#ASMEND
	;; [unrolled: 55-line block ×7, first 2 shown]
	;;#ASMSTART
	v_dot2_f32_f16 v21, v12, v29, v21
	;;#ASMEND
	;;#ASMSTART
	v_dot2_f32_f16 v21, v13, v30, v21
	;;#ASMEND
	s_wait_dscnt 0x0
	;;#ASMSTART
	v_dot2_f32_f16 v9, v31, v23, v9
	;;#ASMEND
	;;#ASMSTART
	v_dot2_f32_f16 v9, v32, v24, v9
	;;#ASMEND
	;; [unrolled: 3-line block ×8, first 2 shown]
	s_wait_loadcnt 0x0
	s_barrier_signal -1
	s_barrier_wait -1
	global_inv scope:SCOPE_SE
	s_clause 0x3
	global_load_b128 v[10:13], v[0:1], off offset:128
	global_load_b128 v[0:3], v[2:3], off offset:128
	;; [unrolled: 1-line block ×4, first 2 shown]
	s_wait_loadcnt 0x3
	ds_store_b128 v94, v[10:13]
	s_wait_loadcnt 0x2
	ds_store_b128 v95, v[0:3]
	;; [unrolled: 2-line block ×4, first 2 shown]
	s_wait_dscnt 0x0
	s_barrier_signal -1
	s_barrier_wait -1
	global_inv scope:SCOPE_SE
	ds_load_b128 v[0:3], v99
	ds_load_b128 v[4:7], v98 offset:128
	ds_load_b128 v[10:13], v98 offset:384
	ds_load_b128 v[23:26], v99 offset:4608
	s_wait_dscnt 0x2
	;;#ASMSTART
	v_dot2_f32_f16 v8, v0, v4, v8
	;;#ASMEND
	;;#ASMSTART
	v_dot2_f32_f16 v8, v1, v5, v8
	;;#ASMEND
	;;#ASMSTART
	v_dot2_f32_f16 v8, v2, v6, v8
	;;#ASMEND
	;;#ASMSTART
	v_dot2_f32_f16 v8, v3, v7, v8
	;;#ASMEND
	s_wait_dscnt 0x1
	;;#ASMSTART
	v_dot2_f32_f16 v21, v0, v10, v21
	;;#ASMEND
	;;#ASMSTART
	v_dot2_f32_f16 v21, v1, v11, v21
	;;#ASMEND
	;;#ASMSTART
	v_dot2_f32_f16 v21, v2, v12, v21
	;;#ASMEND
	;;#ASMSTART
	v_dot2_f32_f16 v21, v3, v13, v21
	;;#ASMEND
	s_wait_dscnt 0x0
	;;#ASMSTART
	v_dot2_f32_f16 v9, v23, v4, v9
	;;#ASMEND
	;;#ASMSTART
	v_dot2_f32_f16 v9, v24, v5, v9
	;;#ASMEND
	;;#ASMSTART
	v_dot2_f32_f16 v9, v25, v6, v9
	;;#ASMEND
	;;#ASMSTART
	v_dot2_f32_f16 v9, v26, v7, v9
	;;#ASMEND
	;;#ASMSTART
	v_dot2_f32_f16 v22, v23, v10, v22
	;;#ASMEND
	;;#ASMSTART
	v_dot2_f32_f16 v22, v24, v11, v22
	;;#ASMEND
	;;#ASMSTART
	v_dot2_f32_f16 v22, v25, v12, v22
	;;#ASMEND
	;;#ASMSTART
	v_dot2_f32_f16 v22, v26, v13, v22
	;;#ASMEND
	ds_load_b128 v[0:3], v99 offset:16
	ds_load_b128 v[4:7], v98 offset:144
	ds_load_b128 v[10:13], v98 offset:400
	ds_load_b128 v[23:26], v99 offset:4624
	s_wait_dscnt 0x2
	;;#ASMSTART
	v_dot2_f32_f16 v8, v0, v4, v8
	;;#ASMEND
	;;#ASMSTART
	v_dot2_f32_f16 v8, v1, v5, v8
	;;#ASMEND
	;;#ASMSTART
	v_dot2_f32_f16 v8, v2, v6, v8
	;;#ASMEND
	;;#ASMSTART
	v_dot2_f32_f16 v8, v3, v7, v8
	;;#ASMEND
	s_wait_dscnt 0x1
	;;#ASMSTART
	v_dot2_f32_f16 v21, v0, v10, v21
	;;#ASMEND
	;;#ASMSTART
	v_dot2_f32_f16 v21, v1, v11, v21
	;;#ASMEND
	;;#ASMSTART
	v_dot2_f32_f16 v21, v2, v12, v21
	;;#ASMEND
	;;#ASMSTART
	v_dot2_f32_f16 v21, v3, v13, v21
	;;#ASMEND
	s_wait_dscnt 0x0
	;;#ASMSTART
	v_dot2_f32_f16 v9, v23, v4, v9
	;;#ASMEND
	;;#ASMSTART
	v_dot2_f32_f16 v9, v24, v5, v9
	;;#ASMEND
	;;#ASMSTART
	v_dot2_f32_f16 v9, v25, v6, v9
	;;#ASMEND
	;;#ASMSTART
	v_dot2_f32_f16 v9, v26, v7, v9
	;;#ASMEND
	;;#ASMSTART
	v_dot2_f32_f16 v22, v23, v10, v22
	;;#ASMEND
	;;#ASMSTART
	v_dot2_f32_f16 v22, v24, v11, v22
	;;#ASMEND
	;;#ASMSTART
	v_dot2_f32_f16 v22, v25, v12, v22
	;;#ASMEND
	;;#ASMSTART
	v_dot2_f32_f16 v22, v26, v13, v22
	;;#ASMEND
	ds_load_b128 v[0:3], v99 offset:32
	;; [unrolled: 55-line block ×7, first 2 shown]
	ds_load_b128 v[4:7], v98 offset:240
	ds_load_b128 v[10:13], v98 offset:496
	;; [unrolled: 1-line block ×3, first 2 shown]
	s_wait_dscnt 0x2
	;;#ASMSTART
	v_dot2_f32_f16 v8, v0, v4, v8
	;;#ASMEND
	;;#ASMSTART
	v_dot2_f32_f16 v8, v1, v5, v8
	;;#ASMEND
	;; [unrolled: 3-line block ×4, first 2 shown]
	s_wait_dscnt 0x1
	;;#ASMSTART
	v_dot2_f32_f16 v21, v0, v10, v21
	;;#ASMEND
	;;#ASMSTART
	v_dot2_f32_f16 v21, v1, v11, v21
	;;#ASMEND
	;; [unrolled: 3-line block ×4, first 2 shown]
	s_wait_dscnt 0x0
	;;#ASMSTART
	v_dot2_f32_f16 v9, v23, v4, v9
	;;#ASMEND
	v_cmp_ngt_f32_e64 s26, 0x3f200000, |v8|
	;;#ASMSTART
	v_dot2_f32_f16 v9, v24, v5, v9
	;;#ASMEND
	;;#ASMSTART
	v_dot2_f32_f16 v9, v25, v6, v9
	;;#ASMEND
	;; [unrolled: 3-line block ×7, first 2 shown]
                                        ; implicit-def: $vgpr2
	s_and_saveexec_b32 s27, s26
	s_wait_alu 0xfffe
	s_xor_b32 s26, exec_lo, s27
	s_cbranch_execz .LBB78_11
; %bb.10:                               ;   in Loop: Header=BB78_9 Depth=1
	v_add_f32_e64 v0, |v8|, |v8|
	s_delay_alu instid0(VALU_DEP_1) | instskip(SKIP_1) | instid1(VALU_DEP_2)
	v_mul_f32_e32 v1, 0x3fb8aa3b, v0
	v_cmp_ngt_f32_e32 vcc_lo, 0xc2ce8ed0, v0
	v_rndne_f32_e32 v2, v1
	v_fma_f32 v3, 0x3fb8aa3b, v0, -v1
	s_delay_alu instid0(VALU_DEP_2) | instskip(NEXT) | instid1(VALU_DEP_2)
	v_sub_f32_e32 v1, v1, v2
	v_fmac_f32_e32 v3, 0x32a5705f, v0
	v_cvt_i32_f32_e32 v2, v2
	s_delay_alu instid0(VALU_DEP_2) | instskip(NEXT) | instid1(VALU_DEP_1)
	v_add_f32_e32 v1, v1, v3
	v_exp_f32_e32 v1, v1
	s_delay_alu instid0(TRANS32_DEP_1) | instskip(SKIP_1) | instid1(VALU_DEP_1)
	v_ldexp_f32 v1, v1, v2
	s_wait_alu 0xfffd
	v_cndmask_b32_e32 v1, 0, v1, vcc_lo
	v_cmp_nlt_f32_e32 vcc_lo, 0x42b17218, v0
	s_wait_alu 0xfffd
	s_delay_alu instid0(VALU_DEP_2) | instskip(NEXT) | instid1(VALU_DEP_1)
	v_cndmask_b32_e32 v0, 0x7f800000, v1, vcc_lo
	v_add_f32_e32 v0, 1.0, v0
	s_delay_alu instid0(VALU_DEP_1) | instskip(NEXT) | instid1(TRANS32_DEP_1)
	v_rcp_f32_e32 v0, v0
	v_fma_f32 v2, v0, -2.0, 1.0
.LBB78_11:                              ;   in Loop: Header=BB78_9 Depth=1
	s_wait_alu 0xfffe
	s_and_not1_saveexec_b32 s26, s26
	s_cbranch_execz .LBB78_13
; %bb.12:                               ;   in Loop: Header=BB78_9 Depth=1
	v_mul_f32_e32 v0, v8, v8
	s_delay_alu instid0(VALU_DEP_1) | instskip(NEXT) | instid1(VALU_DEP_1)
	v_fmaak_f32 v1, s3, v0, 0x3ca908c9
	v_fmaak_f32 v1, v0, v1, 0xbd5c1c4e
	s_delay_alu instid0(VALU_DEP_1) | instskip(NEXT) | instid1(VALU_DEP_1)
	v_fmaak_f32 v1, v0, v1, 0x3e088382
	v_fmaak_f32 v1, v0, v1, 0xbeaaaa99
	s_delay_alu instid0(VALU_DEP_1) | instskip(NEXT) | instid1(VALU_DEP_1)
	v_mul_f32_e64 v1, |v8|, v1
	v_fma_f32 v2, v0, v1, |v8|
.LBB78_13:                              ;   in Loop: Header=BB78_9 Depth=1
	s_wait_alu 0xfffe
	s_or_b32 exec_lo, exec_lo, s26
	v_add_nc_u32_e32 v0, s10, v70
	v_cmp_ngt_f32_e64 s26, 0x3f200000, |v9|
                                        ; implicit-def: $vgpr3
	s_delay_alu instid0(VALU_DEP_2) | instskip(NEXT) | instid1(VALU_DEP_1)
	v_ashrrev_i32_e32 v1, 31, v0
	v_lshlrev_b64_e32 v[0:1], 1, v[0:1]
	s_delay_alu instid0(VALU_DEP_1) | instskip(SKIP_1) | instid1(VALU_DEP_2)
	v_add_co_u32 v0, vcc_lo, s30, v0
	s_wait_alu 0xfffd
	v_add_co_ci_u32_e64 v1, null, s31, v1, vcc_lo
	global_load_u16 v28, v[0:1], off
	s_and_saveexec_b32 s27, s26
	s_wait_alu 0xfffe
	s_xor_b32 s26, exec_lo, s27
	s_cbranch_execz .LBB78_15
; %bb.14:                               ;   in Loop: Header=BB78_9 Depth=1
	v_add_f32_e64 v3, |v9|, |v9|
	s_delay_alu instid0(VALU_DEP_1) | instskip(SKIP_1) | instid1(VALU_DEP_2)
	v_mul_f32_e32 v4, 0x3fb8aa3b, v3
	v_cmp_ngt_f32_e32 vcc_lo, 0xc2ce8ed0, v3
	v_rndne_f32_e32 v5, v4
	v_fma_f32 v6, 0x3fb8aa3b, v3, -v4
	s_delay_alu instid0(VALU_DEP_2) | instskip(NEXT) | instid1(VALU_DEP_2)
	v_sub_f32_e32 v4, v4, v5
	v_fmac_f32_e32 v6, 0x32a5705f, v3
	v_cvt_i32_f32_e32 v5, v5
	s_delay_alu instid0(VALU_DEP_2) | instskip(NEXT) | instid1(VALU_DEP_1)
	v_add_f32_e32 v4, v4, v6
	v_exp_f32_e32 v4, v4
	s_delay_alu instid0(TRANS32_DEP_1) | instskip(SKIP_1) | instid1(VALU_DEP_1)
	v_ldexp_f32 v4, v4, v5
	s_wait_alu 0xfffd
	v_cndmask_b32_e32 v4, 0, v4, vcc_lo
	v_cmp_nlt_f32_e32 vcc_lo, 0x42b17218, v3
	s_wait_alu 0xfffd
	s_delay_alu instid0(VALU_DEP_2) | instskip(NEXT) | instid1(VALU_DEP_1)
	v_cndmask_b32_e32 v3, 0x7f800000, v4, vcc_lo
	v_add_f32_e32 v3, 1.0, v3
	s_delay_alu instid0(VALU_DEP_1) | instskip(NEXT) | instid1(TRANS32_DEP_1)
	v_rcp_f32_e32 v3, v3
	v_fma_f32 v3, v3, -2.0, 1.0
.LBB78_15:                              ;   in Loop: Header=BB78_9 Depth=1
	s_wait_alu 0xfffe
	s_and_not1_saveexec_b32 s26, s26
	s_cbranch_execz .LBB78_17
; %bb.16:                               ;   in Loop: Header=BB78_9 Depth=1
	v_mul_f32_e32 v3, v9, v9
	s_delay_alu instid0(VALU_DEP_1) | instskip(NEXT) | instid1(VALU_DEP_1)
	v_fmaak_f32 v4, s3, v3, 0x3ca908c9
	v_fmaak_f32 v4, v3, v4, 0xbd5c1c4e
	s_delay_alu instid0(VALU_DEP_1) | instskip(NEXT) | instid1(VALU_DEP_1)
	v_fmaak_f32 v4, v3, v4, 0x3e088382
	v_fmaak_f32 v4, v3, v4, 0xbeaaaa99
	s_delay_alu instid0(VALU_DEP_1) | instskip(NEXT) | instid1(VALU_DEP_1)
	v_mul_f32_e64 v4, |v9|, v4
	v_fma_f32 v3, v3, v4, |v9|
.LBB78_17:                              ;   in Loop: Header=BB78_9 Depth=1
	s_wait_alu 0xfffe
	s_or_b32 exec_lo, exec_lo, s26
	global_load_u16 v30, v[0:1], off offset:64
	v_bfi_b32 v0, 0x7fffffff, v2, v8
	v_bfi_b32 v1, 0x7fffffff, v3, v9
	v_xor_b32_e32 v111, 16, v92
	v_xor_b32_e32 v107, 8, v92
	;; [unrolled: 1-line block ×3, first 2 shown]
	s_wait_loadcnt 0x1
	v_fma_mix_f32 v25, s5, v0, v28 op_sel_hi:[0,0,1]
	v_xor_b32_e32 v109, 2, v92
	v_cmp_gt_i32_e32 vcc_lo, 32, v111
	v_xor_b32_e32 v110, 1, v92
	v_cmp_ngt_f32_e64 s26, 0x3f200000, |v21|
	v_add_f32_e32 v0, 0x40051340, v25
                                        ; implicit-def: $vgpr35
	s_wait_loadcnt 0x0
	v_fma_mix_f32 v26, s5, v1, v30 op_sel_hi:[0,0,1]
	s_wait_alu 0xfffd
	v_cndmask_b32_e32 v1, v92, v111, vcc_lo
	v_cmp_gt_i32_e32 vcc_lo, 32, v107
	s_delay_alu instid0(VALU_DEP_2) | instskip(NEXT) | instid1(VALU_DEP_1)
	v_dual_add_f32 v2, 0x40051340, v26 :: v_dual_lshlrev_b32 v31, 2, v1
	v_max3_num_f32 v0, v20, v0, v2
	ds_bpermute_b32 v1, v31, v0
	s_wait_alu 0xfffd
	v_cndmask_b32_e32 v2, v92, v107, vcc_lo
	v_cmp_gt_i32_e32 vcc_lo, 32, v108
	s_wait_dscnt 0x0
	s_delay_alu instid0(VALU_DEP_2) | instskip(SKIP_3) | instid1(VALU_DEP_2)
	v_dual_max_num_f32 v1, v1, v1 :: v_dual_lshlrev_b32 v32, 2, v2
	s_wait_alu 0xfffd
	v_cndmask_b32_e32 v2, v92, v108, vcc_lo
	v_cmp_gt_i32_e32 vcc_lo, 32, v109
	v_dual_max_num_f32 v0, v0, v1 :: v_dual_lshlrev_b32 v33, 2, v2
	s_wait_alu 0xfffd
	v_cndmask_b32_e32 v2, v92, v109, vcc_lo
	v_cmp_gt_i32_e32 vcc_lo, 32, v110
	ds_bpermute_b32 v1, v32, v0
	v_lshlrev_b32_e32 v24, 2, v2
	s_wait_alu 0xfffd
	v_cndmask_b32_e32 v2, v92, v110, vcc_lo
	s_delay_alu instid0(VALU_DEP_1) | instskip(SKIP_2) | instid1(VALU_DEP_1)
	v_lshlrev_b32_e32 v23, 2, v2
	s_wait_dscnt 0x0
	v_max_num_f32_e32 v1, v1, v1
	v_max_num_f32_e32 v0, v0, v1
	ds_bpermute_b32 v1, v33, v0
	s_wait_dscnt 0x0
	v_max_num_f32_e32 v1, v1, v1
	s_delay_alu instid0(VALU_DEP_1) | instskip(SKIP_3) | instid1(VALU_DEP_1)
	v_max_num_f32_e32 v0, v0, v1
	ds_bpermute_b32 v1, v24, v0
	s_wait_dscnt 0x0
	v_max_num_f32_e32 v1, v1, v1
	v_max_num_f32_e32 v27, v0, v1
	ds_bpermute_b32 v34, v23, v27
	s_and_saveexec_b32 s27, s26
	s_wait_alu 0xfffe
	s_xor_b32 s26, exec_lo, s27
	s_cbranch_execz .LBB78_19
; %bb.18:                               ;   in Loop: Header=BB78_9 Depth=1
	v_add_f32_e64 v0, |v21|, |v21|
	s_delay_alu instid0(VALU_DEP_1) | instskip(SKIP_1) | instid1(VALU_DEP_2)
	v_mul_f32_e32 v1, 0x3fb8aa3b, v0
	v_cmp_ngt_f32_e32 vcc_lo, 0xc2ce8ed0, v0
	v_rndne_f32_e32 v2, v1
	v_fma_f32 v3, 0x3fb8aa3b, v0, -v1
	s_delay_alu instid0(VALU_DEP_2) | instskip(NEXT) | instid1(VALU_DEP_2)
	v_sub_f32_e32 v1, v1, v2
	v_fmac_f32_e32 v3, 0x32a5705f, v0
	v_cvt_i32_f32_e32 v2, v2
	s_delay_alu instid0(VALU_DEP_2) | instskip(NEXT) | instid1(VALU_DEP_1)
	v_add_f32_e32 v1, v1, v3
	v_exp_f32_e32 v1, v1
	s_delay_alu instid0(TRANS32_DEP_1) | instskip(SKIP_1) | instid1(VALU_DEP_1)
	v_ldexp_f32 v1, v1, v2
	s_wait_alu 0xfffd
	v_cndmask_b32_e32 v1, 0, v1, vcc_lo
	v_cmp_nlt_f32_e32 vcc_lo, 0x42b17218, v0
	s_wait_alu 0xfffd
	s_delay_alu instid0(VALU_DEP_2) | instskip(NEXT) | instid1(VALU_DEP_1)
	v_cndmask_b32_e32 v0, 0x7f800000, v1, vcc_lo
	v_add_f32_e32 v0, 1.0, v0
	s_delay_alu instid0(VALU_DEP_1) | instskip(NEXT) | instid1(TRANS32_DEP_1)
	v_rcp_f32_e32 v0, v0
	v_fma_f32 v35, v0, -2.0, 1.0
.LBB78_19:                              ;   in Loop: Header=BB78_9 Depth=1
	s_wait_alu 0xfffe
	s_and_not1_saveexec_b32 s26, s26
	s_cbranch_execz .LBB78_21
; %bb.20:                               ;   in Loop: Header=BB78_9 Depth=1
	v_mul_f32_e32 v0, v21, v21
	s_delay_alu instid0(VALU_DEP_1) | instskip(NEXT) | instid1(VALU_DEP_1)
	v_fmaak_f32 v1, s3, v0, 0x3ca908c9
	v_fmaak_f32 v1, v0, v1, 0xbd5c1c4e
	s_delay_alu instid0(VALU_DEP_1) | instskip(NEXT) | instid1(VALU_DEP_1)
	v_fmaak_f32 v1, v0, v1, 0x3e088382
	v_fmaak_f32 v1, v0, v1, 0xbeaaaa99
	s_delay_alu instid0(VALU_DEP_1) | instskip(NEXT) | instid1(VALU_DEP_1)
	v_mul_f32_e64 v1, |v21|, v1
	v_fma_f32 v35, v0, v1, |v21|
.LBB78_21:                              ;   in Loop: Header=BB78_9 Depth=1
	s_wait_alu 0xfffe
	s_or_b32 exec_lo, exec_lo, s26
	v_cmp_ngt_f32_e64 s26, 0x3f200000, |v22|
                                        ; implicit-def: $vgpr36
	s_and_saveexec_b32 s27, s26
	s_wait_alu 0xfffe
	s_xor_b32 s26, exec_lo, s27
	s_cbranch_execz .LBB78_23
; %bb.22:                               ;   in Loop: Header=BB78_9 Depth=1
	v_add_f32_e64 v0, |v22|, |v22|
	s_delay_alu instid0(VALU_DEP_1) | instskip(SKIP_1) | instid1(VALU_DEP_2)
	v_mul_f32_e32 v1, 0x3fb8aa3b, v0
	v_cmp_ngt_f32_e32 vcc_lo, 0xc2ce8ed0, v0
	v_rndne_f32_e32 v2, v1
	v_fma_f32 v3, 0x3fb8aa3b, v0, -v1
	s_delay_alu instid0(VALU_DEP_2) | instskip(NEXT) | instid1(VALU_DEP_2)
	v_sub_f32_e32 v1, v1, v2
	v_fmac_f32_e32 v3, 0x32a5705f, v0
	v_cvt_i32_f32_e32 v2, v2
	s_delay_alu instid0(VALU_DEP_2) | instskip(NEXT) | instid1(VALU_DEP_1)
	v_add_f32_e32 v1, v1, v3
	v_exp_f32_e32 v1, v1
	s_delay_alu instid0(TRANS32_DEP_1) | instskip(SKIP_1) | instid1(VALU_DEP_1)
	v_ldexp_f32 v1, v1, v2
	s_wait_alu 0xfffd
	v_cndmask_b32_e32 v1, 0, v1, vcc_lo
	v_cmp_nlt_f32_e32 vcc_lo, 0x42b17218, v0
	s_wait_alu 0xfffd
	s_delay_alu instid0(VALU_DEP_2) | instskip(NEXT) | instid1(VALU_DEP_1)
	v_cndmask_b32_e32 v0, 0x7f800000, v1, vcc_lo
	v_add_f32_e32 v0, 1.0, v0
	s_delay_alu instid0(VALU_DEP_1) | instskip(NEXT) | instid1(TRANS32_DEP_1)
	v_rcp_f32_e32 v0, v0
	v_fma_f32 v36, v0, -2.0, 1.0
.LBB78_23:                              ;   in Loop: Header=BB78_9 Depth=1
	s_wait_alu 0xfffe
	s_and_not1_saveexec_b32 s26, s26
	s_cbranch_execz .LBB78_25
; %bb.24:                               ;   in Loop: Header=BB78_9 Depth=1
	v_mul_f32_e32 v0, v22, v22
	s_delay_alu instid0(VALU_DEP_1) | instskip(NEXT) | instid1(VALU_DEP_1)
	v_fmaak_f32 v1, s3, v0, 0x3ca908c9
	v_fmaak_f32 v1, v0, v1, 0xbd5c1c4e
	s_delay_alu instid0(VALU_DEP_1) | instskip(NEXT) | instid1(VALU_DEP_1)
	v_fmaak_f32 v1, v0, v1, 0x3e088382
	v_fmaak_f32 v1, v0, v1, 0xbeaaaa99
	s_delay_alu instid0(VALU_DEP_1) | instskip(NEXT) | instid1(VALU_DEP_1)
	v_mul_f32_e64 v1, |v22|, v1
	v_fma_f32 v36, v0, v1, |v22|
.LBB78_25:                              ;   in Loop: Header=BB78_9 Depth=1
	s_wait_alu 0xfffe
	s_or_b32 exec_lo, exec_lo, s26
	s_mul_u64 s[26:27], s[10:11], s[14:15]
	s_wait_dscnt 0x0
	s_wait_alu 0xfffe
	s_lshl_b64 s[26:27], s[26:27], 2
	s_barrier_signal -1
	s_wait_alu 0xfffe
	s_add_nc_u64 s[26:27], s[8:9], s[26:27]
	s_barrier_wait -1
	s_wait_alu 0xfffe
	v_add_co_u32 v0, vcc_lo, s26, v79
	s_wait_alu 0xfffd
	v_add_co_ci_u32_e64 v1, null, s27, v80, vcc_lo
	v_add_co_u32 v2, vcc_lo, s26, v81
	s_wait_alu 0xfffd
	v_add_co_ci_u32_e64 v3, null, s27, v82, vcc_lo
	;; [unrolled: 3-line block ×8, first 2 shown]
	global_inv scope:SCOPE_SE
	s_clause 0x3
	global_load_b128 v[0:3], v[0:1], off
	global_load_b128 v[4:7], v[4:5], off
	global_load_b128 v[8:11], v[8:9], off
	global_load_b128 v[12:15], v[12:13], off
	v_cvt_f32_f16_e32 v29, v28
	v_cvt_f32_f16_e32 v28, v30
	v_bfi_b32 v21, 0x7fffffff, v35, v21
	v_bfi_b32 v22, 0x7fffffff, v36, v22
	v_max_num_f32_e32 v27, v27, v27
	v_add_nc_u32_e32 v60, 0x1000, v91
	s_or_b32 s26, s10, 32
	s_delay_alu instid0(VALU_DEP_3)
	v_dual_fmac_f32 v29, s5, v21 :: v_dual_fmac_f32 v28, s5, v22
	s_wait_alu 0xfffe
	s_ashr_i32 s27, s26, 31
	v_max_num_f32_e32 v30, v34, v34
	s_wait_alu 0xfffe
	s_mul_u64 s[26:27], s[26:27], s[14:15]
	v_dual_add_f32 v21, 0x40051340, v29 :: v_dual_add_f32 v22, 0x40051340, v28
	s_wait_alu 0xfffe
	s_lshl_b64 s[26:27], s[26:27], 2
	v_add_nc_u32_e32 v51, 0x800, v91
	s_wait_alu 0xfffe
	s_add_nc_u64 s[26:27], s[8:9], s[26:27]
	v_add_nc_u32_e32 v114, 0x1800, v91
	v_max3_num_f32 v21, v19, v21, v22
	ds_bpermute_b32 v22, v31, v21
	s_wait_dscnt 0x0
	v_max_num_f32_e32 v22, v22, v22
	s_delay_alu instid0(VALU_DEP_1) | instskip(SKIP_3) | instid1(VALU_DEP_1)
	v_max_num_f32_e32 v21, v21, v22
	ds_bpermute_b32 v22, v32, v21
	s_wait_dscnt 0x0
	v_max_num_f32_e32 v22, v22, v22
	v_max_num_f32_e32 v21, v21, v22
	ds_bpermute_b32 v22, v33, v21
	s_wait_dscnt 0x0
	v_max_num_f32_e32 v22, v22, v22
	s_delay_alu instid0(VALU_DEP_1)
	v_max_num_f32_e32 v21, v21, v22
	s_wait_alu 0xfffe
	v_add_co_u32 v22, vcc_lo, s26, v79
	ds_bpermute_b32 v24, v24, v21
	v_max_num_f32_e32 v87, v27, v30
	s_wait_alu 0xfffd
	v_add_co_ci_u32_e64 v27, null, s27, v80, vcc_lo
	v_add_co_u32 v30, vcc_lo, s26, v81
	s_wait_alu 0xfffd
	v_add_co_ci_u32_e64 v32, null, s27, v82, vcc_lo
	v_add_co_u32 v33, vcc_lo, s26, v83
	;; [unrolled: 3-line block ×4, first 2 shown]
	s_wait_alu 0xfffd
	v_add_co_ci_u32_e64 v45, null, 0, v27, vcc_lo
	s_wait_dscnt 0x0
	v_dual_max_num_f32 v22, v24, v24 :: v_dual_sub_f32 v25, v25, v87
	v_dual_sub_f32 v20, v20, v87 :: v_dual_add_nc_u32 v31, v101, v90
	v_sub_f32_e32 v26, v26, v87
	v_add_co_u32 v46, vcc_lo, v30, v106
	s_delay_alu instid0(VALU_DEP_4) | instskip(NEXT) | instid1(VALU_DEP_4)
	v_mul_f32_e32 v37, 0x3fb8aa3b, v25
	v_mul_f32_e32 v39, 0x3fb8aa3b, v20
	s_wait_alu 0xfffd
	v_add_co_ci_u32_e64 v47, null, 0, v32, vcc_lo
	v_add_co_u32 v40, vcc_lo, v33, v106
	v_fma_f32 v24, 0x3fb8aa3b, v25, -v37
	v_rndne_f32_e32 v27, v37
	v_fma_f32 v32, 0x3fb8aa3b, v20, -v39
	v_mul_f32_e32 v38, 0x3fb8aa3b, v26
	v_rndne_f32_e32 v42, v39
	v_dual_fmac_f32 v24, 0x32a5705f, v25 :: v_dual_max_num_f32 v21, v21, v22
	s_delay_alu instid0(VALU_DEP_4) | instskip(NEXT) | instid1(VALU_DEP_3)
	v_dual_fmac_f32 v32, 0x32a5705f, v20 :: v_dual_sub_f32 v37, v37, v27
	v_sub_f32_e32 v39, v39, v42
	v_fma_f32 v22, 0x3fb8aa3b, v26, -v38
	ds_bpermute_b32 v23, v23, v21
	v_rndne_f32_e32 v30, v38
	v_add_f32_e32 v24, v37, v24
	v_cvt_i32_f32_e32 v27, v27
	s_wait_alu 0xfffd
	v_add_co_ci_u32_e64 v41, null, 0, v34, vcc_lo
	v_cvt_i32_f32_e32 v33, v42
	v_exp_f32_e32 v24, v24
	v_add_co_u32 v42, vcc_lo, v35, v106
	v_fmac_f32_e32 v22, 0x32a5705f, v26
	s_wait_alu 0xfffd
	v_add_co_ci_u32_e64 v43, null, 0, v36, vcc_lo
	v_cmp_ngt_f32_e32 vcc_lo, 0xc2ce8ed0, v25
	s_delay_alu instid0(TRANS32_DEP_1)
	v_ldexp_f32 v24, v24, v27
	v_sub_f32_e32 v38, v38, v30
	v_cvt_i32_f32_e32 v30, v30
	s_wait_dscnt 0x0
	v_max_num_f32_e32 v23, v23, v23
	s_wait_alu 0xfffd
	s_delay_alu instid0(VALU_DEP_1) | instskip(SKIP_2) | instid1(VALU_DEP_3)
	v_dual_max_num_f32 v88, v21, v23 :: v_dual_cndmask_b32 v23, 0, v24
	v_add_f32_e32 v22, v38, v22
	v_cmp_ngt_f32_e32 vcc_lo, 0xc2ce8ed0, v26
	v_sub_f32_e32 v19, v19, v88
	v_sub_f32_e32 v24, v29, v88
	s_delay_alu instid0(VALU_DEP_4) | instskip(NEXT) | instid1(VALU_DEP_2)
	v_exp_f32_e32 v22, v22
	v_mul_f32_e32 v29, 0x3fb8aa3b, v19
	s_delay_alu instid0(VALU_DEP_1) | instskip(NEXT) | instid1(TRANS32_DEP_1)
	v_rndne_f32_e32 v34, v29
	v_ldexp_f32 v21, v22, v30
	s_wait_alu 0xfffd
	s_delay_alu instid0(VALU_DEP_1) | instskip(NEXT) | instid1(VALU_DEP_1)
	v_dual_add_f32 v32, v39, v32 :: v_dual_cndmask_b32 v21, 0, v21
	v_exp_f32_e32 v32, v32
	v_cmp_ngt_f32_e32 vcc_lo, 0xc2ce8ed0, v20
	s_delay_alu instid0(TRANS32_DEP_1)
	v_ldexp_f32 v22, v32, v33
	v_sub_f32_e32 v27, v28, v88
	v_mul_f32_e32 v28, 0x3fb8aa3b, v24
	v_fma_f32 v33, 0x3fb8aa3b, v19, -v29
	v_sub_f32_e32 v29, v29, v34
	s_wait_alu 0xfffd
	v_cndmask_b32_e32 v22, 0, v22, vcc_lo
	v_cmp_nlt_f32_e32 vcc_lo, 0x42b17218, v25
	v_fma_f32 v32, 0x3fb8aa3b, v24, -v28
	v_fmac_f32_e32 v33, 0x32a5705f, v19
	v_rndne_f32_e32 v35, v28
	s_wait_alu 0xfffd
	v_cndmask_b32_e32 v23, 0x7f800000, v23, vcc_lo
	v_fmac_f32_e32 v32, 0x32a5705f, v24
	v_dual_mul_f32 v30, 0x3fb8aa3b, v27 :: v_dual_add_f32 v29, v29, v33
	v_cmp_nlt_f32_e32 vcc_lo, 0x42b17218, v26
	v_sub_f32_e32 v28, v28, v35
	s_delay_alu instid0(VALU_DEP_3)
	v_fma_f32 v36, 0x3fb8aa3b, v27, -v30
	v_rndne_f32_e32 v37, v30
	v_exp_f32_e32 v29, v29
	s_wait_alu 0xfffd
	v_cndmask_b32_e32 v21, 0x7f800000, v21, vcc_lo
	v_dual_add_f32 v25, v28, v32 :: v_dual_fmac_f32 v36, 0x32a5705f, v27
	v_sub_f32_e32 v30, v30, v37
	v_cmp_nlt_f32_e32 vcc_lo, 0x42b17218, v20
	v_cvt_f16_f32_e32 v32, v23
	s_delay_alu instid0(VALU_DEP_4)
	v_exp_f32_e32 v25, v25
	v_add_f32_e32 v112, v23, v21
	v_add_f32_e32 v28, v30, v36
	s_wait_alu 0xfffd
	v_cndmask_b32_e32 v20, 0x7f800000, v22, vcc_lo
	v_cvt_i32_f32_e32 v22, v35
	v_cvt_i32_f32_e32 v30, v37
	v_cmp_ngt_f32_e32 vcc_lo, 0xc2ce8ed0, v19
	v_exp_f32_e32 v26, v28
	v_cvt_i32_f32_e32 v28, v34
	v_ldexp_f32 v22, v25, v22
	s_delay_alu instid0(VALU_DEP_2) | instskip(NEXT) | instid1(TRANS32_DEP_1)
	v_ldexp_f32 v28, v29, v28
	v_ldexp_f32 v25, v26, v30
	s_wait_alu 0xfffd
	s_delay_alu instid0(VALU_DEP_2)
	v_cndmask_b32_e32 v26, 0, v28, vcc_lo
	v_cmp_ngt_f32_e32 vcc_lo, 0xc2ce8ed0, v24
	s_wait_alu 0xfffd
	v_cndmask_b32_e32 v22, 0, v22, vcc_lo
	v_cmp_ngt_f32_e32 vcc_lo, 0xc2ce8ed0, v27
	s_wait_alu 0xfffd
	v_cndmask_b32_e32 v25, 0, v25, vcc_lo
	v_cmp_nlt_f32_e32 vcc_lo, 0x42b17218, v19
	s_wait_alu 0xfffd
	v_cndmask_b32_e32 v52, 0x7f800000, v26, vcc_lo
	v_cmp_nlt_f32_e32 vcc_lo, 0x42b17218, v24
	s_delay_alu instid0(VALU_DEP_2) | instskip(SKIP_3) | instid1(VALU_DEP_3)
	v_cvt_f16_f32_e32 v24, v52
	s_wait_alu 0xfffd
	v_cndmask_b32_e32 v19, 0x7f800000, v22, vcc_lo
	v_cmp_nlt_f32_e32 vcc_lo, 0x42b17218, v27
	v_and_b32_e32 v24, 0xffff, v24
	s_delay_alu instid0(VALU_DEP_3)
	v_cvt_f16_f32_e32 v27, v19
	s_wait_alu 0xfffd
	v_cndmask_b32_e32 v22, 0x7f800000, v25, vcc_lo
	v_cvt_f16_f32_e32 v25, v21
	v_mul_u32_u24_e32 v58, 0x10001, v24
	v_pack_b32_f16 v21, v32, v27
	s_delay_alu instid0(VALU_DEP_4) | instskip(SKIP_1) | instid1(VALU_DEP_4)
	v_add_f32_e32 v113, v19, v22
	v_cvt_f16_f32_e32 v28, v22
	v_pk_mul_f16 v65, v16, v58
	s_delay_alu instid0(VALU_DEP_3) | instskip(SKIP_1) | instid1(VALU_DEP_4)
	v_fmac_f32_e32 v113, v50, v52
	v_cvt_f16_f32_e32 v29, v20
	v_pack_b32_f16 v23, v25, v28
	v_fmac_f32_e32 v112, v18, v20
	s_delay_alu instid0(VALU_DEP_3)
	v_and_b32_e32 v26, 0xffff, v29
	ds_store_2addr_b32 v31, v21, v23 offset1:32
	s_wait_loadcnt 0x3
	ds_store_b128 v100, v[0:3]
	s_wait_loadcnt 0x2
	ds_store_b128 v102, v[4:7]
	;; [unrolled: 2-line block ×4, first 2 shown]
	v_mul_u32_u24_e32 v57, 0x10001, v26
	s_wait_dscnt 0x0
	s_barrier_signal -1
	s_barrier_wait -1
	global_inv scope:SCOPE_SE
	v_pk_mul_f16 v59, v17, v57
	ds_load_2addr_b64 v[53:56], v91 offset1:32
	ds_load_b128 v[61:64], v101
	ds_load_b128 v[115:118], v101 offset:16
	ds_load_b128 v[119:122], v101 offset:32
	;; [unrolled: 1-line block ×3, first 2 shown]
	ds_load_2addr_b64 v[127:130], v91 offset0:64 offset1:96
	ds_load_2addr_b64 v[131:134], v91 offset0:128 offset1:160
	;; [unrolled: 1-line block ×3, first 2 shown]
	ds_load_2addr_b64 v[139:142], v51 offset1:32
	ds_load_2addr_b64 v[36:39], v51 offset0:64 offset1:96
	ds_load_2addr_b64 v[32:35], v51 offset0:128 offset1:160
	;; [unrolled: 1-line block ×3, first 2 shown]
	ds_load_2addr_b64 v[16:19], v60 offset1:32
	ds_load_2addr_b64 v[12:15], v60 offset0:64 offset1:96
	ds_load_2addr_b64 v[8:11], v60 offset0:128 offset1:160
	ds_load_b128 v[143:146], v101 offset:64
	ds_load_b128 v[147:150], v101 offset:80
	ds_load_2addr_b64 v[4:7], v60 offset0:192 offset1:224
	ds_load_2addr_b64 v[0:3], v114 offset1:32
	ds_load_2addr_b64 v[24:27], v114 offset0:64 offset1:96
	ds_load_2addr_b64 v[20:23], v114 offset0:128 offset1:160
	ds_load_b128 v[151:154], v101 offset:96
	ds_load_b128 v[155:158], v101 offset:112
	s_wait_dscnt 0x15
	v_lshrrev_b32_e32 v66, 16, v61
	v_and_b32_e32 v61, 0xffff, v61
	s_wait_dscnt 0x13
	v_lshrrev_b32_e32 v168, 16, v119
	v_and_b32_e32 v169, 0xffff, v119
	v_lshrrev_b32_e32 v67, 16, v62
	v_mul_u32_u24_e32 v66, 0x10001, v66
	v_mul_u32_u24_e32 v119, 0x10001, v61
	v_and_b32_e32 v159, 0xffff, v62
	v_lshrrev_b32_e32 v170, 16, v120
	v_and_b32_e32 v171, 0xffff, v120
	v_and_b32_e32 v161, 0xffff, v63
	v_pk_mul_f16 v120, v53, v119
	v_pk_mul_f16 v53, v53, v66
	v_pk_fma_f16 v59, v54, v119, v59
	v_mul_u32_u24_e32 v159, 0x10001, v159
	v_pk_fma_f16 v54, v54, v66, v65
	v_pk_fma_f16 v49, v49, v57, v120
	;; [unrolled: 1-line block ×3, first 2 shown]
	v_mul_u32_u24_e32 v53, 0x10001, v67
	v_pk_fma_f16 v58, v56, v159, v59
	v_lshrrev_b32_e32 v160, 16, v63
	v_pk_fma_f16 v49, v55, v159, v49
	v_lshrrev_b32_e32 v162, 16, v64
	v_pk_fma_f16 v65, v56, v53, v54
	v_pk_fma_f16 v48, v55, v53, v48
	v_mul_u32_u24_e32 v53, 0x10001, v161
	v_and_b32_e32 v163, 0xffff, v64
	v_lshrrev_b32_e32 v172, 16, v121
	v_and_b32_e32 v173, 0xffff, v121
	v_lshrrev_b32_e32 v174, 16, v122
	v_and_b32_e32 v175, 0xffff, v122
	ds_load_2addr_b64 v[61:64], v114 offset0:192 offset1:224
	s_wait_loadcnt_dscnt 0x0
	s_barrier_signal -1
	s_barrier_wait -1
	global_inv scope:SCOPE_SE
	s_clause 0x1
	global_load_b128 v[119:122], v[44:45], off
	global_load_b128 v[44:47], v[46:47], off
	v_pk_fma_f16 v58, v128, v53, v58
	v_pk_fma_f16 v49, v127, v53, v49
	s_clause 0x1
	global_load_b128 v[53:56], v[40:41], off
	global_load_b128 v[40:43], v[42:43], off
	v_mul_u32_u24_e32 v159, 0x10001, v160
	v_lshrrev_b32_e32 v164, 16, v115
	v_and_b32_e32 v115, 0xffff, v115
	v_mul_u32_u24_e32 v160, 0x10001, v163
	v_mul_u32_u24_e32 v161, 0x10001, v162
	v_pk_fma_f16 v65, v128, v159, v65
	v_pk_fma_f16 v48, v127, v159, v48
	v_lshrrev_b32_e32 v165, 16, v116
	v_and_b32_e32 v116, 0xffff, v116
	v_mul_u32_u24_e32 v115, 0x10001, v115
	v_mul_u32_u24_e32 v162, 0x10001, v164
	v_pk_fma_f16 v58, v130, v160, v58
	v_pk_fma_f16 v65, v130, v161, v65
	v_pk_fma_f16 v49, v129, v160, v49
	v_pk_fma_f16 v48, v129, v161, v48
	v_lshrrev_b32_e32 v166, 16, v117
	v_and_b32_e32 v117, 0xffff, v117
	v_mul_u32_u24_e32 v116, 0x10001, v116
	v_mul_u32_u24_e32 v163, 0x10001, v165
	v_pk_fma_f16 v58, v132, v115, v58
	v_pk_fma_f16 v65, v132, v162, v65
	v_pk_fma_f16 v49, v131, v115, v49
	v_pk_fma_f16 v48, v131, v162, v48
	v_lshrrev_b32_e32 v167, 16, v118
	v_and_b32_e32 v118, 0xffff, v118
	v_mul_u32_u24_e32 v117, 0x10001, v117
	v_mul_u32_u24_e32 v164, 0x10001, v166
	v_pk_fma_f16 v58, v134, v116, v58
	v_pk_fma_f16 v65, v134, v163, v65
	v_pk_fma_f16 v49, v133, v116, v49
	v_pk_fma_f16 v48, v133, v163, v48
	v_mul_u32_u24_e32 v118, 0x10001, v118
	v_mul_u32_u24_e32 v165, 0x10001, v167
	v_pk_fma_f16 v58, v136, v117, v58
	v_pk_fma_f16 v65, v136, v164, v65
	v_pk_fma_f16 v49, v135, v117, v49
	v_pk_fma_f16 v48, v135, v164, v48
	v_mul_u32_u24_e32 v166, 0x10001, v169
	v_mul_u32_u24_e32 v167, 0x10001, v168
	v_pk_fma_f16 v58, v138, v118, v58
	v_pk_fma_f16 v65, v138, v165, v65
	v_pk_fma_f16 v49, v137, v118, v49
	v_pk_fma_f16 v48, v137, v165, v48
	v_mul_u32_u24_e32 v168, 0x10001, v171
	v_mul_u32_u24_e32 v169, 0x10001, v170
	v_pk_fma_f16 v58, v140, v166, v58
	v_pk_fma_f16 v65, v140, v167, v65
	v_pk_fma_f16 v49, v139, v166, v49
	v_pk_fma_f16 v48, v139, v167, v48
	v_mul_u32_u24_e32 v170, 0x10001, v173
	v_mul_u32_u24_e32 v171, 0x10001, v172
	v_pk_fma_f16 v58, v142, v168, v58
	v_pk_fma_f16 v65, v142, v169, v65
	v_pk_fma_f16 v49, v141, v168, v49
	v_pk_fma_f16 v48, v141, v169, v48
	v_lshrrev_b32_e32 v176, 16, v123
	v_and_b32_e32 v123, 0xffff, v123
	v_mul_u32_u24_e32 v172, 0x10001, v175
	v_mul_u32_u24_e32 v173, 0x10001, v174
	v_pk_fma_f16 v58, v37, v170, v58
	v_pk_fma_f16 v37, v37, v171, v65
	v_pk_fma_f16 v49, v36, v170, v49
	v_pk_fma_f16 v36, v36, v171, v48
	v_lshrrev_b32_e32 v177, 16, v124
	v_and_b32_e32 v124, 0xffff, v124
	v_mul_u32_u24_e32 v123, 0x10001, v123
	v_mul_u32_u24_e32 v174, 0x10001, v176
	v_pk_fma_f16 v58, v39, v172, v58
	v_pk_fma_f16 v37, v39, v173, v37
	;; [unrolled: 8-line block ×20, first 2 shown]
	v_pk_fma_f16 v3, v22, v4, v3
	v_pk_fma_f16 v0, v22, v2, v0
	v_mul_u32_u24_e32 v6, 0x10001, v158
	v_mul_u32_u24_e32 v2, 0x10001, v157
	v_pk_fma_f16 v4, v62, v7, v5
	v_pk_fma_f16 v1, v62, v9, v1
	;; [unrolled: 1-line block ×4, first 2 shown]
	s_wait_loadcnt 0x3
	ds_store_b128 v100, v[119:122]
	s_wait_loadcnt 0x2
	ds_store_b128 v102, v[44:47]
	;; [unrolled: 2-line block ×4, first 2 shown]
	v_pk_fma_f16 v115, v64, v6, v4
	v_pk_fma_f16 v116, v64, v2, v1
	;; [unrolled: 1-line block ×4, first 2 shown]
	s_wait_dscnt 0x0
	s_barrier_signal -1
	s_barrier_wait -1
	global_inv scope:SCOPE_SE
	ds_load_2addr_b64 v[0:3], v91 offset1:32
	ds_load_b128 v[56:59], v101 offset:128
	ds_load_b128 v[52:55], v101 offset:144
	;; [unrolled: 1-line block ×4, first 2 shown]
	ds_load_2addr_b64 v[4:7], v91 offset0:64 offset1:96
	ds_load_2addr_b64 v[8:11], v91 offset0:128 offset1:160
	;; [unrolled: 1-line block ×3, first 2 shown]
	ds_load_2addr_b64 v[16:19], v51 offset1:32
	ds_load_2addr_b64 v[20:23], v51 offset0:64 offset1:96
	ds_load_2addr_b64 v[24:27], v51 offset0:128 offset1:160
	;; [unrolled: 1-line block ×3, first 2 shown]
	ds_load_2addr_b64 v[32:35], v60 offset1:32
	ds_load_2addr_b64 v[40:43], v60 offset0:64 offset1:96
	ds_load_2addr_b64 v[48:51], v60 offset0:128 offset1:160
	ds_load_b128 v[119:122], v101 offset:192
	ds_load_b128 v[123:126], v101 offset:208
	ds_load_2addr_b64 v[60:63], v60 offset0:192 offset1:224
	ds_load_2addr_b64 v[64:67], v114 offset1:32
	ds_load_b128 v[127:130], v101 offset:224
	ds_load_b128 v[131:134], v101 offset:240
	ds_load_2addr_b64 v[135:138], v114 offset0:64 offset1:96
	ds_load_2addr_b64 v[139:142], v114 offset0:128 offset1:160
	;; [unrolled: 1-line block ×3, first 2 shown]
	s_wait_dscnt 0x16
	v_lshrrev_b32_e32 v114, 16, v56
	v_and_b32_e32 v56, 0xffff, v56
	v_lshrrev_b32_e32 v147, 16, v57
	v_and_b32_e32 v57, 0xffff, v57
	v_lshrrev_b32_e32 v148, 16, v58
	v_mul_u32_u24_e32 v114, 0x10001, v114
	v_mul_u32_u24_e32 v56, 0x10001, v56
	v_and_b32_e32 v58, 0xffff, v58
	v_mul_u32_u24_e32 v57, 0x10001, v57
	v_mul_u32_u24_e32 v147, 0x10001, v147
	v_lshrrev_b32_e32 v149, 16, v59
	v_pk_fma_f16 v117, v0, v56, v117
	v_pk_fma_f16 v0, v0, v114, v118
	;; [unrolled: 1-line block ×4, first 2 shown]
	v_and_b32_e32 v59, 0xffff, v59
	v_mul_u32_u24_e32 v58, 0x10001, v58
	v_mul_u32_u24_e32 v148, 0x10001, v148
	v_pk_fma_f16 v115, v2, v57, v117
	v_pk_fma_f16 v0, v2, v147, v0
	;; [unrolled: 1-line block ×4, first 2 shown]
	s_wait_dscnt 0x15
	v_lshrrev_b32_e32 v150, 16, v52
	v_and_b32_e32 v52, 0xffff, v52
	v_mul_u32_u24_e32 v59, 0x10001, v59
	v_mul_u32_u24_e32 v149, 0x10001, v149
	s_wait_dscnt 0x12
	v_pk_fma_f16 v56, v4, v58, v115
	v_pk_fma_f16 v0, v4, v148, v0
	v_pk_fma_f16 v2, v5, v58, v2
	v_pk_fma_f16 v1, v5, v148, v1
	v_lshrrev_b32_e32 v151, 16, v53
	v_and_b32_e32 v53, 0xffff, v53
	v_mul_u32_u24_e32 v52, 0x10001, v52
	v_mul_u32_u24_e32 v150, 0x10001, v150
	v_pk_fma_f16 v5, v6, v59, v56
	v_pk_fma_f16 v0, v6, v149, v0
	v_pk_fma_f16 v2, v7, v59, v2
	v_pk_fma_f16 v1, v7, v149, v1
	v_lshrrev_b32_e32 v152, 16, v54
	v_and_b32_e32 v54, 0xffff, v54
	v_mul_u32_u24_e32 v53, 0x10001, v53
	v_mul_u32_u24_e32 v151, 0x10001, v151
	s_wait_dscnt 0x11
	v_pk_fma_f16 v5, v8, v52, v5
	v_pk_fma_f16 v0, v8, v150, v0
	v_pk_fma_f16 v2, v9, v52, v2
	v_pk_fma_f16 v1, v9, v150, v1
	v_lshrrev_b32_e32 v153, 16, v55
	v_and_b32_e32 v55, 0xffff, v55
	v_mul_u32_u24_e32 v54, 0x10001, v54
	v_mul_u32_u24_e32 v152, 0x10001, v152
	v_pk_fma_f16 v5, v10, v53, v5
	v_pk_fma_f16 v0, v10, v151, v0
	v_pk_fma_f16 v2, v11, v53, v2
	v_pk_fma_f16 v1, v11, v151, v1
	;; [unrolled: 17-line block ×6, first 2 shown]
	s_wait_dscnt 0x8
	v_lshrrev_b32_e32 v162, 16, v119
	v_and_b32_e32 v119, 0xffff, v119
	v_mul_u32_u24_e32 v39, 0x10001, v39
	v_mul_u32_u24_e32 v161, 0x10001, v161
	v_pk_fma_f16 v5, v28, v38, v5
	v_pk_fma_f16 v0, v28, v160, v0
	v_pk_fma_f16 v2, v29, v38, v2
	v_pk_fma_f16 v1, v29, v160, v1
	v_lshrrev_b32_e32 v163, 16, v120
	v_and_b32_e32 v120, 0xffff, v120
	v_mul_u32_u24_e32 v119, 0x10001, v119
	v_mul_u32_u24_e32 v162, 0x10001, v162
	v_pk_fma_f16 v5, v30, v39, v5
	v_pk_fma_f16 v0, v30, v161, v0
	v_pk_fma_f16 v2, v31, v39, v2
	v_pk_fma_f16 v1, v31, v161, v1
	v_lshrrev_b32_e32 v164, 16, v121
	v_and_b32_e32 v121, 0xffff, v121
	v_mul_u32_u24_e32 v114, 0x10001, v120
	v_mul_u32_u24_e32 v3, 0x10001, v163
	v_pk_fma_f16 v5, v32, v119, v5
	v_pk_fma_f16 v0, v32, v162, v0
	v_pk_fma_f16 v2, v33, v119, v2
	v_pk_fma_f16 v1, v33, v162, v1
	v_lshrrev_b32_e32 v165, 16, v122
	v_and_b32_e32 v122, 0xffff, v122
	v_mul_u32_u24_e32 v4, 0x10001, v121
	v_mul_u32_u24_e32 v6, 0x10001, v164
	v_pk_fma_f16 v5, v34, v114, v5
	v_pk_fma_f16 v0, v34, v3, v0
	v_pk_fma_f16 v2, v35, v114, v2
	v_pk_fma_f16 v1, v35, v3, v1
	s_wait_dscnt 0x7
	v_lshrrev_b32_e32 v166, 16, v123
	v_and_b32_e32 v123, 0xffff, v123
	v_mul_u32_u24_e32 v7, 0x10001, v122
	v_mul_u32_u24_e32 v8, 0x10001, v165
	v_pk_fma_f16 v5, v40, v4, v5
	v_pk_fma_f16 v0, v40, v6, v0
	v_pk_fma_f16 v2, v41, v4, v2
	v_pk_fma_f16 v1, v41, v6, v1
	v_lshrrev_b32_e32 v167, 16, v124
	v_and_b32_e32 v124, 0xffff, v124
	v_mul_u32_u24_e32 v9, 0x10001, v123
	v_mul_u32_u24_e32 v10, 0x10001, v166
	v_pk_fma_f16 v5, v42, v7, v5
	v_pk_fma_f16 v0, v42, v8, v0
	v_pk_fma_f16 v2, v43, v7, v2
	v_pk_fma_f16 v1, v43, v8, v1
	v_lshrrev_b32_e32 v168, 16, v125
	v_and_b32_e32 v125, 0xffff, v125
	v_mul_u32_u24_e32 v11, 0x10001, v124
	v_mul_u32_u24_e32 v12, 0x10001, v167
	v_pk_fma_f16 v5, v48, v9, v5
	v_pk_fma_f16 v0, v48, v10, v0
	v_pk_fma_f16 v2, v49, v9, v2
	v_pk_fma_f16 v1, v49, v10, v1
	v_lshrrev_b32_e32 v169, 16, v126
	v_and_b32_e32 v126, 0xffff, v126
	v_mul_u32_u24_e32 v13, 0x10001, v125
	v_mul_u32_u24_e32 v14, 0x10001, v168
	v_pk_fma_f16 v5, v50, v11, v5
	v_pk_fma_f16 v0, v50, v12, v0
	v_pk_fma_f16 v2, v51, v11, v2
	v_pk_fma_f16 v1, v51, v12, v1
	;; [unrolled: 33-line block ×3, first 2 shown]
	s_wait_dscnt 0x3
	v_lshrrev_b32_e32 v174, 16, v131
	v_and_b32_e32 v131, 0xffff, v131
	v_mul_u32_u24_e32 v7, 0x10001, v130
	v_mul_u32_u24_e32 v8, 0x10001, v173
	s_wait_dscnt 0x2
	v_pk_fma_f16 v5, v135, v4, v5
	v_pk_fma_f16 v0, v135, v6, v0
	;; [unrolled: 1-line block ×4, first 2 shown]
	s_wait_loadcnt_dscnt 0x0
	s_barrier_signal -1
	s_barrier_wait -1
	global_inv scope:SCOPE_SE
	s_load_b32 s11, s[24:25], 0x4
	v_lshrrev_b32_e32 v175, 16, v132
	v_and_b32_e32 v132, 0xffff, v132
	v_mul_u32_u24_e32 v9, 0x10001, v131
	v_mul_u32_u24_e32 v10, 0x10001, v174
	v_pk_fma_f16 v5, v137, v7, v5
	v_pk_fma_f16 v0, v137, v8, v0
	v_pk_fma_f16 v2, v138, v7, v2
	v_pk_fma_f16 v1, v138, v8, v1
	v_lshrrev_b32_e32 v176, 16, v133
	v_and_b32_e32 v133, 0xffff, v133
	v_mul_u32_u24_e32 v11, 0x10001, v132
	v_mul_u32_u24_e32 v3, 0x10001, v175
	v_pk_fma_f16 v5, v139, v9, v5
	v_pk_fma_f16 v0, v139, v10, v0
	v_pk_fma_f16 v2, v140, v9, v2
	v_pk_fma_f16 v1, v140, v10, v1
	;; [unrolled: 8-line block ×3, first 2 shown]
	v_mul_u32_u24_e32 v7, 0x10001, v134
	v_mul_u32_u24_e32 v3, 0x10001, v177
	v_pk_fma_f16 v5, v143, v4, v5
	v_pk_fma_f16 v0, v143, v6, v0
	;; [unrolled: 1-line block ×4, first 2 shown]
	s_wait_kmcnt 0x0
	s_lshl_b32 s11, s11, 6
	v_pk_fma_f16 v49, v145, v7, v5
	v_pk_fma_f16 v48, v145, v3, v0
	;; [unrolled: 1-line block ×4, first 2 shown]
	s_wait_alu 0xfffe
	s_add_co_i32 s10, s11, s10
	s_wait_alu 0xfffe
	s_cmp_ge_i32 s10, s28
	s_cbranch_scc1 .LBB78_27
; %bb.26:                               ;   in Loop: Header=BB78_9 Depth=1
	v_dual_mov_b32 v20, v87 :: v_dual_mov_b32 v19, v88
	v_mov_b32_e32 v18, v112
	v_mov_b32_e32 v50, v113
	s_branch .LBB78_9
.LBB78_27:
	v_mov_b32_e32 v4, v92
.LBB78_28:
	v_cmp_lt_i32_e32 vcc_lo, v111, v93
	s_cmp_lg_u64 s[12:13], 0
	s_cselect_b32 s3, -1, 0
	s_cmp_eq_u32 s4, 0
	s_wait_alu 0xfffd
	v_cndmask_b32_e32 v0, v4, v111, vcc_lo
	v_cmp_lt_i32_e32 vcc_lo, v107, v93
	s_cselect_b32 s5, -1, 0
	s_wait_alu 0xfffe
	s_and_b32 s3, s5, s3
	s_wait_alu 0xfffd
	v_cndmask_b32_e32 v2, v4, v107, vcc_lo
	v_cmp_lt_i32_e32 vcc_lo, v108, v93
	s_wait_alu 0xfffd
	s_delay_alu instid0(VALU_DEP_2) | instskip(SKIP_1) | instid1(VALU_DEP_2)
	v_dual_cndmask_b32 v5, v4, v108 :: v_dual_lshlrev_b32 v2, 2, v2
	v_cmp_lt_i32_e32 vcc_lo, v109, v93
	v_lshlrev_b32_e32 v5, 2, v5
	v_lshlrev_b32_e32 v0, 2, v0
	ds_bpermute_b32 v1, v0, v112
	s_wait_dscnt 0x0
	v_add_f32_e32 v1, v112, v1
	ds_bpermute_b32 v0, v0, v113
	ds_bpermute_b32 v3, v2, v1
	s_wait_dscnt 0x1
	v_add_f32_e32 v0, v113, v0
	ds_bpermute_b32 v2, v2, v0
	s_wait_dscnt 0x0
	v_dual_add_f32 v1, v1, v3 :: v_dual_add_f32 v0, v0, v2
	ds_bpermute_b32 v2, v5, v1
	ds_bpermute_b32 v3, v5, v0
	s_wait_alu 0xfffd
	v_cndmask_b32_e32 v5, v4, v109, vcc_lo
	v_cmp_lt_i32_e32 vcc_lo, v110, v93
	s_delay_alu instid0(VALU_DEP_2)
	v_lshlrev_b32_e32 v5, 2, v5
	s_wait_dscnt 0x0
	v_dual_add_f32 v1, v1, v2 :: v_dual_add_f32 v0, v0, v3
	ds_bpermute_b32 v2, v5, v1
	ds_bpermute_b32 v3, v5, v0
	s_wait_dscnt 0x0
	v_dual_add_f32 v1, v1, v2 :: v_dual_add_f32 v2, v0, v3
	s_wait_alu 0xfffd
	v_cndmask_b32_e32 v4, v4, v110, vcc_lo
	s_wait_alu 0xfffe
	s_and_b32 vcc_lo, exec_lo, s3
	s_delay_alu instid0(VALU_DEP_1)
	v_lshlrev_b32_e32 v4, 2, v4
	ds_bpermute_b32 v0, v4, v1
	ds_bpermute_b32 v3, v4, v2
	s_wait_dscnt 0x0
	v_dual_add_f32 v0, v1, v0 :: v_dual_add_f32 v1, v2, v3
	s_wait_alu 0xfffe
	s_cbranch_vccz .LBB78_31
; %bb.29:
	v_add_nc_u32_e32 v2, s33, v89
	s_delay_alu instid0(VALU_DEP_1) | instskip(NEXT) | instid1(VALU_DEP_1)
	v_ashrrev_i32_e32 v3, 31, v2
	v_lshlrev_b64_e32 v[2:3], 2, v[2:3]
	s_delay_alu instid0(VALU_DEP_1) | instskip(SKIP_1) | instid1(VALU_DEP_2)
	v_add_co_u32 v2, vcc_lo, s12, v2
	s_wait_alu 0xfffd
	v_add_co_ci_u32_e64 v3, null, s13, v3, vcc_lo
	global_load_b64 v[2:3], v[2:3], off
	v_max_num_f32_e32 v4, v87, v87
	s_wait_loadcnt 0x0
	v_dual_max_num_f32 v6, v88, v88 :: v_dual_max_num_f32 v5, v2, v2
	s_delay_alu instid0(VALU_DEP_1) | instskip(NEXT) | instid1(VALU_DEP_1)
	v_dual_max_num_f32 v7, v3, v3 :: v_dual_max_num_f32 v4, v4, v5
	v_dual_max_num_f32 v5, v6, v7 :: v_dual_sub_f32 v6, v87, v4
	s_delay_alu instid0(VALU_DEP_1) | instskip(SKIP_2) | instid1(VALU_DEP_4)
	v_sub_f32_e32 v7, v88, v5
	v_dual_sub_f32 v3, v3, v5 :: v_dual_sub_f32 v2, v2, v4
	v_mov_b32_e32 v88, v5
	v_cmp_ngt_f32_e32 vcc_lo, 0xc2ce8ed0, v6
	s_delay_alu instid0(VALU_DEP_4) | instskip(NEXT) | instid1(VALU_DEP_4)
	v_mul_f32_e32 v10, 0x3fb8aa3b, v7
	v_mul_f32_e32 v11, 0x3fb8aa3b, v3
	;; [unrolled: 1-line block ×3, first 2 shown]
	v_mov_b32_e32 v87, v4
	s_delay_alu instid0(VALU_DEP_4) | instskip(NEXT) | instid1(VALU_DEP_4)
	v_rndne_f32_e32 v18, v10
	v_fma_f32 v20, 0x3fb8aa3b, v3, -v11
	s_delay_alu instid0(VALU_DEP_4) | instskip(SKIP_4) | instid1(VALU_DEP_4)
	v_fma_f32 v14, 0x3fb8aa3b, v2, -v9
	v_rndne_f32_e32 v19, v9
	v_mul_f32_e32 v8, 0x3fb8aa3b, v6
	v_rndne_f32_e32 v21, v11
	v_fma_f32 v15, 0x3fb8aa3b, v7, -v10
	v_dual_sub_f32 v10, v10, v18 :: v_dual_sub_f32 v9, v9, v19
	s_delay_alu instid0(VALU_DEP_4) | instskip(NEXT) | instid1(VALU_DEP_4)
	v_rndne_f32_e32 v13, v8
	v_dual_fmac_f32 v20, 0x32a5705f, v3 :: v_dual_sub_f32 v11, v11, v21
	v_fmac_f32_e32 v14, 0x32a5705f, v2
	v_fma_f32 v12, 0x3fb8aa3b, v6, -v8
	v_fmac_f32_e32 v15, 0x32a5705f, v7
	s_delay_alu instid0(VALU_DEP_4) | instskip(NEXT) | instid1(VALU_DEP_4)
	v_dual_add_f32 v11, v11, v20 :: v_dual_sub_f32 v8, v8, v13
	v_add_f32_e32 v9, v9, v14
	s_delay_alu instid0(VALU_DEP_4) | instskip(SKIP_1) | instid1(VALU_DEP_4)
	v_fmac_f32_e32 v12, 0x32a5705f, v6
	v_cvt_i32_f32_e32 v14, v19
	v_exp_f32_e32 v11, v11
	s_delay_alu instid0(VALU_DEP_3) | instskip(NEXT) | instid1(VALU_DEP_2)
	v_exp_f32_e32 v9, v9
	v_add_f32_e32 v8, v8, v12
	v_cvt_i32_f32_e32 v12, v13
	v_cvt_i32_f32_e32 v13, v18
	s_delay_alu instid0(VALU_DEP_3) | instskip(NEXT) | instid1(TRANS32_DEP_2)
	v_exp_f32_e32 v8, v8
	v_ldexp_f32 v9, v9, v14
	v_add_f32_e32 v10, v10, v15
	s_delay_alu instid0(VALU_DEP_1) | instskip(NEXT) | instid1(TRANS32_DEP_2)
	v_exp_f32_e32 v10, v10
	v_ldexp_f32 v8, v8, v12
	v_cvt_i32_f32_e32 v12, v21
	s_wait_alu 0xfffd
	s_delay_alu instid0(VALU_DEP_2) | instskip(SKIP_1) | instid1(TRANS32_DEP_1)
	v_cndmask_b32_e32 v8, 0, v8, vcc_lo
	v_cmp_ngt_f32_e32 vcc_lo, 0xc2ce8ed0, v7
	v_ldexp_f32 v10, v10, v13
	s_wait_alu 0xfffd
	s_delay_alu instid0(VALU_DEP_1)
	v_cndmask_b32_e32 v10, 0, v10, vcc_lo
	v_cmp_nlt_f32_e32 vcc_lo, 0x42b17218, v6
	s_wait_alu 0xfffd
	v_cndmask_b32_e32 v6, 0x7f800000, v8, vcc_lo
	v_cmp_nlt_f32_e32 vcc_lo, 0x42b17218, v7
	v_ldexp_f32 v8, v11, v12
	s_wait_alu 0xfffd
	v_cndmask_b32_e32 v7, 0x7f800000, v10, vcc_lo
	v_cmp_ngt_f32_e32 vcc_lo, 0xc2ce8ed0, v2
	s_delay_alu instid0(VALU_DEP_2)
	v_cvt_f16_f32_e32 v11, v7
	s_wait_alu 0xfffd
	v_cndmask_b32_e32 v9, 0, v9, vcc_lo
	v_cmp_ngt_f32_e32 vcc_lo, 0xc2ce8ed0, v3
	s_wait_alu 0xfffd
	v_cndmask_b32_e32 v8, 0, v8, vcc_lo
	v_cmp_nlt_f32_e32 vcc_lo, 0x42b17218, v2
	s_wait_alu 0xfffd
	v_cndmask_b32_e32 v2, 0x7f800000, v9, vcc_lo
	v_cmp_nlt_f32_e32 vcc_lo, 0x42b17218, v3
	s_wait_alu 0xfffd
	v_cndmask_b32_e32 v3, 0x7f800000, v8, vcc_lo
	s_delay_alu instid0(VALU_DEP_1) | instskip(NEXT) | instid1(VALU_DEP_1)
	v_fmac_f32_e32 v3, v1, v7
	v_mov_b32_e32 v1, v3
	v_cvt_f16_f32_e32 v10, v6
	v_fmac_f32_e32 v2, v0, v6
	s_delay_alu instid0(VALU_DEP_2) | instskip(SKIP_1) | instid1(VALU_DEP_3)
	v_and_b32_e32 v9, 0xffff, v10
	v_and_b32_e32 v10, 0xffff, v11
	v_mov_b32_e32 v0, v2
	s_delay_alu instid0(VALU_DEP_3) | instskip(NEXT) | instid1(VALU_DEP_3)
	v_mul_u32_u24_e32 v6, 0x10001, v9
	v_mul_u32_u24_e32 v4, 0x10001, v10
	s_delay_alu instid0(VALU_DEP_2) | instskip(SKIP_1) | instid1(VALU_DEP_3)
	v_pk_mul_f16 v49, v49, v6
	v_pk_mul_f16 v17, v17, v6
	;; [unrolled: 1-line block ×4, first 2 shown]
	s_mov_b32 s3, exec_lo
	v_cmpx_gt_i32_e64 s22, v68
	s_cbranch_execnz .LBB78_32
.LBB78_30:
	s_nop 0
	s_sendmsg sendmsg(MSG_DEALLOC_VGPRS)
	s_endpgm
.LBB78_31:
	s_delay_alu instid0(VALU_DEP_1)
	v_dual_mov_b32 v3, v1 :: v_dual_mov_b32 v2, v0
	s_mov_b32 s3, exec_lo
	v_cmpx_gt_i32_e64 s22, v68
	s_cbranch_execz .LBB78_30
.LBB78_32:
	s_load_b32 s1, s[0:1], 0xd4
	v_mov_b32_e32 v6, 1.0
	s_wait_kmcnt 0x0
	s_cmp_lg_u32 s1, 1
	s_cselect_b32 s5, -1, 0
	s_cmp_eq_u32 s1, 1
	s_cselect_b32 s3, -1, 0
	s_wait_alu 0xfffe
	s_and_b32 vcc_lo, exec_lo, s5
	s_wait_alu 0xfffe
	s_cbranch_vccnz .LBB78_34
; %bb.33:
	v_div_scale_f32 v4, null, v0, v0, 1.0
	s_delay_alu instid0(VALU_DEP_1) | instskip(NEXT) | instid1(TRANS32_DEP_1)
	v_rcp_f32_e32 v5, v4
	v_fma_f32 v6, -v4, v5, 1.0
	s_delay_alu instid0(VALU_DEP_1) | instskip(SKIP_1) | instid1(VALU_DEP_1)
	v_fmac_f32_e32 v5, v6, v5
	v_div_scale_f32 v6, vcc_lo, 1.0, v0, 1.0
	v_mul_f32_e32 v7, v6, v5
	s_delay_alu instid0(VALU_DEP_1) | instskip(NEXT) | instid1(VALU_DEP_1)
	v_fma_f32 v8, -v4, v7, v6
	v_fmac_f32_e32 v7, v8, v5
	s_delay_alu instid0(VALU_DEP_1) | instskip(SKIP_1) | instid1(VALU_DEP_1)
	v_fma_f32 v4, -v4, v7, v6
	s_wait_alu 0xfffd
	v_div_fmas_f32 v4, v4, v5, v7
	s_delay_alu instid0(VALU_DEP_1)
	v_div_fixup_f32 v6, v4, v0, 1.0
.LBB78_34:
	v_mad_co_u64_u32 v[4:5], null, s2, s22, v[68:69]
	v_cvt_f32_f16_e32 v9, v49
	v_mov_b32_e32 v8, 0
	v_cvt_f32_f16_e32 v10, v17
	v_cmp_eq_u32_e32 vcc_lo, 0, v69
	v_mul_lo_u32 v0, v4, s23
	s_delay_alu instid0(VALU_DEP_1) | instskip(NEXT) | instid1(VALU_DEP_1)
	v_add3_u32 v0, s33, v89, v0
	v_mad_co_u64_u32 v[4:5], null, s1, v0, s[4:5]
	v_lshrrev_b32_e32 v5, 16, v17
	v_lshrrev_b32_e32 v0, 16, v49
	s_delay_alu instid0(VALU_DEP_2) | instskip(NEXT) | instid1(VALU_DEP_4)
	v_cvt_f32_f16_e32 v5, v5
	v_lshl_add_u32 v7, v4, 7, v90
	s_delay_alu instid0(VALU_DEP_3) | instskip(NEXT) | instid1(VALU_DEP_2)
	v_cvt_f32_f16_e32 v0, v0
	v_lshlrev_b64_e32 v[11:12], 2, v[7:8]
	v_mul_f32_e32 v7, v6, v9
	v_mul_f32_e32 v9, v6, v10
	;; [unrolled: 1-line block ×4, first 2 shown]
	v_add_co_u32 v5, s0, s16, v11
	s_wait_alu 0xf1ff
	v_add_co_ci_u32_e64 v6, null, s17, v12, s0
	s_and_b32 s0, vcc_lo, s5
	global_store_b128 v[5:6], v[7:10], off
	s_wait_alu 0xfffe
	s_and_saveexec_b32 s2, s0
	s_cbranch_execz .LBB78_36
; %bb.35:
	v_ashrrev_i32_e32 v5, 31, v4
	v_dual_mov_b32 v7, v87 :: v_dual_mov_b32 v8, v2
	s_delay_alu instid0(VALU_DEP_2) | instskip(NEXT) | instid1(VALU_DEP_1)
	v_lshlrev_b64_e32 v[5:6], 3, v[4:5]
	v_add_co_u32 v5, vcc_lo, s18, v5
	s_wait_alu 0xfffd
	s_delay_alu instid0(VALU_DEP_2)
	v_add_co_ci_u32_e64 v6, null, s19, v6, vcc_lo
	global_store_b64 v[5:6], v[7:8], off
.LBB78_36:
	s_wait_alu 0xfffe
	s_or_b32 exec_lo, exec_lo, s2
	v_mov_b32_e32 v2, 1.0
	s_and_not1_b32 vcc_lo, exec_lo, s3
	s_wait_alu 0xfffe
	s_cbranch_vccnz .LBB78_38
; %bb.37:
	v_div_scale_f32 v0, null, v1, v1, 1.0
	s_delay_alu instid0(VALU_DEP_1) | instskip(NEXT) | instid1(TRANS32_DEP_1)
	v_rcp_f32_e32 v2, v0
	v_fma_f32 v5, -v0, v2, 1.0
	s_delay_alu instid0(VALU_DEP_1) | instskip(SKIP_1) | instid1(VALU_DEP_1)
	v_fmac_f32_e32 v2, v5, v2
	v_div_scale_f32 v5, vcc_lo, 1.0, v1, 1.0
	v_mul_f32_e32 v6, v5, v2
	s_delay_alu instid0(VALU_DEP_1) | instskip(NEXT) | instid1(VALU_DEP_1)
	v_fma_f32 v7, -v0, v6, v5
	v_fmac_f32_e32 v6, v7, v2
	s_delay_alu instid0(VALU_DEP_1) | instskip(SKIP_1) | instid1(VALU_DEP_1)
	v_fma_f32 v0, -v0, v6, v5
	s_wait_alu 0xfffd
	v_div_fmas_f32 v0, v0, v2, v6
	s_delay_alu instid0(VALU_DEP_1)
	v_div_fixup_f32 v2, v0, v1, 1.0
.LBB78_38:
	v_dual_mov_b32 v5, 0 :: v_dual_add_nc_u32 v0, s1, v4
	v_lshrrev_b32_e32 v1, 16, v48
	v_lshrrev_b32_e32 v6, 16, v16
	v_cvt_f32_f16_e32 v7, v48
	s_delay_alu instid0(VALU_DEP_4) | instskip(SKIP_3) | instid1(VALU_DEP_4)
	v_lshl_add_u32 v4, v0, 7, v90
	v_cvt_f32_f16_e32 v10, v16
	v_cvt_f32_f16_e32 v1, v1
	;; [unrolled: 1-line block ×3, first 2 shown]
	v_lshlrev_b64_e32 v[8:9], 2, v[4:5]
	v_mul_f32_e32 v4, v2, v7
	s_delay_alu instid0(VALU_DEP_4)
	v_mul_f32_e32 v5, v2, v1
	v_mul_f32_e32 v6, v2, v10
	v_mul_f32_e32 v7, v2, v11
	v_add_co_u32 v1, vcc_lo, s16, v8
	s_wait_alu 0xfffd
	v_add_co_ci_u32_e64 v2, null, s17, v9, vcc_lo
	global_store_b128 v[1:2], v[4:7], off
	s_and_b32 exec_lo, exec_lo, s0
	s_cbranch_execz .LBB78_30
; %bb.39:
	v_ashrrev_i32_e32 v1, 31, v0
	v_mov_b32_e32 v2, v88
	s_delay_alu instid0(VALU_DEP_2) | instskip(NEXT) | instid1(VALU_DEP_1)
	v_lshlrev_b64_e32 v[0:1], 3, v[0:1]
	v_add_co_u32 v0, vcc_lo, s18, v0
	s_wait_alu 0xfffd
	s_delay_alu instid0(VALU_DEP_2)
	v_add_co_ci_u32_e64 v1, null, s19, v1, vcc_lo
	global_store_b64 v[0:1], v[2:3], off
	s_nop 0
	s_sendmsg sendmsg(MSG_DEALLOC_VGPRS)
	s_endpgm
	.section	.rodata,"a",@progbits
	.p2align	6, 0x0
	.amdhsa_kernel _ZL15flash_attn_tileILi128ELi128ELi2ELi4ELb1EEvPKcS1_S1_S1_S1_PKiPfP15HIP_vector_typeIfLj2EEffffjfiS5_IjLj3EEiiiiiiiiiiiliiliiiiil
		.amdhsa_group_segment_fixed_size 12288
		.amdhsa_private_segment_fixed_size 0
		.amdhsa_kernarg_size 464
		.amdhsa_user_sgpr_count 2
		.amdhsa_user_sgpr_dispatch_ptr 0
		.amdhsa_user_sgpr_queue_ptr 0
		.amdhsa_user_sgpr_kernarg_segment_ptr 1
		.amdhsa_user_sgpr_dispatch_id 0
		.amdhsa_user_sgpr_private_segment_size 0
		.amdhsa_wavefront_size32 1
		.amdhsa_uses_dynamic_stack 0
		.amdhsa_enable_private_segment 0
		.amdhsa_system_sgpr_workgroup_id_x 1
		.amdhsa_system_sgpr_workgroup_id_y 1
		.amdhsa_system_sgpr_workgroup_id_z 1
		.amdhsa_system_sgpr_workgroup_info 0
		.amdhsa_system_vgpr_workitem_id 1
		.amdhsa_next_free_vgpr 192
		.amdhsa_next_free_sgpr 42
		.amdhsa_reserve_vcc 1
		.amdhsa_float_round_mode_32 0
		.amdhsa_float_round_mode_16_64 0
		.amdhsa_float_denorm_mode_32 3
		.amdhsa_float_denorm_mode_16_64 3
		.amdhsa_fp16_overflow 0
		.amdhsa_workgroup_processor_mode 1
		.amdhsa_memory_ordered 1
		.amdhsa_forward_progress 1
		.amdhsa_inst_pref_size 95
		.amdhsa_round_robin_scheduling 0
		.amdhsa_exception_fp_ieee_invalid_op 0
		.amdhsa_exception_fp_denorm_src 0
		.amdhsa_exception_fp_ieee_div_zero 0
		.amdhsa_exception_fp_ieee_overflow 0
		.amdhsa_exception_fp_ieee_underflow 0
		.amdhsa_exception_fp_ieee_inexact 0
		.amdhsa_exception_int_div_zero 0
	.end_amdhsa_kernel
	.section	.text._ZL15flash_attn_tileILi128ELi128ELi2ELi4ELb1EEvPKcS1_S1_S1_S1_PKiPfP15HIP_vector_typeIfLj2EEffffjfiS5_IjLj3EEiiiiiiiiiiiliiliiiiil,"axG",@progbits,_ZL15flash_attn_tileILi128ELi128ELi2ELi4ELb1EEvPKcS1_S1_S1_S1_PKiPfP15HIP_vector_typeIfLj2EEffffjfiS5_IjLj3EEiiiiiiiiiiiliiliiiiil,comdat
.Lfunc_end78:
	.size	_ZL15flash_attn_tileILi128ELi128ELi2ELi4ELb1EEvPKcS1_S1_S1_S1_PKiPfP15HIP_vector_typeIfLj2EEffffjfiS5_IjLj3EEiiiiiiiiiiiliiliiiiil, .Lfunc_end78-_ZL15flash_attn_tileILi128ELi128ELi2ELi4ELb1EEvPKcS1_S1_S1_S1_PKiPfP15HIP_vector_typeIfLj2EEffffjfiS5_IjLj3EEiiiiiiiiiiiliiliiiiil
                                        ; -- End function
	.set _ZL15flash_attn_tileILi128ELi128ELi2ELi4ELb1EEvPKcS1_S1_S1_S1_PKiPfP15HIP_vector_typeIfLj2EEffffjfiS5_IjLj3EEiiiiiiiiiiiliiliiiiil.num_vgpr, 192
	.set _ZL15flash_attn_tileILi128ELi128ELi2ELi4ELb1EEvPKcS1_S1_S1_S1_PKiPfP15HIP_vector_typeIfLj2EEffffjfiS5_IjLj3EEiiiiiiiiiiiliiliiiiil.num_agpr, 0
	.set _ZL15flash_attn_tileILi128ELi128ELi2ELi4ELb1EEvPKcS1_S1_S1_S1_PKiPfP15HIP_vector_typeIfLj2EEffffjfiS5_IjLj3EEiiiiiiiiiiiliiliiiiil.numbered_sgpr, 42
	.set _ZL15flash_attn_tileILi128ELi128ELi2ELi4ELb1EEvPKcS1_S1_S1_S1_PKiPfP15HIP_vector_typeIfLj2EEffffjfiS5_IjLj3EEiiiiiiiiiiiliiliiiiil.num_named_barrier, 0
	.set _ZL15flash_attn_tileILi128ELi128ELi2ELi4ELb1EEvPKcS1_S1_S1_S1_PKiPfP15HIP_vector_typeIfLj2EEffffjfiS5_IjLj3EEiiiiiiiiiiiliiliiiiil.private_seg_size, 0
	.set _ZL15flash_attn_tileILi128ELi128ELi2ELi4ELb1EEvPKcS1_S1_S1_S1_PKiPfP15HIP_vector_typeIfLj2EEffffjfiS5_IjLj3EEiiiiiiiiiiiliiliiiiil.uses_vcc, 1
	.set _ZL15flash_attn_tileILi128ELi128ELi2ELi4ELb1EEvPKcS1_S1_S1_S1_PKiPfP15HIP_vector_typeIfLj2EEffffjfiS5_IjLj3EEiiiiiiiiiiiliiliiiiil.uses_flat_scratch, 0
	.set _ZL15flash_attn_tileILi128ELi128ELi2ELi4ELb1EEvPKcS1_S1_S1_S1_PKiPfP15HIP_vector_typeIfLj2EEffffjfiS5_IjLj3EEiiiiiiiiiiiliiliiiiil.has_dyn_sized_stack, 0
	.set _ZL15flash_attn_tileILi128ELi128ELi2ELi4ELb1EEvPKcS1_S1_S1_S1_PKiPfP15HIP_vector_typeIfLj2EEffffjfiS5_IjLj3EEiiiiiiiiiiiliiliiiiil.has_recursion, 0
	.set _ZL15flash_attn_tileILi128ELi128ELi2ELi4ELb1EEvPKcS1_S1_S1_S1_PKiPfP15HIP_vector_typeIfLj2EEffffjfiS5_IjLj3EEiiiiiiiiiiiliiliiiiil.has_indirect_call, 0
	.section	.AMDGPU.csdata,"",@progbits
; Kernel info:
; codeLenInByte = 12104
; TotalNumSgprs: 44
; NumVgprs: 192
; ScratchSize: 0
; MemoryBound: 0
; FloatMode: 240
; IeeeMode: 1
; LDSByteSize: 12288 bytes/workgroup (compile time only)
; SGPRBlocks: 0
; VGPRBlocks: 23
; NumSGPRsForWavesPerEU: 44
; NumVGPRsForWavesPerEU: 192
; Occupancy: 8
; WaveLimiterHint : 1
; COMPUTE_PGM_RSRC2:SCRATCH_EN: 0
; COMPUTE_PGM_RSRC2:USER_SGPR: 2
; COMPUTE_PGM_RSRC2:TRAP_HANDLER: 0
; COMPUTE_PGM_RSRC2:TGID_X_EN: 1
; COMPUTE_PGM_RSRC2:TGID_Y_EN: 1
; COMPUTE_PGM_RSRC2:TGID_Z_EN: 1
; COMPUTE_PGM_RSRC2:TIDIG_COMP_CNT: 1
	.section	.text._ZL15flash_attn_tileILi128ELi128ELi1ELi4ELb1EEvPKcS1_S1_S1_S1_PKiPfP15HIP_vector_typeIfLj2EEffffjfiS5_IjLj3EEiiiiiiiiiiiliiliiiiil,"axG",@progbits,_ZL15flash_attn_tileILi128ELi128ELi1ELi4ELb1EEvPKcS1_S1_S1_S1_PKiPfP15HIP_vector_typeIfLj2EEffffjfiS5_IjLj3EEiiiiiiiiiiiliiliiiiil,comdat
	.globl	_ZL15flash_attn_tileILi128ELi128ELi1ELi4ELb1EEvPKcS1_S1_S1_S1_PKiPfP15HIP_vector_typeIfLj2EEffffjfiS5_IjLj3EEiiiiiiiiiiiliiliiiiil ; -- Begin function _ZL15flash_attn_tileILi128ELi128ELi1ELi4ELb1EEvPKcS1_S1_S1_S1_PKiPfP15HIP_vector_typeIfLj2EEffffjfiS5_IjLj3EEiiiiiiiiiiiliiliiiiil
	.p2align	8
	.type	_ZL15flash_attn_tileILi128ELi128ELi1ELi4ELb1EEvPKcS1_S1_S1_S1_PKiPfP15HIP_vector_typeIfLj2EEffffjfiS5_IjLj3EEiiiiiiiiiiiliiliiiiil,@function
_ZL15flash_attn_tileILi128ELi128ELi1ELi4ELb1EEvPKcS1_S1_S1_S1_PKiPfP15HIP_vector_typeIfLj2EEffffjfiS5_IjLj3EEiiiiiiiiiiiliiliiiiil: ; @_ZL15flash_attn_tileILi128ELi128ELi1ELi4ELb1EEvPKcS1_S1_S1_S1_PKiPfP15HIP_vector_typeIfLj2EEffffjfiS5_IjLj3EEiiiiiiiiiiiliiliiiiil
; %bb.0:
	s_clause 0x1
	s_load_b128 s[20:23], s[0:1], 0x5c
	s_load_b64 s[28:29], s[0:1], 0x80
	s_lshr_b32 s5, ttmp7, 16
	s_load_b64 s[36:37], s[0:1], 0xb8
	s_mov_b32 s35, 0
	s_mov_b64 s[30:31], 0
	s_wait_kmcnt 0x0
	s_ashr_i32 s2, s23, 31
	s_delay_alu instid0(SALU_CYCLE_1) | instskip(NEXT) | instid1(SALU_CYCLE_1)
	s_lshr_b32 s2, s2, 30
	s_add_co_i32 s2, s23, s2
	s_delay_alu instid0(SALU_CYCLE_1) | instskip(NEXT) | instid1(SALU_CYCLE_1)
	s_ashr_i32 s2, s2, 2
	s_cvt_f32_u32 s3, s2
	s_sub_co_i32 s4, 0, s2
	s_delay_alu instid0(SALU_CYCLE_2) | instskip(NEXT) | instid1(TRANS32_DEP_1)
	v_rcp_iflag_f32_e32 v1, s3
	v_readfirstlane_b32 s3, v1
	s_mul_f32 s3, s3, 0x4f7ffffe
	s_wait_alu 0xfffe
	s_delay_alu instid0(SALU_CYCLE_2) | instskip(SKIP_1) | instid1(SALU_CYCLE_2)
	s_cvt_u32_f32 s3, s3
	s_wait_alu 0xfffe
	s_mul_i32 s4, s4, s3
	s_delay_alu instid0(SALU_CYCLE_1) | instskip(NEXT) | instid1(SALU_CYCLE_1)
	s_mul_hi_u32 s4, s3, s4
	s_add_co_i32 s3, s3, s4
	s_wait_alu 0xfffe
	s_mul_hi_u32 s3, s5, s3
	s_wait_alu 0xfffe
	s_mul_i32 s4, s3, s2
	s_add_co_i32 s6, s3, 1
	s_sub_co_i32 s4, s5, s4
	s_delay_alu instid0(SALU_CYCLE_1)
	s_sub_co_i32 s7, s4, s2
	s_cmp_ge_u32 s4, s2
	s_cselect_b32 s3, s6, s3
	s_cselect_b32 s4, s7, s4
	s_wait_alu 0xfffe
	s_add_co_i32 s6, s3, 1
	s_cmp_ge_u32 s4, s2
	s_cselect_b32 s2, s6, s3
	s_abs_i32 s3, s29
	s_abs_i32 s8, s23
	s_wait_alu 0xfffe
	s_cvt_f32_u32 s4, s3
	s_sub_co_i32 s6, 0, s3
	s_lshl_b32 s5, s5, 2
	s_mul_i32 s7, s2, s23
	v_rcp_iflag_f32_e32 v1, s4
	s_sub_co_i32 s33, s5, s7
	s_xor_b32 s5, s23, s29
	s_wait_alu 0xfffe
	s_ashr_i32 s24, s5, 31
	s_delay_alu instid0(TRANS32_DEP_1) | instskip(SKIP_2) | instid1(SALU_CYCLE_2)
	v_readfirstlane_b32 s4, v1
	s_mul_f32 s4, s4, 0x4f7ffffe
	s_wait_alu 0xfffe
	s_cvt_u32_f32 s4, s4
	s_wait_alu 0xfffe
	s_delay_alu instid0(SALU_CYCLE_2) | instskip(NEXT) | instid1(SALU_CYCLE_1)
	s_mul_i32 s6, s6, s4
	s_mul_hi_u32 s6, s4, s6
	s_delay_alu instid0(SALU_CYCLE_1) | instskip(SKIP_4) | instid1(SALU_CYCLE_1)
	s_add_co_i32 s4, s4, s6
	s_wait_alu 0xfffe
	s_mul_hi_u32 s4, s8, s4
	s_wait_alu 0xfffe
	s_mul_i32 s6, s4, s3
	s_sub_co_i32 s5, s8, s6
	s_add_co_i32 s6, s4, 1
	s_wait_alu 0xfffe
	s_sub_co_i32 s7, s5, s3
	s_cmp_ge_u32 s5, s3
	s_cselect_b32 s4, s6, s4
	s_cselect_b32 s5, s7, s5
	s_wait_alu 0xfffe
	s_add_co_i32 s6, s4, 1
	s_cmp_ge_u32 s5, s3
	s_cselect_b32 s3, s6, s4
	s_load_b512 s[4:19], s[0:1], 0x0
	s_xor_b32 s3, s3, s24
	s_wait_alu 0xfffe
	s_sub_co_i32 s38, s3, s24
	s_delay_alu instid0(SALU_CYCLE_1) | instskip(NEXT) | instid1(SALU_CYCLE_1)
	s_abs_i32 s29, s38
	s_cvt_f32_u32 s3, s29
	s_wait_alu 0xfffe
	s_delay_alu instid0(SALU_CYCLE_2) | instskip(SKIP_2) | instid1(TRANS32_DEP_1)
	v_rcp_iflag_f32_e32 v1, s3
	s_wait_kmcnt 0x0
	s_cmp_eq_u64 s[10:11], 0
	v_readfirstlane_b32 s24, v1
	s_cbranch_scc1 .LBB79_2
; %bb.1:
	s_abs_i32 s3, s36
	s_wait_alu 0xfffe
	s_cvt_f32_u32 s25, s3
	s_sub_co_i32 s26, 0, s3
	s_delay_alu instid0(SALU_CYCLE_2) | instskip(NEXT) | instid1(TRANS32_DEP_1)
	v_rcp_iflag_f32_e32 v1, s25
	v_readfirstlane_b32 s25, v1
	s_mul_f32 s25, s25, 0x4f7ffffe
	s_wait_alu 0xfffe
	s_delay_alu instid0(SALU_CYCLE_2) | instskip(SKIP_1) | instid1(SALU_CYCLE_2)
	s_cvt_u32_f32 s25, s25
	s_wait_alu 0xfffe
	s_mul_i32 s26, s26, s25
	s_delay_alu instid0(SALU_CYCLE_1)
	s_mul_hi_u32 s30, s25, s26
	s_load_b64 s[26:27], s[0:1], 0xc8
	s_add_co_i32 s25, s25, s30
	s_wait_alu 0xfffe
	s_mul_hi_u32 s25, s2, s25
	s_wait_alu 0xfffe
	s_mul_i32 s25, s25, s3
	s_wait_alu 0xfffe
	s_sub_co_i32 s25, s2, s25
	s_wait_alu 0xfffe
	s_sub_co_i32 s30, s25, s3
	s_cmp_ge_u32 s25, s3
	s_cselect_b32 s25, s30, s25
	s_wait_alu 0xfffe
	s_sub_co_i32 s30, s25, s3
	s_cmp_ge_u32 s25, s3
	s_cselect_b32 s30, s30, s25
	s_delay_alu instid0(SALU_CYCLE_1) | instskip(SKIP_2) | instid1(SALU_CYCLE_1)
	s_ashr_i32 s31, s30, 31
	s_wait_kmcnt 0x0
	s_mul_u64 s[26:27], s[26:27], s[30:31]
	s_add_nc_u64 s[30:31], s[10:11], s[26:27]
.LBB79_2:
	v_lshrrev_b32_e32 v1, 10, v0
	s_load_b96 s[40:42], s[0:1], 0x70
	v_bfe_u32 v36, v0, 10, 2
	v_and_b32_e32 v17, 0x3ff, v0
	v_bfe_u32 v0, v0, 10, 10
	v_bfe_u32 v1, v1, 2, 8
	s_delay_alu instid0(VALU_DEP_3) | instskip(NEXT) | instid1(VALU_DEP_3)
	v_lshlrev_b32_e32 v38, 3, v17
	v_lshl_add_u32 v39, v0, 8, 0x2400
	s_delay_alu instid0(VALU_DEP_3) | instskip(NEXT) | instid1(VALU_DEP_1)
	v_add_nc_u32_e32 v16, ttmp9, v1
	v_mul_hi_u32 v1, s20, v16
	s_wait_kmcnt 0x0
	s_mov_b32 s20, s41
	s_mul_i32 s10, s33, s41
	s_delay_alu instid0(VALU_DEP_1) | instskip(SKIP_1) | instid1(VALU_DEP_1)
	v_add_nc_u32_e32 v1, v16, v1
	s_ashr_i32 s11, s10, 31
	v_lshrrev_b32_e32 v1, s21, v1
	s_ashr_i32 s21, s41, 31
	s_ashr_i32 s41, s40, 31
	s_wait_alu 0xfffe
	s_lshr_b64 s[26:27], s[20:21], 2
	s_lshr_b32 s3, s21, 2
	v_mul_lo_u32 v1, v1, s22
	v_mad_co_u64_u32 v[2:3], null, s26, v36, 0
	s_lshr_b64 s[26:27], s[40:41], 2
	s_mul_i32 s20, s2, s42
	s_wait_alu 0xfffe
	s_ashr_i32 s21, s20, 31
	s_wait_alu 0xfffe
	s_add_nc_u64 s[4:5], s[4:5], s[20:21]
	v_sub_nc_u32_e32 v1, v16, v1
	s_wait_alu 0xfffe
	s_add_nc_u64 s[4:5], s[4:5], s[10:11]
	s_delay_alu instid0(VALU_DEP_1) | instskip(NEXT) | instid1(VALU_DEP_1)
	v_mad_co_u64_u32 v[4:5], null, s26, v1, 0
	v_mad_co_u64_u32 v[6:7], null, s3, v36, v[3:4]
	s_lshr_b32 s3, s41, 2
	s_cmp_eq_u64 s[14:15], 0
	s_wait_alu 0xfffe
	v_mad_co_u64_u32 v[7:8], null, s3, v1, v[5:6]
	v_mov_b32_e32 v3, v6
	s_load_b32 s3, s[0:1], 0x40
	v_lshlrev_b32_e32 v6, 4, v17
	s_delay_alu instid0(VALU_DEP_2) | instskip(NEXT) | instid1(VALU_DEP_4)
	v_lshlrev_b64_e32 v[2:3], 2, v[2:3]
	v_mov_b32_e32 v5, v7
	s_delay_alu instid0(VALU_DEP_2) | instskip(NEXT) | instid1(VALU_DEP_2)
	v_add_co_u32 v2, vcc_lo, s4, v2
	v_lshlrev_b64_e32 v[4:5], 2, v[4:5]
	s_delay_alu instid0(VALU_DEP_4) | instskip(NEXT) | instid1(VALU_DEP_2)
	v_add_co_ci_u32_e64 v3, null, s5, v3, vcc_lo
	v_add_co_u32 v2, vcc_lo, v2, v4
	s_wait_alu 0xfffd
	s_delay_alu instid0(VALU_DEP_2) | instskip(NEXT) | instid1(VALU_DEP_2)
	v_add_co_ci_u32_e64 v3, null, v3, v5, vcc_lo
	v_add_co_u32 v2, vcc_lo, v2, v6
	s_wait_alu 0xfffd
	s_delay_alu instid0(VALU_DEP_2)
	v_add_co_ci_u32_e64 v3, null, 0, v3, vcc_lo
	v_add_nc_u32_e32 v6, v39, v38
	global_load_b128 v[2:5], v[2:3], off
	s_wait_loadcnt 0x0
	s_wait_kmcnt 0x0
	v_fma_mixlo_f16 v3, s3, v3, 0
	v_fma_mixlo_f16 v2, s3, v2, 0
	;; [unrolled: 1-line block ×4, first 2 shown]
	s_delay_alu instid0(VALU_DEP_4) | instskip(NEXT) | instid1(VALU_DEP_4)
	v_lshlrev_b32_e32 v3, 16, v3
	v_and_b32_e32 v2, 0xffff, v2
	s_delay_alu instid0(VALU_DEP_4) | instskip(NEXT) | instid1(VALU_DEP_4)
	v_and_b32_e32 v4, 0xffff, v4
	v_lshlrev_b32_e32 v5, 16, v5
	s_delay_alu instid0(VALU_DEP_3) | instskip(NEXT) | instid1(VALU_DEP_2)
	v_or_b32_e32 v2, v3, v2
	v_or3_b32 v3, v5, v4, 0
	s_delay_alu instid0(VALU_DEP_2)
	v_or3_b32 v2, 0, 0, v2
	ds_store_b64 v6, v[2:3]
	s_wait_dscnt 0x0
	s_barrier_signal -1
	s_barrier_wait -1
	global_inv scope:SCOPE_SE
	s_cbranch_scc1 .LBB79_4
; %bb.3:
	s_load_b32 s3, s[0:1], 0xd0
	s_mov_b32 s5, 0
	s_wait_kmcnt 0x0
	s_mul_i32 s3, s3, s2
	s_wait_alu 0xfffe
	s_add_co_i32 s4, s3, ttmp9
	s_wait_alu 0xfffe
	s_lshl_b64 s[4:5], s[4:5], 2
	s_wait_alu 0xfffe
	s_add_nc_u64 s[4:5], s[14:15], s[4:5]
	s_load_b32 s28, s[4:5], 0x0
.LBB79_4:
	s_and_b32 s4, ttmp7, 0xffff
	v_mbcnt_lo_u32_b32 v40, -1, 0
	s_wait_alu 0xfffe
	s_lshl_b32 s10, s4, 6
	s_wait_kmcnt 0x0
	s_cmp_lt_i32 s10, s28
	s_cbranch_scc1 .LBB79_7
; %bb.5:
	v_mbcnt_lo_u32_b32 v3, -1, 0
	v_mov_b32_e32 v2, 32
	s_delay_alu instid0(VALU_DEP_2)
	v_xor_b32_e32 v59, 16, v3
	v_xor_b32_e32 v58, 8, v3
	;; [unrolled: 1-line block ×5, first 2 shown]
	v_lshlrev_b32_e32 v37, 2, v17
	s_mov_b32 s3, 0
	s_cbranch_execz .LBB79_8
; %bb.6:
	v_dual_mov_b32 v56, 0 :: v_dual_mov_b32 v1, 0
	v_mov_b32_e32 v35, 0xfeffffff
	v_mov_b32_e32 v55, 0
	s_branch .LBB79_20
.LBB79_7:
                                        ; implicit-def: $vgpr3
                                        ; implicit-def: $vgpr2
                                        ; implicit-def: $vgpr59
                                        ; implicit-def: $vgpr58
                                        ; implicit-def: $vgpr60
                                        ; implicit-def: $vgpr61
                                        ; implicit-def: $vgpr62
	v_lshlrev_b32_e32 v37, 2, v17
	s_mov_b32 s3, 0
.LBB79_8:
	s_mul_f32 s5, s24, 0x4f7ffffe
	s_clause 0x1
	s_load_b128 s[24:27], s[0:1], 0x98
	s_load_b64 s[20:21], s[0:1], 0x8c
	s_sub_co_i32 s14, 0, s29
	s_abs_i32 s34, s33
	s_cvt_u32_f32 s11, s5
	s_load_b32 s5, s[0:1], 0x54
	s_mov_b32 s15, s35
	s_ashr_i32 s36, s33, 31
	s_mul_i32 s14, s14, s11
	v_lshrrev_b32_e32 v2, 3, v17
	s_mul_hi_u32 s14, s11, s14
	s_ashr_i32 s37, s37, 1
	s_add_co_i32 s14, s11, s14
	s_ashr_i32 s11, s38, 31
	s_load_b64 s[38:39], s[0:1], 0xa8
	s_mul_u64 s[14:15], s[34:35], s[14:15]
	s_xor_b32 s11, s36, s11
	s_mul_i32 s35, s15, s29
	s_add_co_i32 s36, s15, 1
	v_lshl_add_u32 v3, v0, 2, v2
	s_wait_kmcnt 0x0
	s_ashr_i32 s14, s26, 2
	s_sub_co_i32 s26, s34, s35
	s_ashr_i32 s20, s20, 2
	s_wait_alu 0xfffe
	s_sub_co_i32 s34, s26, s29
	s_cmp_ge_u32 s26, s29
	v_dual_mov_b32 v56, 0 :: v_dual_and_b32 v21, 28, v37
	s_cselect_b32 s15, s36, s15
	s_cselect_b32 s26, s34, s26
	s_add_co_i32 s34, s15, 1
	s_wait_alu 0xfffe
	s_cmp_ge_u32 s26, s29
	v_mul_lo_u32 v2, s20, v3
	s_cselect_b32 s15, s34, s15
	v_lshrrev_b32_e32 v5, 4, v17
	s_xor_b32 s15, s15, s11
	v_dual_mov_b32 v55, 0 :: v_dual_lshlrev_b32 v4, 2, v21
	s_mul_u64 s[24:25], s[24:25], s[2:3]
	s_mul_u64 s[34:35], s[38:39], s[2:3]
	s_sub_co_i32 s3, s15, s11
	s_wait_alu 0xfffe
	s_add_nc_u64 s[6:7], s[6:7], s[24:25]
	s_mul_i32 s24, s3, s21
	s_mul_i32 s26, s3, s27
	s_lshl_b32 s3, s20, 4
	v_lshl_add_u32 v9, v0, 1, v5
	v_mad_u32_u24 v41, 0x90, v3, v4
	s_wait_alu 0xfffe
	v_dual_mov_b32 v57, 0xfeffffff :: v_dual_add_nc_u32 v4, s3, v2
	v_and_b32_e32 v29, 60, v37
	v_mul_lo_u32 v8, s14, v9
	v_lshl_add_u32 v46, v0, 7, 0x2800
	s_delay_alu instid0(VALU_DEP_4)
	v_add_nc_u32_e32 v6, s3, v4
	v_ashrrev_i32_e32 v3, 31, v2
	v_lshlrev_b32_e32 v13, 2, v29
	v_ashrrev_i32_e32 v5, 31, v4
	v_mad_co_u64_u32 v[18:19], null, v1, s37, v[17:18]
	v_add_nc_u32_e32 v10, s3, v6
	s_lshl_b32 s3, s14, 3
	v_ashrrev_i32_e32 v7, 31, v6
	s_wait_alu 0xfffe
	v_add_nc_u32_e32 v12, s3, v8
	v_lshl_or_b32 v47, v9, 8, v13
	v_ashrrev_i32_e32 v11, 31, v10
	v_ashrrev_i32_e32 v9, 31, v8
	v_lshlrev_b64_e32 v[19:20], 2, v[2:3]
	v_add_nc_u32_e32 v0, s3, v12
	v_ashrrev_i32_e32 v13, 31, v12
	v_lshlrev_b32_e32 v52, 2, v21
	v_lshlrev_b64_e32 v[21:22], 2, v[4:5]
	v_lshlrev_b64_e32 v[23:24], 2, v[6:7]
	v_add_nc_u32_e32 v14, s3, v0
	v_ashrrev_i32_e32 v1, 31, v0
	v_lshlrev_b64_e32 v[25:26], 2, v[10:11]
	v_lshlrev_b64_e32 v[27:28], 2, v[8:9]
	v_lshlrev_b32_e32 v53, 2, v29
	v_ashrrev_i32_e32 v15, 31, v14
	v_lshlrev_b64_e32 v[29:30], 2, v[12:13]
	v_lshlrev_b64_e32 v[31:32], 2, v[0:1]
	v_add_nc_u32_e32 v42, 0x900, v41
	v_dual_mov_b32 v54, 0 :: v_dual_add_nc_u32 v43, 0x1200, v41
	v_lshlrev_b64_e32 v[33:34], 2, v[14:15]
	v_add_nc_u32_e32 v44, 0x1b00, v41
	v_mul_u32_u24_e32 v45, 0x90, v17
	v_lshl_add_u32 v48, v17, 1, v46
	v_add_nc_u32_e32 v49, 0x800, v47
	v_add_nc_u32_e32 v50, 0x1000, v47
	;; [unrolled: 1-line block ×3, first 2 shown]
	s_add_nc_u64 s[8:9], s[8:9], s[34:35]
	s_ashr_i32 s25, s24, 31
	s_ashr_i32 s27, s26, 31
	s_wait_alu 0xfffe
	s_add_nc_u64 s[6:7], s[6:7], s[24:25]
	s_add_nc_u64 s[8:9], s[8:9], s[26:27]
	s_ashr_i32 s21, s20, 31
	s_ashr_i32 s15, s14, 31
	s_add_nc_u64 s[24:25], s[0:1], 0xd0
	s_mov_b32 s3, 0xbbbac73d
.LBB79_9:                               ; =>This Inner Loop Header: Depth=1
	s_ashr_i32 s11, s10, 31
	v_dual_mov_b32 v35, 0 :: v_dual_mov_b32 v58, 0
	s_wait_alu 0xfffe
	s_mul_u64 s[26:27], s[10:11], s[20:21]
	s_wait_alu 0xfffe
	s_lshl_b64 s[26:27], s[26:27], 2
	s_wait_alu 0xfffe
	s_add_nc_u64 s[26:27], s[6:7], s[26:27]
	s_wait_alu 0xfffe
	v_add_co_u32 v0, vcc_lo, s26, v19
	s_wait_alu 0xfffd
	v_add_co_ci_u32_e64 v1, null, s27, v20, vcc_lo
	v_add_co_u32 v2, vcc_lo, s26, v21
	s_wait_alu 0xfffd
	v_add_co_ci_u32_e64 v3, null, s27, v22, vcc_lo
	;; [unrolled: 3-line block ×8, first 2 shown]
	s_clause 0x3
	global_load_b128 v[0:3], v[59:60], off
	global_load_b128 v[4:7], v[61:62], off
	;; [unrolled: 1-line block ×4, first 2 shown]
	s_wait_loadcnt 0x3
	ds_store_b128 v41, v[0:3]
	s_wait_loadcnt 0x2
	ds_store_b128 v42, v[4:7]
	;; [unrolled: 2-line block ×4, first 2 shown]
	s_wait_dscnt 0x0
	s_barrier_signal -1
	s_barrier_wait -1
	global_inv scope:SCOPE_SE
	ds_load_b128 v[0:3], v45
	ds_load_b128 v[4:7], v39
	ds_load_b128 v[8:11], v45 offset:4608
	s_wait_dscnt 0x1
	;;#ASMSTART
	v_dot2_f32_f16 v35, v0, v4, v35
	;;#ASMEND
	;;#ASMSTART
	v_dot2_f32_f16 v35, v1, v5, v35
	;;#ASMEND
	;;#ASMSTART
	v_dot2_f32_f16 v35, v2, v6, v35
	;;#ASMEND
	;;#ASMSTART
	v_dot2_f32_f16 v35, v3, v7, v35
	;;#ASMEND
	s_wait_dscnt 0x0
	;;#ASMSTART
	v_dot2_f32_f16 v58, v8, v4, v58
	;;#ASMEND
	;;#ASMSTART
	v_dot2_f32_f16 v58, v9, v5, v58
	;;#ASMEND
	;;#ASMSTART
	v_dot2_f32_f16 v58, v10, v6, v58
	;;#ASMEND
	;;#ASMSTART
	v_dot2_f32_f16 v58, v11, v7, v58
	;;#ASMEND
	ds_load_b128 v[0:3], v45 offset:16
	ds_load_b128 v[4:7], v39 offset:16
	ds_load_b128 v[8:11], v45 offset:4624
	s_wait_dscnt 0x1
	;;#ASMSTART
	v_dot2_f32_f16 v35, v0, v4, v35
	;;#ASMEND
	;;#ASMSTART
	v_dot2_f32_f16 v35, v1, v5, v35
	;;#ASMEND
	;;#ASMSTART
	v_dot2_f32_f16 v35, v2, v6, v35
	;;#ASMEND
	;;#ASMSTART
	v_dot2_f32_f16 v35, v3, v7, v35
	;;#ASMEND
	s_wait_dscnt 0x0
	;;#ASMSTART
	v_dot2_f32_f16 v58, v8, v4, v58
	;;#ASMEND
	;;#ASMSTART
	v_dot2_f32_f16 v58, v9, v5, v58
	;;#ASMEND
	;;#ASMSTART
	v_dot2_f32_f16 v58, v10, v6, v58
	;;#ASMEND
	;;#ASMSTART
	v_dot2_f32_f16 v58, v11, v7, v58
	;;#ASMEND
	ds_load_b128 v[0:3], v45 offset:32
	ds_load_b128 v[4:7], v39 offset:32
	;; [unrolled: 29-line block ×7, first 2 shown]
	ds_load_b128 v[8:11], v45 offset:4720
	s_wait_dscnt 0x1
	;;#ASMSTART
	v_dot2_f32_f16 v35, v0, v4, v35
	;;#ASMEND
	;;#ASMSTART
	v_dot2_f32_f16 v35, v1, v5, v35
	;;#ASMEND
	;; [unrolled: 3-line block ×4, first 2 shown]
	s_wait_dscnt 0x0
	;;#ASMSTART
	v_dot2_f32_f16 v58, v8, v4, v58
	;;#ASMEND
	;;#ASMSTART
	v_dot2_f32_f16 v58, v9, v5, v58
	;;#ASMEND
	;; [unrolled: 3-line block ×4, first 2 shown]
	s_wait_loadcnt 0x0
	s_barrier_signal -1
	s_barrier_wait -1
	global_inv scope:SCOPE_SE
	s_clause 0x3
	global_load_b128 v[0:3], v[59:60], off offset:128
	global_load_b128 v[4:7], v[61:62], off offset:128
	;; [unrolled: 1-line block ×4, first 2 shown]
                                        ; implicit-def: $vgpr59
	s_wait_loadcnt 0x3
	ds_store_b128 v41, v[0:3]
	s_wait_loadcnt 0x2
	ds_store_b128 v42, v[4:7]
	;; [unrolled: 2-line block ×4, first 2 shown]
	s_wait_dscnt 0x0
	s_barrier_signal -1
	s_barrier_wait -1
	global_inv scope:SCOPE_SE
	ds_load_b128 v[0:3], v45
	ds_load_b128 v[4:7], v39 offset:128
	ds_load_b128 v[8:11], v45 offset:4608
	s_wait_dscnt 0x1
	;;#ASMSTART
	v_dot2_f32_f16 v35, v0, v4, v35
	;;#ASMEND
	;;#ASMSTART
	v_dot2_f32_f16 v35, v1, v5, v35
	;;#ASMEND
	;;#ASMSTART
	v_dot2_f32_f16 v35, v2, v6, v35
	;;#ASMEND
	;;#ASMSTART
	v_dot2_f32_f16 v35, v3, v7, v35
	;;#ASMEND
	s_wait_dscnt 0x0
	;;#ASMSTART
	v_dot2_f32_f16 v58, v8, v4, v58
	;;#ASMEND
	;;#ASMSTART
	v_dot2_f32_f16 v58, v9, v5, v58
	;;#ASMEND
	;;#ASMSTART
	v_dot2_f32_f16 v58, v10, v6, v58
	;;#ASMEND
	;;#ASMSTART
	v_dot2_f32_f16 v58, v11, v7, v58
	;;#ASMEND
	ds_load_b128 v[0:3], v45 offset:16
	ds_load_b128 v[4:7], v39 offset:144
	ds_load_b128 v[8:11], v45 offset:4624
	s_wait_dscnt 0x1
	;;#ASMSTART
	v_dot2_f32_f16 v35, v0, v4, v35
	;;#ASMEND
	;;#ASMSTART
	v_dot2_f32_f16 v35, v1, v5, v35
	;;#ASMEND
	;;#ASMSTART
	v_dot2_f32_f16 v35, v2, v6, v35
	;;#ASMEND
	;;#ASMSTART
	v_dot2_f32_f16 v35, v3, v7, v35
	;;#ASMEND
	s_wait_dscnt 0x0
	;;#ASMSTART
	v_dot2_f32_f16 v58, v8, v4, v58
	;;#ASMEND
	;;#ASMSTART
	v_dot2_f32_f16 v58, v9, v5, v58
	;;#ASMEND
	;;#ASMSTART
	v_dot2_f32_f16 v58, v10, v6, v58
	;;#ASMEND
	;;#ASMSTART
	v_dot2_f32_f16 v58, v11, v7, v58
	;;#ASMEND
	ds_load_b128 v[0:3], v45 offset:32
	;; [unrolled: 29-line block ×7, first 2 shown]
	ds_load_b128 v[4:7], v39 offset:240
	ds_load_b128 v[8:11], v45 offset:4720
	s_wait_dscnt 0x1
	;;#ASMSTART
	v_dot2_f32_f16 v35, v0, v4, v35
	;;#ASMEND
	;;#ASMSTART
	v_dot2_f32_f16 v35, v1, v5, v35
	;;#ASMEND
	;; [unrolled: 3-line block ×4, first 2 shown]
	v_cmp_ngt_f32_e64 s26, 0x3f200000, |v35|
	s_wait_dscnt 0x0
	;;#ASMSTART
	v_dot2_f32_f16 v58, v8, v4, v58
	;;#ASMEND
	;;#ASMSTART
	v_dot2_f32_f16 v58, v9, v5, v58
	;;#ASMEND
	;; [unrolled: 3-line block ×4, first 2 shown]
	s_and_saveexec_b32 s27, s26
	s_wait_alu 0xfffe
	s_xor_b32 s26, exec_lo, s27
	s_cbranch_execz .LBB79_11
; %bb.10:                               ;   in Loop: Header=BB79_9 Depth=1
	v_add_f32_e64 v0, |v35|, |v35|
	s_delay_alu instid0(VALU_DEP_1) | instskip(SKIP_1) | instid1(VALU_DEP_2)
	v_mul_f32_e32 v1, 0x3fb8aa3b, v0
	v_cmp_ngt_f32_e32 vcc_lo, 0xc2ce8ed0, v0
	v_rndne_f32_e32 v2, v1
	v_fma_f32 v3, 0x3fb8aa3b, v0, -v1
	s_delay_alu instid0(VALU_DEP_2) | instskip(NEXT) | instid1(VALU_DEP_2)
	v_sub_f32_e32 v1, v1, v2
	v_fmac_f32_e32 v3, 0x32a5705f, v0
	v_cvt_i32_f32_e32 v2, v2
	s_delay_alu instid0(VALU_DEP_2) | instskip(NEXT) | instid1(VALU_DEP_1)
	v_add_f32_e32 v1, v1, v3
	v_exp_f32_e32 v1, v1
	s_delay_alu instid0(TRANS32_DEP_1) | instskip(SKIP_1) | instid1(VALU_DEP_1)
	v_ldexp_f32 v1, v1, v2
	s_wait_alu 0xfffd
	v_cndmask_b32_e32 v1, 0, v1, vcc_lo
	v_cmp_nlt_f32_e32 vcc_lo, 0x42b17218, v0
	s_wait_alu 0xfffd
	s_delay_alu instid0(VALU_DEP_2) | instskip(NEXT) | instid1(VALU_DEP_1)
	v_cndmask_b32_e32 v0, 0x7f800000, v1, vcc_lo
	v_add_f32_e32 v0, 1.0, v0
	s_delay_alu instid0(VALU_DEP_1) | instskip(NEXT) | instid1(TRANS32_DEP_1)
	v_rcp_f32_e32 v0, v0
	v_fma_f32 v59, v0, -2.0, 1.0
.LBB79_11:                              ;   in Loop: Header=BB79_9 Depth=1
	s_wait_alu 0xfffe
	s_and_not1_saveexec_b32 s26, s26
	s_cbranch_execz .LBB79_13
; %bb.12:                               ;   in Loop: Header=BB79_9 Depth=1
	v_mul_f32_e32 v0, v35, v35
	s_delay_alu instid0(VALU_DEP_1) | instskip(NEXT) | instid1(VALU_DEP_1)
	v_fmaak_f32 v1, s3, v0, 0x3ca908c9
	v_fmaak_f32 v1, v0, v1, 0xbd5c1c4e
	s_delay_alu instid0(VALU_DEP_1) | instskip(NEXT) | instid1(VALU_DEP_1)
	v_fmaak_f32 v1, v0, v1, 0x3e088382
	v_fmaak_f32 v1, v0, v1, 0xbeaaaa99
	s_delay_alu instid0(VALU_DEP_1) | instskip(NEXT) | instid1(VALU_DEP_1)
	v_mul_f32_e64 v1, |v35|, v1
	v_fma_f32 v59, v0, v1, |v35|
.LBB79_13:                              ;   in Loop: Header=BB79_9 Depth=1
	s_wait_alu 0xfffe
	s_or_b32 exec_lo, exec_lo, s26
	v_add_nc_u32_e32 v0, s10, v18
	v_cmp_ngt_f32_e64 s26, 0x3f200000, |v58|
                                        ; implicit-def: $vgpr61
	s_delay_alu instid0(VALU_DEP_2) | instskip(NEXT) | instid1(VALU_DEP_1)
	v_ashrrev_i32_e32 v1, 31, v0
	v_lshlrev_b64_e32 v[0:1], 1, v[0:1]
	s_delay_alu instid0(VALU_DEP_1) | instskip(SKIP_1) | instid1(VALU_DEP_2)
	v_add_co_u32 v0, vcc_lo, s30, v0
	s_wait_alu 0xfffd
	v_add_co_ci_u32_e64 v1, null, s31, v1, vcc_lo
	global_load_u16 v60, v[0:1], off
	s_and_saveexec_b32 s27, s26
	s_wait_alu 0xfffe
	s_xor_b32 s26, exec_lo, s27
	s_cbranch_execz .LBB79_15
; %bb.14:                               ;   in Loop: Header=BB79_9 Depth=1
	v_add_f32_e64 v2, |v58|, |v58|
	s_delay_alu instid0(VALU_DEP_1) | instskip(SKIP_1) | instid1(VALU_DEP_2)
	v_mul_f32_e32 v3, 0x3fb8aa3b, v2
	v_cmp_ngt_f32_e32 vcc_lo, 0xc2ce8ed0, v2
	v_rndne_f32_e32 v4, v3
	v_fma_f32 v5, 0x3fb8aa3b, v2, -v3
	s_delay_alu instid0(VALU_DEP_2) | instskip(NEXT) | instid1(VALU_DEP_2)
	v_sub_f32_e32 v3, v3, v4
	v_fmac_f32_e32 v5, 0x32a5705f, v2
	v_cvt_i32_f32_e32 v4, v4
	s_delay_alu instid0(VALU_DEP_2) | instskip(NEXT) | instid1(VALU_DEP_1)
	v_add_f32_e32 v3, v3, v5
	v_exp_f32_e32 v3, v3
	s_delay_alu instid0(TRANS32_DEP_1) | instskip(SKIP_1) | instid1(VALU_DEP_1)
	v_ldexp_f32 v3, v3, v4
	s_wait_alu 0xfffd
	v_cndmask_b32_e32 v3, 0, v3, vcc_lo
	v_cmp_nlt_f32_e32 vcc_lo, 0x42b17218, v2
	s_wait_alu 0xfffd
	s_delay_alu instid0(VALU_DEP_2) | instskip(NEXT) | instid1(VALU_DEP_1)
	v_cndmask_b32_e32 v2, 0x7f800000, v3, vcc_lo
	v_add_f32_e32 v2, 1.0, v2
	s_delay_alu instid0(VALU_DEP_1) | instskip(NEXT) | instid1(TRANS32_DEP_1)
	v_rcp_f32_e32 v2, v2
	v_fma_f32 v61, v2, -2.0, 1.0
.LBB79_15:                              ;   in Loop: Header=BB79_9 Depth=1
	s_wait_alu 0xfffe
	s_and_not1_saveexec_b32 s26, s26
	s_cbranch_execz .LBB79_17
; %bb.16:                               ;   in Loop: Header=BB79_9 Depth=1
	v_mul_f32_e32 v2, v58, v58
	s_delay_alu instid0(VALU_DEP_1) | instskip(NEXT) | instid1(VALU_DEP_1)
	v_fmaak_f32 v3, s3, v2, 0x3ca908c9
	v_fmaak_f32 v3, v2, v3, 0xbd5c1c4e
	s_delay_alu instid0(VALU_DEP_1) | instskip(NEXT) | instid1(VALU_DEP_1)
	v_fmaak_f32 v3, v2, v3, 0x3e088382
	v_fmaak_f32 v3, v2, v3, 0xbeaaaa99
	s_delay_alu instid0(VALU_DEP_1) | instskip(NEXT) | instid1(VALU_DEP_1)
	v_mul_f32_e64 v3, |v58|, v3
	v_fma_f32 v61, v2, v3, |v58|
.LBB79_17:                              ;   in Loop: Header=BB79_9 Depth=1
	s_wait_alu 0xfffe
	s_or_b32 exec_lo, exec_lo, s26
	global_load_u16 v62, v[0:1], off offset:64
	s_mul_u64 s[26:27], s[10:11], s[14:15]
	s_wait_loadcnt 0x0
	s_wait_alu 0xfffe
	s_lshl_b64 s[26:27], s[26:27], 2
	s_barrier_signal -1
	s_wait_alu 0xfffe
	s_add_nc_u64 s[26:27], s[8:9], s[26:27]
	s_barrier_wait -1
	s_wait_alu 0xfffe
	v_add_co_u32 v0, vcc_lo, s26, v27
	s_wait_alu 0xfffd
	v_add_co_ci_u32_e64 v1, null, s27, v28, vcc_lo
	v_add_co_u32 v2, vcc_lo, s26, v29
	s_wait_alu 0xfffd
	v_add_co_ci_u32_e64 v3, null, s27, v30, vcc_lo
	;; [unrolled: 3-line block ×8, first 2 shown]
	global_inv scope:SCOPE_SE
	s_clause 0x3
	global_load_b128 v[0:3], v[0:1], off
	global_load_b128 v[4:7], v[4:5], off
	global_load_b128 v[8:11], v[8:9], off
	global_load_b128 v[12:15], v[12:13], off
	v_bfi_b32 v35, 0x7fffffff, v59, v35
	v_bfi_b32 v58, 0x7fffffff, v61, v58
	v_xor_b32_e32 v59, 16, v40
	s_or_b32 s26, s10, 32
	s_delay_alu instid0(VALU_DEP_3)
	v_fma_mix_f32 v63, s5, v35, v60 op_sel_hi:[0,0,1]
	s_wait_alu 0xfffe
	s_ashr_i32 s27, s26, 31
	v_cmp_gt_i32_e32 vcc_lo, 32, v59
	s_wait_alu 0xfffe
	s_mul_u64 s[26:27], s[26:27], s[14:15]
	s_wait_alu 0xfffe
	s_lshl_b64 s[26:27], s[26:27], 2
	s_wait_alu 0xfffe
	s_add_nc_u64 s[26:27], s[8:9], s[26:27]
	v_fma_mix_f32 v64, s5, v58, v62 op_sel_hi:[0,0,1]
	s_wait_alu 0xfffd
	v_cndmask_b32_e32 v35, v40, v59, vcc_lo
	v_add_f32_e32 v58, 0x40051340, v63
	s_delay_alu instid0(VALU_DEP_2) | instskip(NEXT) | instid1(VALU_DEP_1)
	v_dual_add_f32 v60, 0x40051340, v64 :: v_dual_lshlrev_b32 v35, 2, v35
	v_max3_num_f32 v60, v57, v58, v60
	v_xor_b32_e32 v58, 8, v40
	ds_bpermute_b32 v35, v35, v60
	v_cmp_gt_i32_e32 vcc_lo, 32, v58
	s_wait_alu 0xfffd
	v_cndmask_b32_e32 v61, v40, v58, vcc_lo
	s_delay_alu instid0(VALU_DEP_1) | instskip(SKIP_2) | instid1(VALU_DEP_1)
	v_lshlrev_b32_e32 v61, 2, v61
	s_wait_dscnt 0x0
	v_max_num_f32_e32 v35, v35, v35
	v_max_num_f32_e32 v35, v60, v35
	v_xor_b32_e32 v60, 4, v40
	ds_bpermute_b32 v61, v61, v35
	v_cmp_gt_i32_e32 vcc_lo, 32, v60
	s_wait_alu 0xfffd
	v_cndmask_b32_e32 v62, v40, v60, vcc_lo
	s_wait_dscnt 0x0
	s_delay_alu instid0(VALU_DEP_1) | instskip(NEXT) | instid1(VALU_DEP_1)
	v_dual_max_num_f32 v61, v61, v61 :: v_dual_lshlrev_b32 v62, 2, v62
	v_max_num_f32_e32 v35, v35, v61
	v_xor_b32_e32 v61, 2, v40
	ds_bpermute_b32 v62, v62, v35
	v_cmp_gt_i32_e32 vcc_lo, 32, v61
	s_wait_alu 0xfffd
	v_cndmask_b32_e32 v65, v40, v61, vcc_lo
	s_wait_dscnt 0x0
	s_delay_alu instid0(VALU_DEP_1) | instskip(NEXT) | instid1(VALU_DEP_1)
	v_dual_max_num_f32 v62, v62, v62 :: v_dual_lshlrev_b32 v65, 2, v65
	v_max_num_f32_e32 v35, v35, v62
	v_xor_b32_e32 v62, 1, v40
	ds_bpermute_b32 v65, v65, v35
	v_cmp_gt_i32_e32 vcc_lo, 32, v62
	s_wait_alu 0xfffd
	v_cndmask_b32_e32 v66, v40, v62, vcc_lo
	s_wait_alu 0xfffe
	v_add_co_u32 v74, vcc_lo, s26, v27
	s_wait_alu 0xfffd
	v_add_co_ci_u32_e64 v75, null, s27, v28, vcc_lo
	s_wait_dscnt 0x0
	v_dual_max_num_f32 v65, v65, v65 :: v_dual_lshlrev_b32 v66, 2, v66
	s_delay_alu instid0(VALU_DEP_1) | instskip(SKIP_3) | instid1(VALU_DEP_1)
	v_max_num_f32_e32 v35, v35, v65
	ds_bpermute_b32 v65, v66, v35
	s_wait_dscnt 0x0
	v_max_num_f32_e32 v65, v65, v65
	v_max_num_f32_e32 v35, v35, v65
	s_delay_alu instid0(VALU_DEP_1) | instskip(SKIP_3) | instid1(VALU_DEP_3)
	v_sub_f32_e32 v65, v63, v35
	v_sub_f32_e32 v66, v64, v35
	v_add_nc_u32_e32 v64, 0x1000, v38
	v_add_nc_u32_e32 v63, 0x1800, v38
	v_dual_mul_f32 v68, 0x3fb8aa3b, v65 :: v_dual_mul_f32 v69, 0x3fb8aa3b, v66
	s_delay_alu instid0(VALU_DEP_1) | instskip(SKIP_1) | instid1(VALU_DEP_3)
	v_fma_f32 v70, 0x3fb8aa3b, v65, -v68
	v_rndne_f32_e32 v71, v68
	v_fma_f32 v72, 0x3fb8aa3b, v66, -v69
	v_rndne_f32_e32 v73, v69
	s_delay_alu instid0(VALU_DEP_4) | instskip(NEXT) | instid1(VALU_DEP_4)
	v_fmac_f32_e32 v70, 0x32a5705f, v65
	v_sub_f32_e32 v68, v68, v71
	s_delay_alu instid0(VALU_DEP_3) | instskip(SKIP_2) | instid1(VALU_DEP_4)
	v_dual_fmac_f32 v72, 0x32a5705f, v66 :: v_dual_sub_f32 v69, v69, v73
	v_cvt_i32_f32_e32 v71, v71
	v_cvt_i32_f32_e32 v73, v73
	v_add_f32_e32 v68, v68, v70
	v_add_co_u32 v70, vcc_lo, s26, v29
	v_add_f32_e32 v69, v69, v72
	s_wait_alu 0xfffd
	v_add_co_ci_u32_e64 v72, null, s27, v30, vcc_lo
	v_exp_f32_e32 v68, v68
	v_add_co_u32 v76, vcc_lo, s26, v31
	v_exp_f32_e32 v69, v69
	s_wait_alu 0xfffd
	v_add_co_ci_u32_e64 v77, null, s27, v32, vcc_lo
	v_add_co_u32 v78, vcc_lo, s26, v33
	s_wait_alu 0xfffd
	v_add_co_ci_u32_e64 v79, null, s27, v34, vcc_lo
	v_add_co_u32 v136, vcc_lo, v74, v53
	s_delay_alu instid0(TRANS32_DEP_2)
	v_ldexp_f32 v68, v68, v71
	s_wait_alu 0xfffd
	v_add_co_ci_u32_e64 v137, null, 0, v75, vcc_lo
	v_cmp_ngt_f32_e32 vcc_lo, 0xc2ce8ed0, v65
	v_ldexp_f32 v69, v69, v73
	s_wait_alu 0xfffd
	v_cndmask_b32_e32 v68, 0, v68, vcc_lo
	v_cmp_ngt_f32_e32 vcc_lo, 0xc2ce8ed0, v66
	v_add_nc_u32_e32 v67, 0x800, v38
	s_wait_alu 0xfffd
	v_cndmask_b32_e32 v69, 0, v69, vcc_lo
	v_add_co_u32 v140, vcc_lo, v70, v53
	s_wait_alu 0xfffd
	v_add_co_ci_u32_e64 v141, null, 0, v72, vcc_lo
	v_cmp_nlt_f32_e32 vcc_lo, 0x42b17218, v65
	s_wait_alu 0xfffd
	v_cndmask_b32_e32 v65, 0x7f800000, v68, vcc_lo
	v_cmp_nlt_f32_e32 vcc_lo, 0x42b17218, v66
	s_delay_alu instid0(VALU_DEP_2)
	v_cvt_f16_f32_e32 v68, v65
	s_wait_alu 0xfffd
	v_cndmask_b32_e32 v66, 0x7f800000, v69, vcc_lo
	v_add_co_u32 v144, vcc_lo, v76, v53
	s_wait_alu 0xfffd
	v_add_co_ci_u32_e64 v145, null, 0, v77, vcc_lo
	s_delay_alu instid0(VALU_DEP_3)
	v_cvt_f16_f32_e32 v69, v66
	v_add_co_u32 v148, vcc_lo, v78, v53
	s_wait_alu 0xfffd
	v_add_co_ci_u32_e64 v149, null, 0, v79, vcc_lo
	ds_store_b16 v48, v68
	ds_store_b16 v48, v69 offset:64
	s_wait_loadcnt 0x3
	ds_store_b128 v47, v[0:3]
	s_wait_loadcnt 0x2
	ds_store_b128 v49, v[4:7]
	;; [unrolled: 2-line block ×4, first 2 shown]
	s_wait_dscnt 0x0
	s_barrier_signal -1
	s_barrier_wait -1
	global_inv scope:SCOPE_SE
	v_sub_f32_e32 v0, v57, v35
	ds_load_2addr_b64 v[1:4], v38 offset1:32
	ds_load_b128 v[5:8], v46
	ds_load_b128 v[9:12], v46 offset:16
	ds_load_b128 v[68:71], v46 offset:32
	ds_load_b128 v[72:75], v46 offset:48
	ds_load_2addr_b64 v[76:79], v38 offset0:64 offset1:96
	ds_load_2addr_b64 v[80:83], v38 offset0:128 offset1:160
	ds_load_2addr_b64 v[84:87], v38 offset0:192 offset1:224
	ds_load_2addr_b64 v[88:91], v67 offset1:32
	ds_load_2addr_b64 v[92:95], v67 offset0:64 offset1:96
	ds_load_2addr_b64 v[96:99], v67 offset0:128 offset1:160
	ds_load_2addr_b64 v[100:103], v67 offset0:192 offset1:224
	ds_load_2addr_b64 v[104:107], v64 offset1:32
	;; [unrolled: 4-line block ×3, first 2 shown]
	ds_load_2addr_b64 v[124:127], v63 offset0:64 offset1:96
	ds_load_2addr_b64 v[128:131], v63 offset0:128 offset1:160
	;; [unrolled: 1-line block ×3, first 2 shown]
	s_wait_loadcnt_dscnt 0x0
	s_barrier_signal -1
	s_barrier_wait -1
	global_inv scope:SCOPE_SE
	s_clause 0x3
	global_load_b128 v[136:139], v[136:137], off
	global_load_b128 v[140:143], v[140:141], off
	;; [unrolled: 1-line block ×4, first 2 shown]
	v_mul_f32_e32 v13, 0x3fb8aa3b, v0
	v_cmp_ngt_f32_e32 vcc_lo, 0xc2ce8ed0, v0
	s_wait_loadcnt 0x3
	ds_store_b128 v47, v[136:139]
	s_wait_loadcnt 0x2
	ds_store_b128 v49, v[140:143]
	;; [unrolled: 2-line block ×4, first 2 shown]
	v_fma_f32 v14, 0x3fb8aa3b, v0, -v13
	v_rndne_f32_e32 v15, v13
	s_wait_dscnt 0x0
	s_barrier_signal -1
	s_barrier_wait -1
	s_delay_alu instid0(VALU_DEP_1)
	v_dual_fmac_f32 v14, 0x32a5705f, v0 :: v_dual_sub_f32 v13, v13, v15
	global_inv scope:SCOPE_SE
	v_add_f32_e32 v13, v13, v14
	v_cvt_i32_f32_e32 v14, v15
	v_and_b32_e32 v15, 0xffff, v6
	v_lshrrev_b32_e32 v6, 16, v6
	s_delay_alu instid0(VALU_DEP_4) | instskip(NEXT) | instid1(VALU_DEP_1)
	v_exp_f32_e32 v13, v13
	v_mul_u32_u24_e32 v6, 0x10001, v6
	s_delay_alu instid0(TRANS32_DEP_1) | instskip(SKIP_3) | instid1(VALU_DEP_3)
	v_ldexp_f32 v13, v13, v14
	v_and_b32_e32 v14, 0xffff, v5
	v_lshrrev_b32_e32 v5, 16, v5
	s_wait_alu 0xfffd
	v_cndmask_b32_e32 v13, 0, v13, vcc_lo
	v_cmp_nlt_f32_e32 vcc_lo, 0x42b17218, v0
	v_mul_u32_u24_e32 v14, 0x10001, v14
	v_mul_u32_u24_e32 v5, 0x10001, v5
	s_wait_alu 0xfffd
	v_cndmask_b32_e32 v0, 0x7f800000, v13, vcc_lo
	s_delay_alu instid0(VALU_DEP_3) | instskip(SKIP_2) | instid1(VALU_DEP_4)
	v_pk_mul_f16 v1, v1, v14
	v_pk_mul_f16 v2, v2, v14
	v_mul_u32_u24_e32 v14, 0x10001, v15
	v_cvt_f16_f32_e32 v13, v0
	s_delay_alu instid0(VALU_DEP_1) | instskip(NEXT) | instid1(VALU_DEP_1)
	v_and_b32_e32 v13, 0xffff, v13
	v_mul_u32_u24_e32 v13, 0x10001, v13
	s_delay_alu instid0(VALU_DEP_1) | instskip(SKIP_1) | instid1(VALU_DEP_2)
	v_pk_fma_f16 v1, v55, v13, v1
	v_pk_fma_f16 v2, v56, v13, v2
	;; [unrolled: 1-line block ×3, first 2 shown]
	s_delay_alu instid0(VALU_DEP_2)
	v_pk_fma_f16 v2, v4, v5, v2
	v_and_b32_e32 v3, 0xffff, v7
	v_lshrrev_b32_e32 v4, 16, v7
	v_and_b32_e32 v5, 0xffff, v8
	v_pk_fma_f16 v1, v76, v14, v1
	v_pk_fma_f16 v2, v77, v14, v2
	v_mul_u32_u24_e32 v3, 0x10001, v3
	v_mul_u32_u24_e32 v4, 0x10001, v4
	;; [unrolled: 1-line block ×3, first 2 shown]
	v_pk_fma_f16 v1, v78, v6, v1
	v_pk_fma_f16 v2, v79, v6, v2
	v_lshrrev_b32_e32 v6, 16, v8
	v_and_b32_e32 v7, 0xffff, v74
	v_lshrrev_b32_e32 v8, 16, v74
	v_pk_fma_f16 v1, v80, v3, v1
	v_pk_fma_f16 v2, v81, v3, v2
	v_and_b32_e32 v3, 0xffff, v9
	v_mul_u32_u24_e32 v6, 0x10001, v6
	v_lshrrev_b32_e32 v14, 16, v75
	v_pk_fma_f16 v1, v82, v4, v1
	v_pk_fma_f16 v2, v83, v4, v2
	v_lshrrev_b32_e32 v4, 16, v9
	v_mul_u32_u24_e32 v3, 0x10001, v3
	v_mul_u32_u24_e32 v9, 0x10001, v7
	v_pk_fma_f16 v1, v84, v5, v1
	v_pk_fma_f16 v2, v85, v5, v2
	v_and_b32_e32 v5, 0xffff, v10
	v_mul_u32_u24_e32 v4, 0x10001, v4
	s_delay_alu instid0(VALU_DEP_4) | instskip(NEXT) | instid1(VALU_DEP_4)
	v_pk_fma_f16 v1, v86, v6, v1
	v_pk_fma_f16 v2, v87, v6, v2
	v_lshrrev_b32_e32 v6, 16, v10
	v_mul_u32_u24_e32 v5, 0x10001, v5
	s_delay_alu instid0(VALU_DEP_4) | instskip(NEXT) | instid1(VALU_DEP_4)
	v_pk_fma_f16 v1, v88, v3, v1
	v_pk_fma_f16 v2, v89, v3, v2
	v_and_b32_e32 v3, 0xffff, v11
	v_mul_u32_u24_e32 v6, 0x10001, v6
	s_delay_alu instid0(VALU_DEP_4) | instskip(NEXT) | instid1(VALU_DEP_4)
	v_pk_fma_f16 v1, v90, v4, v1
	v_pk_fma_f16 v2, v91, v4, v2
	v_lshrrev_b32_e32 v4, 16, v11
	v_mul_u32_u24_e32 v3, 0x10001, v3
	v_mul_u32_u24_e32 v11, 0x10001, v8
	v_pk_fma_f16 v1, v92, v5, v1
	v_pk_fma_f16 v2, v93, v5, v2
	v_and_b32_e32 v5, 0xffff, v12
	v_mul_u32_u24_e32 v4, 0x10001, v4
	s_delay_alu instid0(VALU_DEP_4) | instskip(NEXT) | instid1(VALU_DEP_4)
	v_pk_fma_f16 v1, v94, v6, v1
	v_pk_fma_f16 v2, v95, v6, v2
	v_lshrrev_b32_e32 v6, 16, v12
	v_mul_u32_u24_e32 v5, 0x10001, v5
	s_delay_alu instid0(VALU_DEP_4) | instskip(NEXT) | instid1(VALU_DEP_4)
	v_pk_fma_f16 v1, v96, v3, v1
	v_pk_fma_f16 v2, v97, v3, v2
	v_and_b32_e32 v3, 0xffff, v68
	v_mul_u32_u24_e32 v6, 0x10001, v6
	s_delay_alu instid0(VALU_DEP_4) | instskip(NEXT) | instid1(VALU_DEP_4)
	v_pk_fma_f16 v1, v98, v4, v1
	v_pk_fma_f16 v2, v99, v4, v2
	v_lshrrev_b32_e32 v4, 16, v68
	v_mul_u32_u24_e32 v3, 0x10001, v3
	s_delay_alu instid0(VALU_DEP_4) | instskip(NEXT) | instid1(VALU_DEP_4)
	;; [unrolled: 10-line block ×7, first 2 shown]
	v_pk_fma_f16 v1, v120, v3, v1
	v_pk_fma_f16 v2, v121, v3, v2
	s_delay_alu instid0(VALU_DEP_4) | instskip(NEXT) | instid1(VALU_DEP_3)
	v_mul_u32_u24_e32 v6, 0x10001, v6
	v_pk_fma_f16 v1, v122, v4, v1
	s_delay_alu instid0(VALU_DEP_3) | instskip(NEXT) | instid1(VALU_DEP_2)
	v_pk_fma_f16 v7, v123, v4, v2
	v_pk_fma_f16 v10, v124, v5, v1
	ds_load_b128 v[1:4], v46 offset:64
	v_pk_fma_f16 v5, v125, v5, v7
	v_pk_fma_f16 v7, v126, v6, v10
	v_and_b32_e32 v10, 0xffff, v75
	s_delay_alu instid0(VALU_DEP_3) | instskip(NEXT) | instid1(VALU_DEP_3)
	v_pk_fma_f16 v12, v127, v6, v5
	v_pk_fma_f16 v13, v128, v9, v7
	ds_load_2addr_b64 v[5:8], v38 offset1:32
	v_pk_fma_f16 v9, v129, v9, v12
	v_mul_u32_u24_e32 v15, 0x10001, v10
	v_pk_fma_f16 v10, v130, v11, v13
	v_mul_u32_u24_e32 v13, 0x10001, v14
	s_delay_alu instid0(VALU_DEP_4) | instskip(NEXT) | instid1(VALU_DEP_3)
	v_pk_fma_f16 v14, v131, v11, v9
	v_pk_fma_f16 v55, v132, v15, v10
	s_wait_dscnt 0x1
	v_and_b32_e32 v56, 0xffff, v1
	s_delay_alu instid0(VALU_DEP_3)
	v_pk_fma_f16 v14, v133, v15, v14
	ds_load_2addr_b64 v[9:12], v38 offset0:64 offset1:96
	ds_load_b128 v[68:71], v46 offset:80
	v_lshrrev_b32_e32 v1, 16, v1
	v_pk_fma_f16 v15, v134, v13, v55
	v_mul_u32_u24_e32 v55, 0x10001, v56
	v_pk_fma_f16 v13, v135, v13, v14
	ds_load_2addr_b64 v[72:75], v38 offset0:128 offset1:160
	v_and_b32_e32 v14, 0xffff, v2
	v_mul_u32_u24_e32 v1, 0x10001, v1
	s_wait_dscnt 0x3
	v_pk_fma_f16 v5, v5, v55, v15
	v_pk_fma_f16 v6, v6, v55, v13
	v_lshrrev_b32_e32 v2, 16, v2
	v_mul_u32_u24_e32 v13, 0x10001, v14
	v_and_b32_e32 v15, 0xffff, v3
	v_pk_fma_f16 v14, v7, v1, v5
	v_pk_fma_f16 v1, v8, v1, v6
	ds_load_2addr_b64 v[5:8], v38 offset0:192 offset1:224
	v_mul_u32_u24_e32 v2, 0x10001, v2
	v_lshrrev_b32_e32 v3, 16, v3
	ds_load_2addr_b64 v[76:79], v63 offset1:32
	s_wait_dscnt 0x4
	v_pk_fma_f16 v9, v9, v13, v14
	v_pk_fma_f16 v1, v10, v13, v1
	v_mul_u32_u24_e32 v13, 0x10001, v15
	v_mul_u32_u24_e32 v3, 0x10001, v3
	s_wait_dscnt 0x3
	v_and_b32_e32 v56, 0xffff, v68
	v_pk_fma_f16 v14, v11, v2, v9
	v_pk_fma_f16 v1, v12, v2, v1
	ds_load_2addr_b64 v[9:12], v67 offset1:32
	v_and_b32_e32 v2, 0xffff, v4
	s_wait_dscnt 0x3
	v_pk_fma_f16 v14, v72, v13, v14
	v_pk_fma_f16 v1, v73, v13, v1
	v_lshrrev_b32_e32 v13, 16, v4
	v_mul_u32_u24_e32 v15, 0x10001, v2
	s_delay_alu instid0(VALU_DEP_4) | instskip(NEXT) | instid1(VALU_DEP_4)
	v_pk_fma_f16 v14, v74, v3, v14
	v_pk_fma_f16 v55, v75, v3, v1
	ds_load_2addr_b64 v[1:4], v67 offset0:64 offset1:96
	v_mul_u32_u24_e32 v13, 0x10001, v13
	ds_load_b128 v[72:75], v46 offset:96
	s_wait_dscnt 0x4
	v_pk_fma_f16 v5, v5, v15, v14
	v_pk_fma_f16 v6, v6, v15, v55
	v_lshrrev_b32_e32 v14, 16, v68
	v_mul_u32_u24_e32 v15, 0x10001, v56
	v_and_b32_e32 v56, 0xffff, v69
	v_pk_fma_f16 v55, v7, v13, v5
	v_pk_fma_f16 v13, v8, v13, v6
	ds_load_2addr_b64 v[5:8], v67 offset0:128 offset1:160
	v_mul_u32_u24_e32 v14, 0x10001, v14
	s_wait_dscnt 0x3
	v_pk_fma_f16 v9, v9, v15, v55
	v_pk_fma_f16 v10, v10, v15, v13
	v_lshrrev_b32_e32 v13, 16, v69
	v_mul_u32_u24_e32 v15, 0x10001, v56
	v_and_b32_e32 v56, 0xffff, v70
	v_pk_fma_f16 v55, v11, v14, v9
	v_pk_fma_f16 v14, v12, v14, v10
	ds_load_2addr_b64 v[9:12], v67 offset0:192 offset1:224
	v_mul_u32_u24_e32 v13, 0x10001, v13
	s_wait_dscnt 0x3
	v_pk_fma_f16 v1, v1, v15, v55
	v_pk_fma_f16 v2, v2, v15, v14
	v_lshrrev_b32_e32 v14, 16, v70
	v_mul_u32_u24_e32 v15, 0x10001, v56
	v_and_b32_e32 v56, 0xffff, v71
	v_pk_fma_f16 v55, v3, v13, v1
	v_pk_fma_f16 v13, v4, v13, v2
	ds_load_2addr_b64 v[1:4], v64 offset1:32
	v_mul_u32_u24_e32 v14, 0x10001, v14
	ds_load_2addr_b64 v[67:70], v64 offset0:64 offset1:96
	s_wait_dscnt 0x3
	v_pk_fma_f16 v5, v5, v15, v55
	v_pk_fma_f16 v6, v6, v15, v13
	v_lshrrev_b32_e32 v13, 16, v71
	v_mul_u32_u24_e32 v15, 0x10001, v56
	s_delay_alu instid0(VALU_DEP_4) | instskip(NEXT) | instid1(VALU_DEP_4)
	v_pk_fma_f16 v55, v7, v14, v5
	v_pk_fma_f16 v14, v8, v14, v6
	ds_load_b128 v[5:8], v46 offset:112
	v_and_b32_e32 v56, 0xffff, v72
	v_mul_u32_u24_e32 v13, 0x10001, v13
	s_wait_dscnt 0x3
	v_pk_fma_f16 v9, v9, v15, v55
	v_pk_fma_f16 v10, v10, v15, v14
	v_lshrrev_b32_e32 v14, 16, v72
	v_mul_u32_u24_e32 v15, 0x10001, v56
	v_and_b32_e32 v56, 0xffff, v73
	v_pk_fma_f16 v55, v11, v13, v9
	v_pk_fma_f16 v13, v12, v13, v10
	ds_load_2addr_b64 v[9:12], v64 offset0:128 offset1:160
	v_mul_u32_u24_e32 v14, 0x10001, v14
	s_wait_dscnt 0x3
	v_pk_fma_f16 v1, v1, v15, v55
	v_pk_fma_f16 v2, v2, v15, v13
	v_lshrrev_b32_e32 v13, 16, v73
	v_mul_u32_u24_e32 v15, 0x10001, v56
	v_and_b32_e32 v56, 0xffff, v74
	v_pk_fma_f16 v55, v3, v14, v1
	v_pk_fma_f16 v14, v4, v14, v2
	ds_load_2addr_b64 v[1:4], v64 offset0:192 offset1:224
	v_mul_u32_u24_e32 v13, 0x10001, v13
	v_mul_u32_u24_e32 v56, 0x10001, v56
	s_wait_dscnt 0x3
	v_pk_fma_f16 v55, v67, v15, v55
	v_pk_fma_f16 v14, v68, v15, v14
	v_lshrrev_b32_e32 v15, 16, v74
	ds_load_2addr_b64 v[71:74], v63 offset0:128 offset1:160
	v_pk_fma_f16 v55, v69, v13, v55
	v_pk_fma_f16 v13, v70, v13, v14
	v_and_b32_e32 v14, 0xffff, v75
	v_mul_u32_u24_e32 v15, 0x10001, v15
	ds_load_2addr_b64 v[67:70], v63 offset0:64 offset1:96
	s_wait_dscnt 0x3
	v_pk_fma_f16 v9, v9, v56, v55
	v_pk_fma_f16 v10, v10, v56, v13
	v_lshrrev_b32_e32 v13, 16, v75
	v_mul_u32_u24_e32 v14, 0x10001, v14
	v_and_b32_e32 v56, 0xffff, v5
	v_pk_fma_f16 v55, v11, v15, v9
	v_pk_fma_f16 v15, v12, v15, v10
	v_mul_u32_u24_e32 v13, 0x10001, v13
	v_lshrrev_b32_e32 v5, 16, v5
	ds_load_2addr_b64 v[9:12], v63 offset0:192 offset1:224
	s_wait_dscnt 0x3
	v_pk_fma_f16 v1, v1, v14, v55
	v_pk_fma_f16 v2, v2, v14, v15
	v_mul_u32_u24_e32 v14, 0x10001, v56
	s_wait_loadcnt_dscnt 0x0
	s_barrier_signal -1
	v_pk_fma_f16 v1, v3, v13, v1
	v_pk_fma_f16 v2, v4, v13, v2
	v_and_b32_e32 v3, 0xffff, v6
	v_mul_u32_u24_e32 v4, 0x10001, v5
	v_lshrrev_b32_e32 v5, 16, v6
	v_pk_fma_f16 v1, v76, v14, v1
	v_pk_fma_f16 v2, v77, v14, v2
	v_mul_u32_u24_e32 v3, 0x10001, v3
	s_barrier_wait -1
	v_mul_u32_u24_e32 v5, 0x10001, v5
	v_pk_fma_f16 v1, v78, v4, v1
	v_pk_fma_f16 v2, v79, v4, v2
	v_and_b32_e32 v4, 0xffff, v7
	global_inv scope:SCOPE_SE
	s_load_b32 s11, s[24:25], 0x4
	v_pk_fma_f16 v1, v67, v3, v1
	v_pk_fma_f16 v2, v68, v3, v2
	v_lshrrev_b32_e32 v3, 16, v7
	v_mul_u32_u24_e32 v4, 0x10001, v4
	s_delay_alu instid0(VALU_DEP_4) | instskip(NEXT) | instid1(VALU_DEP_4)
	v_pk_fma_f16 v1, v69, v5, v1
	v_pk_fma_f16 v2, v70, v5, v2
	v_and_b32_e32 v5, 0xffff, v8
	v_mul_u32_u24_e32 v3, 0x10001, v3
	s_delay_alu instid0(VALU_DEP_4) | instskip(NEXT) | instid1(VALU_DEP_4)
	v_pk_fma_f16 v1, v71, v4, v1
	v_pk_fma_f16 v2, v72, v4, v2
	v_lshrrev_b32_e32 v4, 16, v8
	v_mul_u32_u24_e32 v5, 0x10001, v5
	s_delay_alu instid0(VALU_DEP_4) | instskip(NEXT) | instid1(VALU_DEP_4)
	v_pk_fma_f16 v6, v73, v3, v1
	v_pk_fma_f16 v2, v74, v3, v2
	v_add_f32_e32 v1, v65, v66
	v_mul_u32_u24_e32 v3, 0x10001, v4
	s_wait_kmcnt 0x0
	s_lshl_b32 s11, s11, 6
	v_pk_fma_f16 v4, v9, v5, v6
	v_pk_fma_f16 v2, v10, v5, v2
	v_fmac_f32_e32 v1, v54, v0
	s_wait_alu 0xfffe
	s_add_co_i32 s10, s11, s10
	v_pk_fma_f16 v55, v11, v3, v4
	v_pk_fma_f16 v56, v12, v3, v2
	s_wait_alu 0xfffe
	s_cmp_ge_i32 s10, s28
	s_cbranch_scc1 .LBB79_19
; %bb.18:                               ;   in Loop: Header=BB79_9 Depth=1
	v_dual_mov_b32 v57, v35 :: v_dual_mov_b32 v54, v1
	s_branch .LBB79_9
.LBB79_19:
	v_dual_mov_b32 v2, 32 :: v_dual_mov_b32 v3, v40
.LBB79_20:
	s_delay_alu instid0(VALU_DEP_1)
	v_cmp_lt_i32_e32 vcc_lo, v59, v2
	s_cmp_lg_u64 s[12:13], 0
	s_cselect_b32 s3, -1, 0
	s_cmp_eq_u32 s4, 0
	s_wait_alu 0xfffd
	v_cndmask_b32_e32 v0, v3, v59, vcc_lo
	v_cmp_lt_i32_e32 vcc_lo, v58, v2
	s_cselect_b32 s5, -1, 0
	s_wait_alu 0xfffe
	s_and_b32 s3, s5, s3
	v_lshlrev_b32_e32 v0, 2, v0
	s_wait_alu 0xfffd
	v_cndmask_b32_e32 v4, v3, v58, vcc_lo
	v_cmp_lt_i32_e32 vcc_lo, v60, v2
	ds_bpermute_b32 v0, v0, v1
	v_lshlrev_b32_e32 v4, 2, v4
	s_wait_dscnt 0x0
	v_add_f32_e32 v0, v1, v0
	ds_bpermute_b32 v1, v4, v0
	s_wait_alu 0xfffd
	v_cndmask_b32_e32 v4, v3, v60, vcc_lo
	v_cmp_lt_i32_e32 vcc_lo, v61, v2
	s_delay_alu instid0(VALU_DEP_2)
	v_lshlrev_b32_e32 v4, 2, v4
	s_wait_dscnt 0x0
	v_add_f32_e32 v0, v0, v1
	ds_bpermute_b32 v1, v4, v0
	s_wait_alu 0xfffd
	v_cndmask_b32_e32 v4, v3, v61, vcc_lo
	v_cmp_lt_i32_e32 vcc_lo, v62, v2
	s_delay_alu instid0(VALU_DEP_2) | instskip(SKIP_4) | instid1(VALU_DEP_1)
	v_lshlrev_b32_e32 v4, 2, v4
	s_wait_alu 0xfffd
	v_cndmask_b32_e32 v2, v3, v62, vcc_lo
	s_wait_alu 0xfffe
	s_and_b32 vcc_lo, exec_lo, s3
	v_lshlrev_b32_e32 v2, 2, v2
	s_wait_dscnt 0x0
	v_add_f32_e32 v0, v0, v1
	ds_bpermute_b32 v1, v4, v0
	s_wait_dscnt 0x0
	v_dual_add_f32 v1, v0, v1 :: v_dual_add_nc_u32 v0, s33, v36
	ds_bpermute_b32 v2, v2, v1
	s_wait_dscnt 0x0
	v_add_f32_e32 v36, v1, v2
	s_wait_alu 0xfffe
	s_cbranch_vccz .LBB79_22
; %bb.21:
	v_ashrrev_i32_e32 v1, 31, v0
	s_delay_alu instid0(VALU_DEP_1) | instskip(NEXT) | instid1(VALU_DEP_1)
	v_lshlrev_b64_e32 v[1:2], 2, v[0:1]
	v_add_co_u32 v1, vcc_lo, s12, v1
	s_wait_alu 0xfffd
	s_delay_alu instid0(VALU_DEP_2) | instskip(SKIP_3) | instid1(VALU_DEP_1)
	v_add_co_ci_u32_e64 v2, null, s13, v2, vcc_lo
	global_load_b32 v1, v[1:2], off
	s_wait_loadcnt 0x0
	v_dual_max_num_f32 v2, v35, v35 :: v_dual_max_num_f32 v3, v1, v1
	v_max_num_f32_e32 v2, v2, v3
	s_delay_alu instid0(VALU_DEP_1) | instskip(NEXT) | instid1(VALU_DEP_1)
	v_sub_f32_e32 v1, v1, v2
	v_mul_f32_e32 v7, 0x3fb8aa3b, v1
	v_sub_f32_e32 v3, v35, v2
	v_mov_b32_e32 v35, v2
	s_delay_alu instid0(VALU_DEP_3) | instskip(NEXT) | instid1(VALU_DEP_3)
	v_rndne_f32_e32 v9, v7
	v_mul_f32_e32 v4, 0x3fb8aa3b, v3
	s_delay_alu instid0(VALU_DEP_1) | instskip(SKIP_1) | instid1(VALU_DEP_1)
	v_fma_f32 v5, 0x3fb8aa3b, v3, -v4
	v_rndne_f32_e32 v6, v4
	v_dual_fmac_f32 v5, 0x32a5705f, v3 :: v_dual_sub_f32 v4, v4, v6
	v_cvt_i32_f32_e32 v6, v6
	s_delay_alu instid0(VALU_DEP_2) | instskip(SKIP_2) | instid1(VALU_DEP_3)
	v_add_f32_e32 v4, v4, v5
	v_cmp_ngt_f32_e32 vcc_lo, 0xc2ce8ed0, v3
	v_sub_f32_e32 v5, v7, v9
	v_exp_f32_e32 v4, v4
	s_delay_alu instid0(TRANS32_DEP_1) | instskip(SKIP_2) | instid1(VALU_DEP_2)
	v_ldexp_f32 v4, v4, v6
	v_cvt_i32_f32_e32 v6, v9
	s_wait_alu 0xfffd
	v_cndmask_b32_e32 v4, 0, v4, vcc_lo
	v_fma_f32 v8, 0x3fb8aa3b, v1, -v7
	v_cmp_nlt_f32_e32 vcc_lo, 0x42b17218, v3
	s_wait_alu 0xfffd
	s_delay_alu instid0(VALU_DEP_3) | instskip(NEXT) | instid1(VALU_DEP_3)
	v_cndmask_b32_e32 v3, 0x7f800000, v4, vcc_lo
	v_fmac_f32_e32 v8, 0x32a5705f, v1
	v_cmp_ngt_f32_e32 vcc_lo, 0xc2ce8ed0, v1
	s_delay_alu instid0(VALU_DEP_2) | instskip(NEXT) | instid1(VALU_DEP_1)
	v_add_f32_e32 v5, v5, v8
	v_exp_f32_e32 v5, v5
	s_delay_alu instid0(TRANS32_DEP_1) | instskip(SKIP_1) | instid1(VALU_DEP_1)
	v_ldexp_f32 v5, v5, v6
	s_wait_alu 0xfffd
	v_cndmask_b32_e32 v4, 0, v5, vcc_lo
	v_cmp_nlt_f32_e32 vcc_lo, 0x42b17218, v1
	s_wait_alu 0xfffd
	s_delay_alu instid0(VALU_DEP_2) | instskip(NEXT) | instid1(VALU_DEP_1)
	v_cndmask_b32_e32 v1, 0x7f800000, v4, vcc_lo
	v_fmac_f32_e32 v1, v36, v3
	s_delay_alu instid0(VALU_DEP_1) | instskip(SKIP_1) | instid1(VALU_DEP_1)
	v_mov_b32_e32 v36, v1
	v_cvt_f16_f32_e32 v5, v3
	v_and_b32_e32 v4, 0xffff, v5
	s_delay_alu instid0(VALU_DEP_1) | instskip(NEXT) | instid1(VALU_DEP_1)
	v_mul_u32_u24_e32 v3, 0x10001, v4
	v_pk_mul_f16 v55, v55, v3
	v_pk_mul_f16 v56, v56, v3
.LBB79_22:
	s_delay_alu instid0(VALU_DEP_1) | instskip(SKIP_4) | instid1(TRANS32_DEP_1)
	v_div_scale_f32 v3, null, v36, v36, 1.0
	v_div_scale_f32 v5, vcc_lo, 1.0, v36, 1.0
	s_load_b32 s0, s[0:1], 0xd4
	v_rcp_f32_e32 v4, v3
	v_cvt_f32_f16_e32 v8, v56
	v_fma_f32 v1, -v3, v4, 1.0
	s_delay_alu instid0(VALU_DEP_1) | instskip(SKIP_3) | instid1(VALU_DEP_2)
	v_fmac_f32_e32 v4, v1, v4
	v_mad_co_u64_u32 v[1:2], null, s2, s22, v[16:17]
	s_wait_kmcnt 0x0
	s_cmp_lg_u32 s0, 1
	v_mul_f32_e32 v6, v5, v4
	s_cselect_b32 s1, -1, 0
	s_delay_alu instid0(VALU_DEP_2) | instskip(NEXT) | instid1(VALU_DEP_2)
	v_mad_co_u64_u32 v[0:1], null, v1, s23, v[0:1]
	v_fma_f32 v2, -v3, v6, v5
	s_delay_alu instid0(VALU_DEP_1) | instskip(NEXT) | instid1(VALU_DEP_3)
	v_fmac_f32_e32 v6, v2, v4
	v_mad_co_u64_u32 v[0:1], null, s0, v0, s[4:5]
	s_delay_alu instid0(VALU_DEP_2) | instskip(SKIP_1) | instid1(VALU_DEP_2)
	v_fma_f32 v2, -v3, v6, v5
	v_cvt_f32_f16_e32 v3, v55
	v_div_fmas_f32 v1, v2, v4, v6
	v_lshrrev_b32_e32 v6, 16, v56
	v_lshrrev_b32_e32 v4, 16, v55
	v_cmp_eq_u32_e32 vcc_lo, 0, v17
	s_delay_alu instid0(VALU_DEP_4)
	v_div_fixup_f32 v5, v1, v36, 1.0
	v_lshl_add_u32 v1, v0, 7, v37
	v_cvt_f32_f16_e32 v9, v6
	v_cvt_f32_f16_e32 v4, v4
	s_wait_alu 0xfffe
	v_cndmask_b32_e64 v7, v5, 1.0, s1
	v_mov_b32_e32 v2, 0
	s_delay_alu instid0(VALU_DEP_1) | instskip(NEXT) | instid1(VALU_DEP_3)
	v_lshlrev_b64_e32 v[5:6], 2, v[1:2]
	v_mul_f32_e32 v1, v7, v3
	v_mul_f32_e32 v2, v7, v4
	;; [unrolled: 1-line block ×4, first 2 shown]
	v_add_co_u32 v5, s0, s16, v5
	s_wait_alu 0xf1ff
	v_add_co_ci_u32_e64 v6, null, s17, v6, s0
	s_and_b32 s0, vcc_lo, s1
	global_store_b128 v[5:6], v[1:4], off
	s_wait_alu 0xfffe
	s_and_saveexec_b32 s1, s0
	s_cbranch_execz .LBB79_24
; %bb.23:
	v_ashrrev_i32_e32 v1, 31, v0
	s_delay_alu instid0(VALU_DEP_1) | instskip(NEXT) | instid1(VALU_DEP_1)
	v_lshlrev_b64_e32 v[0:1], 3, v[0:1]
	v_add_co_u32 v0, vcc_lo, s18, v0
	s_wait_alu 0xfffd
	s_delay_alu instid0(VALU_DEP_2)
	v_add_co_ci_u32_e64 v1, null, s19, v1, vcc_lo
	global_store_b64 v[0:1], v[35:36], off
.LBB79_24:
	s_nop 0
	s_sendmsg sendmsg(MSG_DEALLOC_VGPRS)
	s_endpgm
	.section	.rodata,"a",@progbits
	.p2align	6, 0x0
	.amdhsa_kernel _ZL15flash_attn_tileILi128ELi128ELi1ELi4ELb1EEvPKcS1_S1_S1_S1_PKiPfP15HIP_vector_typeIfLj2EEffffjfiS5_IjLj3EEiiiiiiiiiiiliiliiiiil
		.amdhsa_group_segment_fixed_size 10752
		.amdhsa_private_segment_fixed_size 0
		.amdhsa_kernarg_size 464
		.amdhsa_user_sgpr_count 2
		.amdhsa_user_sgpr_dispatch_ptr 0
		.amdhsa_user_sgpr_queue_ptr 0
		.amdhsa_user_sgpr_kernarg_segment_ptr 1
		.amdhsa_user_sgpr_dispatch_id 0
		.amdhsa_user_sgpr_private_segment_size 0
		.amdhsa_wavefront_size32 1
		.amdhsa_uses_dynamic_stack 0
		.amdhsa_enable_private_segment 0
		.amdhsa_system_sgpr_workgroup_id_x 1
		.amdhsa_system_sgpr_workgroup_id_y 1
		.amdhsa_system_sgpr_workgroup_id_z 1
		.amdhsa_system_sgpr_workgroup_info 0
		.amdhsa_system_vgpr_workitem_id 1
		.amdhsa_next_free_vgpr 152
		.amdhsa_next_free_sgpr 43
		.amdhsa_reserve_vcc 1
		.amdhsa_float_round_mode_32 0
		.amdhsa_float_round_mode_16_64 0
		.amdhsa_float_denorm_mode_32 3
		.amdhsa_float_denorm_mode_16_64 3
		.amdhsa_fp16_overflow 0
		.amdhsa_workgroup_processor_mode 1
		.amdhsa_memory_ordered 1
		.amdhsa_forward_progress 1
		.amdhsa_inst_pref_size 63
		.amdhsa_round_robin_scheduling 0
		.amdhsa_exception_fp_ieee_invalid_op 0
		.amdhsa_exception_fp_denorm_src 0
		.amdhsa_exception_fp_ieee_div_zero 0
		.amdhsa_exception_fp_ieee_overflow 0
		.amdhsa_exception_fp_ieee_underflow 0
		.amdhsa_exception_fp_ieee_inexact 0
		.amdhsa_exception_int_div_zero 0
	.end_amdhsa_kernel
	.section	.text._ZL15flash_attn_tileILi128ELi128ELi1ELi4ELb1EEvPKcS1_S1_S1_S1_PKiPfP15HIP_vector_typeIfLj2EEffffjfiS5_IjLj3EEiiiiiiiiiiiliiliiiiil,"axG",@progbits,_ZL15flash_attn_tileILi128ELi128ELi1ELi4ELb1EEvPKcS1_S1_S1_S1_PKiPfP15HIP_vector_typeIfLj2EEffffjfiS5_IjLj3EEiiiiiiiiiiiliiliiiiil,comdat
.Lfunc_end79:
	.size	_ZL15flash_attn_tileILi128ELi128ELi1ELi4ELb1EEvPKcS1_S1_S1_S1_PKiPfP15HIP_vector_typeIfLj2EEffffjfiS5_IjLj3EEiiiiiiiiiiiliiliiiiil, .Lfunc_end79-_ZL15flash_attn_tileILi128ELi128ELi1ELi4ELb1EEvPKcS1_S1_S1_S1_PKiPfP15HIP_vector_typeIfLj2EEffffjfiS5_IjLj3EEiiiiiiiiiiiliiliiiiil
                                        ; -- End function
	.set _ZL15flash_attn_tileILi128ELi128ELi1ELi4ELb1EEvPKcS1_S1_S1_S1_PKiPfP15HIP_vector_typeIfLj2EEffffjfiS5_IjLj3EEiiiiiiiiiiiliiliiiiil.num_vgpr, 152
	.set _ZL15flash_attn_tileILi128ELi128ELi1ELi4ELb1EEvPKcS1_S1_S1_S1_PKiPfP15HIP_vector_typeIfLj2EEffffjfiS5_IjLj3EEiiiiiiiiiiiliiliiiiil.num_agpr, 0
	.set _ZL15flash_attn_tileILi128ELi128ELi1ELi4ELb1EEvPKcS1_S1_S1_S1_PKiPfP15HIP_vector_typeIfLj2EEffffjfiS5_IjLj3EEiiiiiiiiiiiliiliiiiil.numbered_sgpr, 43
	.set _ZL15flash_attn_tileILi128ELi128ELi1ELi4ELb1EEvPKcS1_S1_S1_S1_PKiPfP15HIP_vector_typeIfLj2EEffffjfiS5_IjLj3EEiiiiiiiiiiiliiliiiiil.num_named_barrier, 0
	.set _ZL15flash_attn_tileILi128ELi128ELi1ELi4ELb1EEvPKcS1_S1_S1_S1_PKiPfP15HIP_vector_typeIfLj2EEffffjfiS5_IjLj3EEiiiiiiiiiiiliiliiiiil.private_seg_size, 0
	.set _ZL15flash_attn_tileILi128ELi128ELi1ELi4ELb1EEvPKcS1_S1_S1_S1_PKiPfP15HIP_vector_typeIfLj2EEffffjfiS5_IjLj3EEiiiiiiiiiiiliiliiiiil.uses_vcc, 1
	.set _ZL15flash_attn_tileILi128ELi128ELi1ELi4ELb1EEvPKcS1_S1_S1_S1_PKiPfP15HIP_vector_typeIfLj2EEffffjfiS5_IjLj3EEiiiiiiiiiiiliiliiiiil.uses_flat_scratch, 0
	.set _ZL15flash_attn_tileILi128ELi128ELi1ELi4ELb1EEvPKcS1_S1_S1_S1_PKiPfP15HIP_vector_typeIfLj2EEffffjfiS5_IjLj3EEiiiiiiiiiiiliiliiiiil.has_dyn_sized_stack, 0
	.set _ZL15flash_attn_tileILi128ELi128ELi1ELi4ELb1EEvPKcS1_S1_S1_S1_PKiPfP15HIP_vector_typeIfLj2EEffffjfiS5_IjLj3EEiiiiiiiiiiiliiliiiiil.has_recursion, 0
	.set _ZL15flash_attn_tileILi128ELi128ELi1ELi4ELb1EEvPKcS1_S1_S1_S1_PKiPfP15HIP_vector_typeIfLj2EEffffjfiS5_IjLj3EEiiiiiiiiiiiliiliiiiil.has_indirect_call, 0
	.section	.AMDGPU.csdata,"",@progbits
; Kernel info:
; codeLenInByte = 8052
; TotalNumSgprs: 45
; NumVgprs: 152
; ScratchSize: 0
; MemoryBound: 0
; FloatMode: 240
; IeeeMode: 1
; LDSByteSize: 10752 bytes/workgroup (compile time only)
; SGPRBlocks: 0
; VGPRBlocks: 18
; NumSGPRsForWavesPerEU: 45
; NumVGPRsForWavesPerEU: 152
; Occupancy: 9
; WaveLimiterHint : 1
; COMPUTE_PGM_RSRC2:SCRATCH_EN: 0
; COMPUTE_PGM_RSRC2:USER_SGPR: 2
; COMPUTE_PGM_RSRC2:TRAP_HANDLER: 0
; COMPUTE_PGM_RSRC2:TGID_X_EN: 1
; COMPUTE_PGM_RSRC2:TGID_Y_EN: 1
; COMPUTE_PGM_RSRC2:TGID_Z_EN: 1
; COMPUTE_PGM_RSRC2:TIDIG_COMP_CNT: 1
	.section	.text._ZL15flash_attn_tileILi128ELi128ELi32ELi2ELb1EEvPKcS1_S1_S1_S1_PKiPfP15HIP_vector_typeIfLj2EEffffjfiS5_IjLj3EEiiiiiiiiiiiliiliiiiil,"axG",@progbits,_ZL15flash_attn_tileILi128ELi128ELi32ELi2ELb1EEvPKcS1_S1_S1_S1_PKiPfP15HIP_vector_typeIfLj2EEffffjfiS5_IjLj3EEiiiiiiiiiiiliiliiiiil,comdat
	.globl	_ZL15flash_attn_tileILi128ELi128ELi32ELi2ELb1EEvPKcS1_S1_S1_S1_PKiPfP15HIP_vector_typeIfLj2EEffffjfiS5_IjLj3EEiiiiiiiiiiiliiliiiiil ; -- Begin function _ZL15flash_attn_tileILi128ELi128ELi32ELi2ELb1EEvPKcS1_S1_S1_S1_PKiPfP15HIP_vector_typeIfLj2EEffffjfiS5_IjLj3EEiiiiiiiiiiiliiliiiiil
	.p2align	8
	.type	_ZL15flash_attn_tileILi128ELi128ELi32ELi2ELb1EEvPKcS1_S1_S1_S1_PKiPfP15HIP_vector_typeIfLj2EEffffjfiS5_IjLj3EEiiiiiiiiiiiliiliiiiil,@function
_ZL15flash_attn_tileILi128ELi128ELi32ELi2ELb1EEvPKcS1_S1_S1_S1_PKiPfP15HIP_vector_typeIfLj2EEffffjfiS5_IjLj3EEiiiiiiiiiiiliiliiiiil: ; @_ZL15flash_attn_tileILi128ELi128ELi32ELi2ELb1EEvPKcS1_S1_S1_S1_PKiPfP15HIP_vector_typeIfLj2EEffffjfiS5_IjLj3EEiiiiiiiiiiiliiliiiiil
; %bb.0:
	s_clause 0x1
	s_load_b128 s[20:23], s[0:1], 0x5c
	s_load_b64 s[30:31], s[0:1], 0x80
	s_lshr_b32 s5, ttmp7, 16
	s_load_b64 s[38:39], s[0:1], 0xb8
	s_mov_b32 s37, 0
	s_mov_b64 s[34:35], 0
	s_wait_kmcnt 0x0
	s_lshr_b32 s2, s23, 31
	s_delay_alu instid0(SALU_CYCLE_1) | instskip(NEXT) | instid1(SALU_CYCLE_1)
	s_add_co_i32 s2, s23, s2
	s_ashr_i32 s2, s2, 1
	s_delay_alu instid0(SALU_CYCLE_1) | instskip(SKIP_1) | instid1(SALU_CYCLE_2)
	s_cvt_f32_u32 s3, s2
	s_sub_co_i32 s4, 0, s2
	v_rcp_iflag_f32_e32 v1, s3
	s_delay_alu instid0(TRANS32_DEP_1) | instskip(SKIP_2) | instid1(SALU_CYCLE_2)
	v_readfirstlane_b32 s3, v1
	s_mul_f32 s3, s3, 0x4f7ffffe
	s_wait_alu 0xfffe
	s_cvt_u32_f32 s3, s3
	s_wait_alu 0xfffe
	s_delay_alu instid0(SALU_CYCLE_2) | instskip(NEXT) | instid1(SALU_CYCLE_1)
	s_mul_i32 s4, s4, s3
	s_mul_hi_u32 s4, s3, s4
	s_delay_alu instid0(SALU_CYCLE_1)
	s_add_co_i32 s3, s3, s4
	s_wait_alu 0xfffe
	s_mul_hi_u32 s3, s5, s3
	s_wait_alu 0xfffe
	s_mul_i32 s4, s3, s2
	s_add_co_i32 s6, s3, 1
	s_sub_co_i32 s4, s5, s4
	s_delay_alu instid0(SALU_CYCLE_1)
	s_sub_co_i32 s7, s4, s2
	s_cmp_ge_u32 s4, s2
	s_cselect_b32 s3, s6, s3
	s_cselect_b32 s4, s7, s4
	s_wait_alu 0xfffe
	s_add_co_i32 s6, s3, 1
	s_cmp_ge_u32 s4, s2
	s_cselect_b32 s28, s6, s3
	s_abs_i32 s3, s31
	s_abs_i32 s7, s23
	s_wait_alu 0xfffe
	s_cvt_f32_u32 s2, s3
	s_sub_co_i32 s4, 0, s3
	s_lshl_b32 s5, s5, 1
	s_mul_i32 s6, s28, s23
	s_wait_alu 0xfffe
	v_rcp_iflag_f32_e32 v1, s2
	s_delay_alu instid0(TRANS32_DEP_1) | instskip(SKIP_2) | instid1(SALU_CYCLE_2)
	v_readfirstlane_b32 s2, v1
	s_mul_f32 s2, s2, 0x4f7ffffe
	s_wait_alu 0xfffe
	s_cvt_u32_f32 s2, s2
	s_wait_alu 0xfffe
	s_delay_alu instid0(SALU_CYCLE_2) | instskip(NEXT) | instid1(SALU_CYCLE_1)
	s_mul_i32 s4, s4, s2
	s_mul_hi_u32 s4, s2, s4
	s_delay_alu instid0(SALU_CYCLE_1)
	s_add_co_i32 s4, s2, s4
	s_sub_co_i32 s2, s5, s6
	s_mul_hi_u32 s4, s7, s4
	s_xor_b32 s5, s23, s31
	s_mul_i32 s6, s4, s3
	s_ashr_i32 s24, s5, 31
	s_sub_co_i32 s5, s7, s6
	s_add_co_i32 s6, s4, 1
	s_sub_co_i32 s7, s5, s3
	s_cmp_ge_u32 s5, s3
	s_cselect_b32 s4, s6, s4
	s_cselect_b32 s5, s7, s5
	s_add_co_i32 s6, s4, 1
	s_cmp_ge_u32 s5, s3
	s_cselect_b32 s3, s6, s4
	s_load_b512 s[4:19], s[0:1], 0x0
	s_xor_b32 s3, s3, s24
	s_wait_alu 0xfffe
	s_sub_co_i32 s40, s3, s24
	s_delay_alu instid0(SALU_CYCLE_1) | instskip(NEXT) | instid1(SALU_CYCLE_1)
	s_abs_i32 s33, s40
	s_cvt_f32_u32 s3, s33
	s_wait_alu 0xfffe
	s_delay_alu instid0(SALU_CYCLE_2) | instskip(SKIP_2) | instid1(TRANS32_DEP_1)
	v_rcp_iflag_f32_e32 v1, s3
	s_wait_kmcnt 0x0
	s_cmp_eq_u64 s[10:11], 0
	v_readfirstlane_b32 s3, v1
	s_cbranch_scc1 .LBB80_2
; %bb.1:
	s_abs_i32 s26, s38
	s_delay_alu instid0(SALU_CYCLE_1) | instskip(NEXT) | instid1(SALU_CYCLE_3)
	s_cvt_f32_u32 s24, s26
	v_rcp_iflag_f32_e32 v1, s24
	s_delay_alu instid0(TRANS32_DEP_1) | instskip(SKIP_2) | instid1(SALU_CYCLE_2)
	v_readfirstlane_b32 s24, v1
	s_mul_f32 s24, s24, 0x4f7ffffe
	s_wait_alu 0xfffe
	s_cvt_u32_f32 s27, s24
	s_sub_co_i32 s24, 0, s26
	s_wait_alu 0xfffe
	s_delay_alu instid0(SALU_CYCLE_1) | instskip(SKIP_4) | instid1(SALU_CYCLE_1)
	s_mul_i32 s24, s24, s27
	s_wait_alu 0xfffe
	s_mul_hi_u32 s29, s27, s24
	s_load_b64 s[24:25], s[0:1], 0xc8
	s_add_co_i32 s27, s27, s29
	s_mul_hi_u32 s27, s28, s27
	s_delay_alu instid0(SALU_CYCLE_1) | instskip(NEXT) | instid1(SALU_CYCLE_1)
	s_mul_i32 s27, s27, s26
	s_sub_co_i32 s27, s28, s27
	s_delay_alu instid0(SALU_CYCLE_1) | instskip(SKIP_2) | instid1(SALU_CYCLE_1)
	s_sub_co_i32 s29, s27, s26
	s_cmp_ge_u32 s27, s26
	s_cselect_b32 s27, s29, s27
	s_sub_co_i32 s29, s27, s26
	s_cmp_ge_u32 s27, s26
	s_cselect_b32 s26, s29, s27
	s_delay_alu instid0(SALU_CYCLE_1)
	s_ashr_i32 s27, s26, 31
	s_wait_kmcnt 0x0
	s_mul_u64 s[24:25], s[24:25], s[26:27]
	s_wait_alu 0xfffe
	s_add_nc_u64 s[34:35], s[10:11], s[24:25]
.LBB80_2:
	v_bfe_u32 v1, v0, 10, 10
	s_lshl_b32 s31, ttmp9, 5
	s_load_b96 s[24:26], s[0:1], 0x70
	v_and_b32_e32 v39, 0x3ff, v0
	s_delay_alu instid0(VALU_DEP_2) | instskip(SKIP_1) | instid1(VALU_DEP_3)
	v_lshlrev_b32_e32 v18, 3, v1
	v_lshlrev_b32_e32 v24, 2, v1
	;; [unrolled: 1-line block ×3, first 2 shown]
	s_delay_alu instid0(VALU_DEP_3) | instskip(NEXT) | instid1(VALU_DEP_3)
	v_or_b32_e32 v36, 2, v18
	v_add_nc_u32_e32 v25, s31, v24
	v_or_b32_e32 v56, 3, v18
	v_or_b32_e32 v57, 4, v18
	;; [unrolled: 1-line block ×3, first 2 shown]
	v_lshrrev_b32_e32 v33, 1, v36
	v_mul_hi_u32 v2, v25, s20
	v_lshrrev_b32_e32 v37, 1, v56
	v_lshrrev_b32_e32 v32, 1, v57
	;; [unrolled: 1-line block ×3, first 2 shown]
	v_add_nc_u32_e32 v35, s31, v33
	v_or_b32_e32 v59, 6, v18
	v_add_nc_u32_e32 v38, s31, v37
	s_wait_kmcnt 0x0
	s_ashr_i32 s45, s24, 31
	v_add_nc_u32_e32 v2, v25, v2
	v_mul_hi_u32 v3, v35, s20
	s_mov_b32 s44, s24
	v_mul_hi_u32 v6, v38, s20
	s_lshr_b64 s[10:11], s[44:45], 2
	v_lshrrev_b32_e32 v2, s21, v2
	s_lshr_b32 s11, s45, 2
	v_add_nc_u32_e32 v34, s31, v32
	s_mul_i32 s26, s28, s26
	v_add_nc_u32_e32 v3, v35, v3
	v_mul_lo_u32 v2, v2, s22
	v_add_nc_u32_e32 v7, v38, v6
	s_mul_i32 s42, s2, s25
	s_ashr_i32 s27, s26, 31
	v_lshrrev_b32_e32 v3, s21, v3
	s_ashr_i32 s43, s42, 31
	v_lshrrev_b32_e32 v10, s21, v7
	s_add_nc_u64 s[4:5], s[4:5], s[26:27]
	v_sub_nc_u32_e32 v2, v25, v2
	v_mul_lo_u32 v5, v3, s22
	s_ashr_i32 s47, s25, 31
	s_and_b32 s46, s25, -4
	s_add_nc_u64 s[4:5], s[4:5], s[42:43]
	v_mad_co_u64_u32 v[3:4], null, s10, v2, 0
	s_add_nc_u64 s[24:25], s[4:5], s[46:47]
	v_add_nc_u32_e32 v31, s31, v29
	v_sub_nc_u32_e32 v9, v35, v5
	v_lshrrev_b32_e32 v26, 1, v59
	v_or_b32_e32 v60, 7, v18
	s_cmp_eq_u64 s[14:15], 0
	v_mul_hi_u32 v19, v31, s20
	v_mad_co_u64_u32 v[5:6], null, s10, v9, 0
	v_add_nc_u32_e32 v30, s31, v26
	v_lshrrev_b32_e32 v27, 1, v60
	s_delay_alu instid0(VALU_DEP_1) | instskip(NEXT) | instid1(VALU_DEP_4)
	v_add_nc_u32_e32 v28, s31, v27
	v_mad_co_u64_u32 v[7:8], null, s11, v2, v[4:5]
	v_mul_lo_u32 v8, v10, s22
	v_mul_hi_u32 v10, v34, s20
	s_delay_alu instid0(VALU_DEP_4) | instskip(NEXT) | instid1(VALU_DEP_4)
	v_mul_hi_u32 v21, v28, s20
	v_mov_b32_e32 v4, v7
	v_mad_co_u64_u32 v[6:7], null, s11, v9, v[6:7]
	v_sub_nc_u32_e32 v16, v38, v8
	v_add_nc_u32_e32 v7, v34, v10
	s_delay_alu instid0(VALU_DEP_4) | instskip(SKIP_1) | instid1(VALU_DEP_4)
	v_lshlrev_b64_e32 v[3:4], 2, v[3:4]
	v_add_nc_u32_e32 v23, v28, v21
	v_mad_co_u64_u32 v[12:13], null, s10, v16, 0
	s_delay_alu instid0(VALU_DEP_4) | instskip(NEXT) | instid1(VALU_DEP_4)
	v_lshrrev_b32_e32 v20, s21, v7
	v_add_co_u32 v8, vcc_lo, s4, v3
	s_delay_alu instid0(VALU_DEP_1)
	v_add_co_ci_u32_e64 v9, null, s5, v4, vcc_lo
	s_wait_alu 0xfffe
	v_add_co_u32 v10, vcc_lo, s24, v3
	s_wait_alu 0xfffd
	v_add_co_ci_u32_e64 v11, null, s25, v4, vcc_lo
	v_add_co_u32 v3, vcc_lo, v8, v0
	s_wait_alu 0xfffd
	v_add_co_ci_u32_e64 v4, null, 0, v9, vcc_lo
	;; [unrolled: 3-line block ×3, first 2 shown]
	v_lshlrev_b64_e32 v[14:15], 2, v[5:6]
	s_clause 0x1
	global_load_b128 v[4:7], v[3:4], off
	global_load_b128 v[8:11], v[8:9], off
	v_mul_lo_u32 v3, v20, s22
	v_lshrrev_b32_e32 v23, s21, v23
	v_mad_co_u64_u32 v[16:17], null, s11, v16, v[13:14]
	v_add_nc_u32_e32 v13, v31, v19
	v_mul_hi_u32 v19, v30, s20
	v_add_co_u32 v17, vcc_lo, s4, v14
	v_sub_nc_u32_e32 v20, v34, v3
	s_delay_alu instid0(VALU_DEP_4)
	v_lshrrev_b32_e32 v3, s21, v13
	s_wait_alu 0xfffd
	v_add_co_ci_u32_e64 v18, null, s5, v15, vcc_lo
	v_mov_b32_e32 v13, v16
	v_mad_co_u64_u32 v[14:15], null, s10, v20, 0
	v_mul_lo_u32 v3, v3, s22
	v_add_nc_u32_e32 v19, v30, v19
	v_add_co_u32 v16, vcc_lo, v17, v0
	s_wait_alu 0xfffd
	v_add_co_ci_u32_e64 v17, null, 0, v18, vcc_lo
	v_lshlrev_b64_e32 v[12:13], 2, v[12:13]
	v_sub_nc_u32_e32 v22, v31, v3
	v_mov_b32_e32 v3, v15
	v_lshrrev_b32_e32 v15, s21, v19
	s_delay_alu instid0(VALU_DEP_4) | instskip(NEXT) | instid1(VALU_DEP_4)
	v_add_co_u32 v40, vcc_lo, s24, v12
	v_mad_co_u64_u32 v[18:19], null, s10, v22, 0
	s_wait_alu 0xfffd
	v_add_co_ci_u32_e64 v41, null, s25, v13, vcc_lo
	s_wait_loadcnt 0x1
	v_mad_co_u64_u32 v[20:21], null, s11, v20, v[3:4]
	v_mul_lo_u32 v21, v15, s22
	s_delay_alu instid0(VALU_DEP_4) | instskip(SKIP_1) | instid1(VALU_DEP_4)
	v_mov_b32_e32 v3, v19
	v_mul_lo_u32 v19, v23, s22
	v_mov_b32_e32 v15, v20
	s_delay_alu instid0(VALU_DEP_3) | instskip(SKIP_2) | instid1(VALU_DEP_4)
	v_mad_co_u64_u32 v[12:13], null, s11, v22, v[3:4]
	v_sub_nc_u32_e32 v42, v30, v21
	v_add_co_u32 v22, vcc_lo, v40, v0
	v_lshlrev_b64_e32 v[13:14], 2, v[14:15]
	s_wait_alu 0xfffd
	v_add_co_ci_u32_e64 v23, null, 0, v41, vcc_lo
	v_mad_co_u64_u32 v[20:21], null, s10, v42, 0
	s_delay_alu instid0(VALU_DEP_1) | instskip(NEXT) | instid1(VALU_DEP_4)
	v_mov_b32_e32 v3, v21
	v_add_co_u32 v21, vcc_lo, s4, v13
	s_wait_alu 0xfffd
	v_add_co_ci_u32_e64 v41, null, s5, v14, vcc_lo
	s_delay_alu instid0(VALU_DEP_3) | instskip(NEXT) | instid1(VALU_DEP_3)
	v_mad_co_u64_u32 v[14:15], null, s11, v42, v[3:4]
	v_add_co_u32 v40, vcc_lo, v21, v0
	s_wait_alu 0xfffd
	s_delay_alu instid0(VALU_DEP_3) | instskip(NEXT) | instid1(VALU_DEP_3)
	v_add_co_ci_u32_e64 v41, null, 0, v41, vcc_lo
	v_mov_b32_e32 v21, v14
	v_sub_nc_u32_e32 v43, v28, v19
	v_mov_b32_e32 v19, v12
	s_delay_alu instid0(VALU_DEP_3) | instskip(NEXT) | instid1(VALU_DEP_3)
	v_lshlrev_b64_e32 v[20:21], 2, v[20:21]
	v_mad_co_u64_u32 v[48:49], null, s10, v43, 0
	s_delay_alu instid0(VALU_DEP_3) | instskip(NEXT) | instid1(VALU_DEP_2)
	v_lshlrev_b64_e32 v[12:13], 2, v[18:19]
	v_mov_b32_e32 v3, v49
	s_delay_alu instid0(VALU_DEP_1) | instskip(NEXT) | instid1(VALU_DEP_3)
	v_mad_co_u64_u32 v[18:19], null, s11, v43, v[3:4]
	v_add_co_u32 v3, vcc_lo, s24, v12
	s_wait_alu 0xfffd
	s_delay_alu instid0(VALU_DEP_4) | instskip(NEXT) | instid1(VALU_DEP_2)
	v_add_co_ci_u32_e64 v12, null, s25, v13, vcc_lo
	v_add_co_u32 v44, vcc_lo, v3, v0
	s_delay_alu instid0(VALU_DEP_4) | instskip(SKIP_1) | instid1(VALU_DEP_3)
	v_mov_b32_e32 v49, v18
	s_wait_alu 0xfffd
	v_add_co_ci_u32_e64 v45, null, 0, v12, vcc_lo
	s_clause 0x3
	global_load_b128 v[12:15], v[16:17], off
	global_load_b128 v[16:19], v[22:23], off
	;; [unrolled: 1-line block ×4, first 2 shown]
	v_add_co_u32 v3, vcc_lo, s4, v20
	v_lshlrev_b64_e32 v[22:23], 2, v[48:49]
	s_wait_alu 0xfffd
	v_add_co_ci_u32_e64 v21, null, s5, v21, vcc_lo
	s_load_b32 s4, s[0:1], 0x40
	v_add_co_u32 v22, vcc_lo, s24, v22
	s_wait_alu 0xfffd
	v_add_co_ci_u32_e64 v23, null, s25, v23, vcc_lo
	v_add_co_u32 v20, vcc_lo, v3, v0
	s_wait_alu 0xfffd
	v_add_co_ci_u32_e64 v21, null, 0, v21, vcc_lo
	;; [unrolled: 3-line block ×3, first 2 shown]
	s_clause 0x1
	global_load_b128 v[48:51], v[20:21], off
	global_load_b128 v[52:55], v[22:23], off
	v_lshlrev_b32_e32 v3, 3, v39
	v_lshlrev_b32_e32 v20, 11, v1
	s_wait_kmcnt 0x0
	v_fma_mixlo_f16 v4, s4, v4, 0
	v_fma_mixlo_f16 v5, s4, v5, 0
	;; [unrolled: 1-line block ×4, first 2 shown]
	s_wait_loadcnt 0x6
	v_fma_mixlo_f16 v8, s4, v8, 0
	v_fma_mixlo_f16 v9, s4, v9, 0
	;; [unrolled: 1-line block ×4, first 2 shown]
	v_lshlrev_b32_e32 v5, 16, v5
	v_and_b32_e32 v4, 0xffff, v4
	v_lshlrev_b32_e32 v7, 16, v7
	v_and_b32_e32 v6, 0xffff, v6
	;; [unrolled: 2-line block ×4, first 2 shown]
	v_or_b32_e32 v4, v5, v4
	v_or3_b32 v5, v7, v6, 0
	v_or_b32_e32 v6, v9, v8
	v_add_nc_u32_e32 v21, v3, v20
	v_or3_b32 v7, v11, v10, 0
	v_or3_b32 v4, 0, 0, v4
	v_lshl_add_u32 v22, v36, 8, v3
	v_or3_b32 v6, 0, 0, v6
	v_lshl_add_u32 v23, v56, 8, v3
	v_lshl_add_u32 v36, v57, 8, v3
	v_lshl_add_u32 v56, v58, 8, v3
	v_lshl_add_u32 v57, v59, 8, v3
	ds_store_2addr_b64 v21, v[4:5], v[6:7] offset1:32
	v_lshl_add_u32 v58, v60, 8, v3
	s_wait_loadcnt 0x5
	v_fma_mixlo_f16 v8, s4, v12, 0
	v_fma_mixlo_f16 v9, s4, v13, 0
	s_wait_loadcnt 0x4
	v_fma_mixlo_f16 v12, s4, v16, 0
	v_fma_mixlo_f16 v13, s4, v17, 0
	;; [unrolled: 3-line block ×3, first 2 shown]
	v_fma_mixlo_f16 v10, s4, v14, 0
	v_fma_mixlo_f16 v11, s4, v15, 0
	s_wait_loadcnt 0x2
	v_fma_mixlo_f16 v40, s4, v44, 0
	v_fma_mixlo_f16 v41, s4, v45, 0
	v_fma_mixlo_f16 v14, s4, v18, 0
	v_fma_mixlo_f16 v15, s4, v19, 0
	v_lshlrev_b32_e32 v9, 16, v9
	v_and_b32_e32 v8, 0xffff, v8
	v_lshlrev_b32_e32 v13, 16, v13
	v_and_b32_e32 v12, 0xffff, v12
	v_fma_mixlo_f16 v18, s4, v42, 0
	v_fma_mixlo_f16 v19, s4, v43, 0
	v_lshlrev_b32_e32 v17, 16, v17
	v_and_b32_e32 v16, 0xffff, v16
	v_fma_mixlo_f16 v42, s4, v46, 0
	v_fma_mixlo_f16 v43, s4, v47, 0
	v_lshlrev_b32_e32 v11, 16, v11
	v_and_b32_e32 v10, 0xffff, v10
	v_lshlrev_b32_e32 v41, 16, v41
	s_wait_loadcnt 0x1
	v_fma_mixlo_f16 v44, s4, v48, 0
	v_fma_mixlo_f16 v45, s4, v49, 0
	s_wait_loadcnt 0x0
	v_fma_mixlo_f16 v48, s4, v52, 0
	v_fma_mixlo_f16 v49, s4, v53, 0
	v_and_b32_e32 v40, 0xffff, v40
	v_fma_mixlo_f16 v46, s4, v50, 0
	v_fma_mixlo_f16 v47, s4, v51, 0
	v_lshlrev_b32_e32 v45, 16, v45
	v_and_b32_e32 v44, 0xffff, v44
	v_fma_mixlo_f16 v50, s4, v54, 0
	v_fma_mixlo_f16 v51, s4, v55, 0
	v_lshlrev_b32_e32 v15, 16, v15
	v_and_b32_e32 v14, 0xffff, v14
	v_lshlrev_b32_e32 v49, 16, v49
	v_and_b32_e32 v48, 0xffff, v48
	v_or_b32_e32 v4, v9, v8
	v_or_b32_e32 v6, v13, v12
	v_lshlrev_b32_e32 v19, 16, v19
	v_and_b32_e32 v18, 0xffff, v18
	v_or_b32_e32 v8, v17, v16
	v_lshlrev_b32_e32 v43, 16, v43
	v_and_b32_e32 v42, 0xffff, v42
	v_or3_b32 v5, v11, v10, 0
	v_or_b32_e32 v10, v41, v40
	v_lshlrev_b32_e32 v47, 16, v47
	v_and_b32_e32 v46, 0xffff, v46
	v_or_b32_e32 v12, v45, v44
	v_lshlrev_b32_e32 v51, 16, v51
	v_and_b32_e32 v50, 0xffff, v50
	v_or3_b32 v7, v15, v14, 0
	v_or_b32_e32 v14, v49, v48
	v_or3_b32 v4, 0, 0, v4
	v_or3_b32 v6, 0, 0, v6
	;; [unrolled: 1-line block ×10, first 2 shown]
	ds_store_b64 v22, v[4:5]
	ds_store_b64 v23, v[6:7]
	;; [unrolled: 1-line block ×6, first 2 shown]
	s_wait_dscnt 0x0
	s_barrier_signal -1
	s_barrier_wait -1
	global_inv scope:SCOPE_SE
	s_cbranch_scc1 .LBB80_4
; %bb.3:
	s_load_b32 s4, s[0:1], 0xd0
	s_mov_b32 s5, 0
	s_wait_kmcnt 0x0
	s_mul_i32 s4, s4, s28
	s_wait_alu 0xfffe
	s_add_co_i32 s4, s4, ttmp9
	s_wait_alu 0xfffe
	s_lshl_b64 s[4:5], s[4:5], 2
	s_wait_alu 0xfffe
	s_add_nc_u64 s[4:5], s[14:15], s[4:5]
	s_load_b32 s30, s[4:5], 0x0
.LBB80_4:
	s_and_b32 s4, ttmp7, 0xffff
	v_mbcnt_lo_u32_b32 v22, -1, 0
	s_wait_alu 0xfffe
	s_lshl_b32 s10, s4, 6
	s_wait_kmcnt 0x0
	s_wait_alu 0xfffe
	s_cmp_lt_i32 s10, s30
	s_cbranch_scc1 .LBB80_7
; %bb.5:
	v_mbcnt_lo_u32_b32 v8, -1, 0
	v_mov_b32_e32 v21, 32
	s_delay_alu instid0(VALU_DEP_2)
	v_xor_b32_e32 v83, 16, v8
	v_xor_b32_e32 v81, 8, v8
	;; [unrolled: 1-line block ×5, first 2 shown]
	v_lshlrev_b32_e32 v36, 2, v39
	s_mov_b32 s29, 0
	s_cbranch_execz .LBB80_8
; %bb.6:
	v_dual_mov_b32 v67, 0 :: v_dual_mov_b32 v6, 0xfeffffff
	v_dual_mov_b32 v91, 0 :: v_dual_mov_b32 v4, 0xfeffffff
	;; [unrolled: 1-line block ×16, first 2 shown]
	s_branch .LBB80_76
.LBB80_7:
                                        ; implicit-def: $vgpr8
                                        ; implicit-def: $vgpr21
                                        ; implicit-def: $vgpr83
                                        ; implicit-def: $vgpr81
                                        ; implicit-def: $vgpr80
                                        ; implicit-def: $vgpr79
                                        ; implicit-def: $vgpr77
	v_lshlrev_b32_e32 v36, 2, v39
	s_mov_b32 s29, 0
.LBB80_8:
	v_dual_mov_b32 v21, 32 :: v_dual_add_nc_u32 v8, 1, v25
	v_lshrrev_b32_e32 v4, 3, v39
	s_delay_alu instid0(VALU_DEP_3)
	v_dual_mov_b32 v53, 0 :: v_dual_and_b32 v14, 28, v36
	v_dual_mov_b32 v54, 0 :: v_dual_add_nc_u32 v9, 2, v25
	v_dual_mov_b32 v57, 0 :: v_dual_add_nc_u32 v10, 3, v25
	v_mul_hi_u32 v6, s20, v8
	v_dual_mov_b32 v55, 0 :: v_dual_add_nc_u32 v4, v4, v24
	v_dual_mov_b32 v82, 0xfeffffff :: v_dual_lshlrev_b32 v5, 2, v14
	v_mul_hi_u32 v7, s20, v9
	v_mul_hi_u32 v11, s20, v10
	s_clause 0x1
	s_load_b128 s[24:27], s[0:1], 0x98
	s_load_b64 s[42:43], s[0:1], 0x8c
	v_mad_u32_u24 v12, 0x90, v4, v5
	v_dual_mov_b32 v56, 0 :: v_dual_add_nc_u32 v5, v8, v6
	s_mul_f32 s3, s3, 0x4f7ffffe
	s_sub_co_i32 s11, 0, s33
	v_dual_mov_b32 v59, 0 :: v_dual_add_nc_u32 v6, v9, v7
	v_dual_mov_b32 v60, 0 :: v_dual_add_nc_u32 v7, v10, v11
	s_wait_alu 0xfffe
	s_cvt_u32_f32 s5, s3
	v_lshrrev_b32_e32 v11, s21, v5
	v_lshrrev_b32_e32 v13, 4, v39
	;; [unrolled: 1-line block ×3, first 2 shown]
	s_wait_alu 0xfffe
	s_mul_i32 s11, s11, s5
	s_clause 0x1
	s_load_b32 s3, s[0:1], 0x54
	s_load_b64 s[44:45], s[0:1], 0xa8
	v_mul_lo_u32 v11, v11, s22
	s_mul_hi_u32 s11, s5, s11
	s_abs_i32 s36, s2
	s_mov_b32 s15, s37
	s_wait_alu 0xfffe
	s_add_co_i32 s14, s5, s11
	v_dual_mov_b32 v58, 0 :: v_dual_add_nc_u32 v23, 0x4000, v12
	v_dual_mov_b32 v61, 0 :: v_dual_add_nc_u32 v40, 0x5200, v12
	v_lshrrev_b32_e32 v12, s21, v6
	v_mul_lo_u32 v15, v7, s22
	v_lshl_add_u32 v13, v1, 1, v13
	s_mul_u64 s[14:15], s[36:37], s[14:15]
	s_wait_kmcnt 0x0
	s_ashr_i32 s14, s26, 2
	s_ashr_i32 s26, s42, 2
	s_mul_i32 s37, s15, s33
	v_mul_lo_u32 v4, s26, v4
	v_mul_lo_u32 v12, v12, s22
	v_sub_nc_u32_e32 v11, v8, v11
	v_mul_lo_u32 v8, s14, v13
	s_ashr_i32 s38, s2, 31
	s_ashr_i32 s5, s40, 31
	s_sub_co_i32 s36, s36, s37
	s_ashr_i32 s11, s39, 1
	s_wait_alu 0xfffe
	s_xor_b32 s5, s38, s5
	s_add_co_i32 s38, s15, 1
	s_sub_co_i32 s37, s36, s33
	v_sub_nc_u32_e32 v10, v10, v15
	s_cmp_ge_u32 s36, s33
	v_dual_mov_b32 v63, 0 :: v_dual_and_b32 v18, 60, v36
	s_cselect_b32 s15, s38, s15
	s_cselect_b32 s36, s37, s36
	s_wait_alu 0xfffe
	s_add_co_i32 s37, s15, 1
	v_lshl_add_u32 v6, s26, 5, v4
	v_sub_nc_u32_e32 v9, v9, v12
	v_mul_lo_u32 v45, v10, s11
	v_lshl_add_u32 v10, s14, 4, v8
	s_cmp_ge_u32 s36, s33
	v_dual_mov_b32 v65, 0 :: v_dual_lshlrev_b32 v16, 2, v18
	s_cselect_b32 s15, s37, s15
	v_ashrrev_i32_e32 v5, 31, v4
	s_wait_alu 0xfffe
	s_xor_b32 s15, s15, s5
	v_ashrrev_i32_e32 v7, 31, v6
	v_mul_lo_u32 v43, v11, s11
	v_mul_lo_u32 v44, v9, s11
	v_ashrrev_i32_e32 v9, 31, v8
	v_ashrrev_i32_e32 v11, 31, v10
	v_mul_lo_u32 v42, v2, s11
	v_lshl_or_b32 v2, v13, 8, v16
	v_lshl_add_u32 v46, v1, 10, 0x6400
	s_mul_u64 s[24:25], s[24:25], s[28:29]
	s_mul_u64 s[36:37], s[44:45], s[28:29]
	s_wait_alu 0xfffe
	s_sub_co_i32 s5, s15, s5
	s_add_nc_u64 s[6:7], s[6:7], s[24:25]
	s_add_nc_u64 s[8:9], s[8:9], s[36:37]
	s_wait_alu 0xfffe
	s_mul_i32 s24, s5, s43
	s_mul_i32 s36, s5, s27
	s_movk_i32 s5, 0x4000
	v_lshlrev_b64_e32 v[12:13], 2, v[4:5]
	v_dual_mov_b32 v75, 0xfeffffff :: v_dual_lshlrev_b32 v50, 2, v14
	v_lshlrev_b64_e32 v[14:15], 2, v[6:7]
	v_lshlrev_b64_e32 v[16:17], 2, v[8:9]
	v_dual_mov_b32 v73, 0xfeffffff :: v_dual_lshlrev_b32 v52, 2, v18
	v_lshlrev_b64_e32 v[18:19], 2, v[10:11]
	s_wait_alu 0xfffe
	v_mad_u32_u24 v41, 0x90, v39, s5
	v_dual_mov_b32 v62, 0 :: v_dual_add_nc_u32 v47, 0x4000, v2
	v_dual_mov_b32 v67, 0 :: v_dual_add_nc_u32 v48, 0x5000, v2
	v_or_b32_e32 v49, 0x4000, v3
	v_dual_mov_b32 v64, 0 :: v_dual_add_nc_u32 v51, v46, v0
	v_dual_mov_b32 v66, 0 :: v_dual_mov_b32 v69, 0xfeffffff
	v_dual_mov_b32 v68, 0 :: v_dual_mov_b32 v11, 0xfeffffff
	;; [unrolled: 1-line block ×5, first 2 shown]
	v_mov_b32_e32 v78, 0
	v_mov_b32_e32 v74, 0
	;; [unrolled: 1-line block ×5, first 2 shown]
	s_ashr_i32 s25, s24, 31
	s_ashr_i32 s37, s36, 31
	s_wait_alu 0xfffe
	s_add_nc_u64 s[6:7], s[6:7], s[24:25]
	s_add_nc_u64 s[8:9], s[8:9], s[36:37]
	s_ashr_i32 s27, s26, 31
	s_ashr_i32 s15, s14, 31
	s_add_nc_u64 s[20:21], s[0:1], 0xd0
	s_mov_b32 s5, 0xbbbac73d
.LBB80_9:                               ; =>This Inner Loop Header: Depth=1
	s_ashr_i32 s11, s10, 31
	v_dual_mov_b32 v77, 0 :: v_dual_mov_b32 v90, 0
	s_wait_alu 0xfffe
	s_mul_u64 s[24:25], s[10:11], s[26:27]
	v_dual_mov_b32 v93, 0 :: v_dual_mov_b32 v86, 0
	s_wait_alu 0xfffe
	s_lshl_b64 s[24:25], s[24:25], 2
	v_dual_mov_b32 v91, 0 :: v_dual_mov_b32 v6, 0
	s_wait_alu 0xfffe
	s_add_nc_u64 s[24:25], s[6:7], s[24:25]
	v_dual_mov_b32 v87, 0 :: v_dual_mov_b32 v4, 0
	s_wait_alu 0xfffe
	v_add_co_u32 v0, vcc_lo, s24, v12
	s_wait_alu 0xfffd
	v_add_co_ci_u32_e64 v1, null, s25, v13, vcc_lo
	v_add_co_u32 v2, vcc_lo, s24, v14
	s_wait_alu 0xfffd
	v_add_co_ci_u32_e64 v3, null, s25, v15, vcc_lo
	;; [unrolled: 3-line block ×4, first 2 shown]
	s_clause 0x1
	global_load_b128 v[94:97], v[0:1], off
	global_load_b128 v[98:101], v[2:3], off
	v_mov_b32_e32 v79, 0
	v_dual_mov_b32 v89, 0 :: v_dual_mov_b32 v88, 0
	v_mov_b32_e32 v85, 0
	v_mov_b32_e32 v5, 0
	s_wait_loadcnt 0x1
	ds_store_b128 v23, v[94:97]
	s_wait_loadcnt 0x0
	ds_store_b128 v40, v[98:101]
	s_wait_dscnt 0x0
	s_barrier_signal -1
	s_barrier_wait -1
	global_inv scope:SCOPE_SE
	ds_load_b128 v[96:99], v41
	ds_load_b128 v[100:103], v20
	ds_load_b128 v[104:107], v20 offset:256
	ds_load_b128 v[108:111], v20 offset:512
	;; [unrolled: 1-line block ×8, first 2 shown]
	v_mov_b32_e32 v94, 0
	s_wait_dscnt 0x8
	;;#ASMSTART
	v_dot2_f32_f16 v77, v96, v100, v77
	;;#ASMEND
	;;#ASMSTART
	v_dot2_f32_f16 v77, v97, v101, v77
	;;#ASMEND
	;;#ASMSTART
	v_dot2_f32_f16 v77, v98, v102, v77
	;;#ASMEND
	;;#ASMSTART
	v_dot2_f32_f16 v77, v99, v103, v77
	;;#ASMEND
	s_wait_dscnt 0x7
	;;#ASMSTART
	v_dot2_f32_f16 v93, v96, v104, v93
	;;#ASMEND
	;;#ASMSTART
	v_dot2_f32_f16 v93, v97, v105, v93
	;;#ASMEND
	;;#ASMSTART
	v_dot2_f32_f16 v93, v98, v106, v93
	;;#ASMEND
	;;#ASMSTART
	v_dot2_f32_f16 v93, v99, v107, v93
	;;#ASMEND
	;; [unrolled: 13-line block ×8, first 2 shown]
	;;#ASMSTART
	v_dot2_f32_f16 v79, v116, v100, v79
	;;#ASMEND
	;;#ASMSTART
	v_dot2_f32_f16 v79, v117, v101, v79
	;;#ASMEND
	v_dual_mov_b32 v95, 0 :: v_dual_mov_b32 v92, 0
	;;#ASMSTART
	v_dot2_f32_f16 v79, v118, v102, v79
	;;#ASMEND
	;;#ASMSTART
	v_dot2_f32_f16 v79, v119, v103, v79
	;;#ASMEND
	;; [unrolled: 3-line block ×30, first 2 shown]
	ds_load_b128 v[96:99], v41 offset:16
	ds_load_b128 v[100:103], v20 offset:16
	;; [unrolled: 1-line block ×10, first 2 shown]
	s_wait_dscnt 0x8
	;;#ASMSTART
	v_dot2_f32_f16 v77, v96, v100, v77
	;;#ASMEND
	;;#ASMSTART
	v_dot2_f32_f16 v77, v97, v101, v77
	;;#ASMEND
	;;#ASMSTART
	v_dot2_f32_f16 v77, v98, v102, v77
	;;#ASMEND
	;;#ASMSTART
	v_dot2_f32_f16 v77, v99, v103, v77
	;;#ASMEND
	s_wait_dscnt 0x7
	;;#ASMSTART
	v_dot2_f32_f16 v93, v96, v104, v93
	;;#ASMEND
	;;#ASMSTART
	v_dot2_f32_f16 v93, v97, v105, v93
	;;#ASMEND
	;;#ASMSTART
	v_dot2_f32_f16 v93, v98, v106, v93
	;;#ASMEND
	;;#ASMSTART
	v_dot2_f32_f16 v93, v99, v107, v93
	;;#ASMEND
	;; [unrolled: 13-line block ×8, first 2 shown]
	;;#ASMSTART
	v_dot2_f32_f16 v79, v116, v100, v79
	;;#ASMEND
	;;#ASMSTART
	v_dot2_f32_f16 v79, v117, v101, v79
	;;#ASMEND
	;; [unrolled: 3-line block ×32, first 2 shown]
	ds_load_b128 v[96:99], v41 offset:32
	ds_load_b128 v[100:103], v20 offset:32
	;; [unrolled: 1-line block ×10, first 2 shown]
	s_wait_dscnt 0x8
	;;#ASMSTART
	v_dot2_f32_f16 v77, v96, v100, v77
	;;#ASMEND
	;;#ASMSTART
	v_dot2_f32_f16 v77, v97, v101, v77
	;;#ASMEND
	;;#ASMSTART
	v_dot2_f32_f16 v77, v98, v102, v77
	;;#ASMEND
	;;#ASMSTART
	v_dot2_f32_f16 v77, v99, v103, v77
	;;#ASMEND
	s_wait_dscnt 0x7
	;;#ASMSTART
	v_dot2_f32_f16 v93, v96, v104, v93
	;;#ASMEND
	;;#ASMSTART
	v_dot2_f32_f16 v93, v97, v105, v93
	;;#ASMEND
	;;#ASMSTART
	v_dot2_f32_f16 v93, v98, v106, v93
	;;#ASMEND
	;;#ASMSTART
	v_dot2_f32_f16 v93, v99, v107, v93
	;;#ASMEND
	;; [unrolled: 13-line block ×8, first 2 shown]
	;;#ASMSTART
	v_dot2_f32_f16 v79, v116, v100, v79
	;;#ASMEND
	;;#ASMSTART
	v_dot2_f32_f16 v79, v117, v101, v79
	;;#ASMEND
	;; [unrolled: 3-line block ×32, first 2 shown]
	ds_load_b128 v[96:99], v41 offset:48
	ds_load_b128 v[100:103], v20 offset:48
	ds_load_b128 v[104:107], v20 offset:304
	ds_load_b128 v[108:111], v20 offset:560
	ds_load_b128 v[112:115], v20 offset:816
	ds_load_b128 v[116:119], v41 offset:4656
	ds_load_b128 v[120:123], v20 offset:1072
	ds_load_b128 v[124:127], v20 offset:1328
	ds_load_b128 v[128:131], v20 offset:1584
	ds_load_b128 v[132:135], v20 offset:1840
	s_wait_dscnt 0x8
	;;#ASMSTART
	v_dot2_f32_f16 v77, v96, v100, v77
	;;#ASMEND
	;;#ASMSTART
	v_dot2_f32_f16 v77, v97, v101, v77
	;;#ASMEND
	;;#ASMSTART
	v_dot2_f32_f16 v77, v98, v102, v77
	;;#ASMEND
	;;#ASMSTART
	v_dot2_f32_f16 v77, v99, v103, v77
	;;#ASMEND
	s_wait_dscnt 0x7
	;;#ASMSTART
	v_dot2_f32_f16 v93, v96, v104, v93
	;;#ASMEND
	;;#ASMSTART
	v_dot2_f32_f16 v93, v97, v105, v93
	;;#ASMEND
	;;#ASMSTART
	v_dot2_f32_f16 v93, v98, v106, v93
	;;#ASMEND
	;;#ASMSTART
	v_dot2_f32_f16 v93, v99, v107, v93
	;;#ASMEND
	;; [unrolled: 13-line block ×8, first 2 shown]
	;;#ASMSTART
	v_dot2_f32_f16 v79, v116, v100, v79
	;;#ASMEND
	;;#ASMSTART
	v_dot2_f32_f16 v79, v117, v101, v79
	;;#ASMEND
	;; [unrolled: 3-line block ×32, first 2 shown]
	ds_load_b128 v[96:99], v41 offset:64
	ds_load_b128 v[100:103], v20 offset:64
	;; [unrolled: 1-line block ×10, first 2 shown]
	s_wait_dscnt 0x8
	;;#ASMSTART
	v_dot2_f32_f16 v77, v96, v100, v77
	;;#ASMEND
	;;#ASMSTART
	v_dot2_f32_f16 v77, v97, v101, v77
	;;#ASMEND
	;;#ASMSTART
	v_dot2_f32_f16 v77, v98, v102, v77
	;;#ASMEND
	;;#ASMSTART
	v_dot2_f32_f16 v77, v99, v103, v77
	;;#ASMEND
	s_wait_dscnt 0x7
	;;#ASMSTART
	v_dot2_f32_f16 v93, v96, v104, v93
	;;#ASMEND
	;;#ASMSTART
	v_dot2_f32_f16 v93, v97, v105, v93
	;;#ASMEND
	;;#ASMSTART
	v_dot2_f32_f16 v93, v98, v106, v93
	;;#ASMEND
	;;#ASMSTART
	v_dot2_f32_f16 v93, v99, v107, v93
	;;#ASMEND
	;; [unrolled: 13-line block ×8, first 2 shown]
	;;#ASMSTART
	v_dot2_f32_f16 v79, v116, v100, v79
	;;#ASMEND
	;;#ASMSTART
	v_dot2_f32_f16 v79, v117, v101, v79
	;;#ASMEND
	;;#ASMSTART
	v_dot2_f32_f16 v79, v118, v102, v79
	;;#ASMEND
	;;#ASMSTART
	v_dot2_f32_f16 v79, v119, v103, v79
	;;#ASMEND
	;;#ASMSTART
	v_dot2_f32_f16 v95, v116, v104, v95
	;;#ASMEND
	;;#ASMSTART
	v_dot2_f32_f16 v95, v117, v105, v95
	;;#ASMEND
	;;#ASMSTART
	v_dot2_f32_f16 v95, v118, v106, v95
	;;#ASMEND
	;;#ASMSTART
	v_dot2_f32_f16 v95, v119, v107, v95
	;;#ASMEND
	;;#ASMSTART
	v_dot2_f32_f16 v94, v116, v108, v94
	;;#ASMEND
	;;#ASMSTART
	v_dot2_f32_f16 v94, v117, v109, v94
	;;#ASMEND
	;;#ASMSTART
	v_dot2_f32_f16 v94, v118, v110, v94
	;;#ASMEND
	;;#ASMSTART
	v_dot2_f32_f16 v94, v119, v111, v94
	;;#ASMEND
	;;#ASMSTART
	v_dot2_f32_f16 v92, v116, v112, v92
	;;#ASMEND
	;;#ASMSTART
	v_dot2_f32_f16 v92, v117, v113, v92
	;;#ASMEND
	;;#ASMSTART
	v_dot2_f32_f16 v92, v118, v114, v92
	;;#ASMEND
	;;#ASMSTART
	v_dot2_f32_f16 v92, v119, v115, v92
	;;#ASMEND
	;;#ASMSTART
	v_dot2_f32_f16 v89, v116, v120, v89
	;;#ASMEND
	;;#ASMSTART
	v_dot2_f32_f16 v89, v117, v121, v89
	;;#ASMEND
	;;#ASMSTART
	v_dot2_f32_f16 v89, v118, v122, v89
	;;#ASMEND
	;;#ASMSTART
	v_dot2_f32_f16 v89, v119, v123, v89
	;;#ASMEND
	;;#ASMSTART
	v_dot2_f32_f16 v88, v116, v124, v88
	;;#ASMEND
	;;#ASMSTART
	v_dot2_f32_f16 v88, v117, v125, v88
	;;#ASMEND
	;;#ASMSTART
	v_dot2_f32_f16 v88, v118, v126, v88
	;;#ASMEND
	;;#ASMSTART
	v_dot2_f32_f16 v88, v119, v127, v88
	;;#ASMEND
	;;#ASMSTART
	v_dot2_f32_f16 v85, v116, v128, v85
	;;#ASMEND
	;;#ASMSTART
	v_dot2_f32_f16 v85, v117, v129, v85
	;;#ASMEND
	;;#ASMSTART
	v_dot2_f32_f16 v85, v118, v130, v85
	;;#ASMEND
	;;#ASMSTART
	v_dot2_f32_f16 v85, v119, v131, v85
	;;#ASMEND
	;;#ASMSTART
	v_dot2_f32_f16 v5, v116, v132, v5
	;;#ASMEND
	;;#ASMSTART
	v_dot2_f32_f16 v5, v117, v133, v5
	;;#ASMEND
	;;#ASMSTART
	v_dot2_f32_f16 v5, v118, v134, v5
	;;#ASMEND
	;;#ASMSTART
	v_dot2_f32_f16 v5, v119, v135, v5
	;;#ASMEND
	ds_load_b128 v[96:99], v41 offset:80
	ds_load_b128 v[100:103], v20 offset:80
	;; [unrolled: 1-line block ×10, first 2 shown]
	s_wait_dscnt 0x8
	;;#ASMSTART
	v_dot2_f32_f16 v77, v96, v100, v77
	;;#ASMEND
	;;#ASMSTART
	v_dot2_f32_f16 v77, v97, v101, v77
	;;#ASMEND
	;;#ASMSTART
	v_dot2_f32_f16 v77, v98, v102, v77
	;;#ASMEND
	;;#ASMSTART
	v_dot2_f32_f16 v77, v99, v103, v77
	;;#ASMEND
	s_wait_dscnt 0x7
	;;#ASMSTART
	v_dot2_f32_f16 v93, v96, v104, v93
	;;#ASMEND
	;;#ASMSTART
	v_dot2_f32_f16 v93, v97, v105, v93
	;;#ASMEND
	;;#ASMSTART
	v_dot2_f32_f16 v93, v98, v106, v93
	;;#ASMEND
	;;#ASMSTART
	v_dot2_f32_f16 v93, v99, v107, v93
	;;#ASMEND
	s_wait_dscnt 0x6
	;;#ASMSTART
	v_dot2_f32_f16 v91, v96, v108, v91
	;;#ASMEND
	;;#ASMSTART
	v_dot2_f32_f16 v91, v97, v109, v91
	;;#ASMEND
	;;#ASMSTART
	v_dot2_f32_f16 v91, v98, v110, v91
	;;#ASMEND
	;;#ASMSTART
	v_dot2_f32_f16 v91, v99, v111, v91
	;;#ASMEND
	s_wait_dscnt 0x5
	;;#ASMSTART
	v_dot2_f32_f16 v90, v96, v112, v90
	;;#ASMEND
	;;#ASMSTART
	v_dot2_f32_f16 v90, v97, v113, v90
	;;#ASMEND
	;;#ASMSTART
	v_dot2_f32_f16 v90, v98, v114, v90
	;;#ASMEND
	;;#ASMSTART
	v_dot2_f32_f16 v90, v99, v115, v90
	;;#ASMEND
	s_wait_dscnt 0x3
	;;#ASMSTART
	v_dot2_f32_f16 v87, v96, v120, v87
	;;#ASMEND
	;;#ASMSTART
	v_dot2_f32_f16 v87, v97, v121, v87
	;;#ASMEND
	;;#ASMSTART
	v_dot2_f32_f16 v87, v98, v122, v87
	;;#ASMEND
	;;#ASMSTART
	v_dot2_f32_f16 v87, v99, v123, v87
	;;#ASMEND
	s_wait_dscnt 0x2
	;;#ASMSTART
	v_dot2_f32_f16 v86, v96, v124, v86
	;;#ASMEND
	;;#ASMSTART
	v_dot2_f32_f16 v86, v97, v125, v86
	;;#ASMEND
	;;#ASMSTART
	v_dot2_f32_f16 v86, v98, v126, v86
	;;#ASMEND
	;;#ASMSTART
	v_dot2_f32_f16 v86, v99, v127, v86
	;;#ASMEND
	s_wait_dscnt 0x1
	;;#ASMSTART
	v_dot2_f32_f16 v6, v96, v128, v6
	;;#ASMEND
	;;#ASMSTART
	v_dot2_f32_f16 v6, v97, v129, v6
	;;#ASMEND
	;;#ASMSTART
	v_dot2_f32_f16 v6, v98, v130, v6
	;;#ASMEND
	;;#ASMSTART
	v_dot2_f32_f16 v6, v99, v131, v6
	;;#ASMEND
	s_wait_dscnt 0x0
	;;#ASMSTART
	v_dot2_f32_f16 v4, v96, v132, v4
	;;#ASMEND
	;;#ASMSTART
	v_dot2_f32_f16 v4, v97, v133, v4
	;;#ASMEND
	;;#ASMSTART
	v_dot2_f32_f16 v4, v98, v134, v4
	;;#ASMEND
	;;#ASMSTART
	v_dot2_f32_f16 v4, v99, v135, v4
	;;#ASMEND
	;;#ASMSTART
	v_dot2_f32_f16 v79, v116, v100, v79
	;;#ASMEND
	;;#ASMSTART
	v_dot2_f32_f16 v79, v117, v101, v79
	;;#ASMEND
	;; [unrolled: 3-line block ×32, first 2 shown]
	ds_load_b128 v[96:99], v41 offset:96
	ds_load_b128 v[100:103], v20 offset:96
	;; [unrolled: 1-line block ×10, first 2 shown]
	s_wait_dscnt 0x8
	;;#ASMSTART
	v_dot2_f32_f16 v77, v96, v100, v77
	;;#ASMEND
	;;#ASMSTART
	v_dot2_f32_f16 v77, v97, v101, v77
	;;#ASMEND
	;;#ASMSTART
	v_dot2_f32_f16 v77, v98, v102, v77
	;;#ASMEND
	;;#ASMSTART
	v_dot2_f32_f16 v77, v99, v103, v77
	;;#ASMEND
	s_wait_dscnt 0x7
	;;#ASMSTART
	v_dot2_f32_f16 v93, v96, v104, v93
	;;#ASMEND
	;;#ASMSTART
	v_dot2_f32_f16 v93, v97, v105, v93
	;;#ASMEND
	;;#ASMSTART
	v_dot2_f32_f16 v93, v98, v106, v93
	;;#ASMEND
	;;#ASMSTART
	v_dot2_f32_f16 v93, v99, v107, v93
	;;#ASMEND
	;; [unrolled: 13-line block ×8, first 2 shown]
	;;#ASMSTART
	v_dot2_f32_f16 v79, v116, v100, v79
	;;#ASMEND
	;;#ASMSTART
	v_dot2_f32_f16 v79, v117, v101, v79
	;;#ASMEND
	;; [unrolled: 3-line block ×32, first 2 shown]
	ds_load_b128 v[96:99], v41 offset:112
	ds_load_b128 v[100:103], v20 offset:112
	;; [unrolled: 1-line block ×10, first 2 shown]
	s_wait_dscnt 0x8
	;;#ASMSTART
	v_dot2_f32_f16 v77, v96, v100, v77
	;;#ASMEND
	;;#ASMSTART
	v_dot2_f32_f16 v77, v97, v101, v77
	;;#ASMEND
	;;#ASMSTART
	v_dot2_f32_f16 v77, v98, v102, v77
	;;#ASMEND
	;;#ASMSTART
	v_dot2_f32_f16 v77, v99, v103, v77
	;;#ASMEND
	s_wait_dscnt 0x7
	;;#ASMSTART
	v_dot2_f32_f16 v93, v96, v104, v93
	;;#ASMEND
	;;#ASMSTART
	v_dot2_f32_f16 v93, v97, v105, v93
	;;#ASMEND
	;;#ASMSTART
	v_dot2_f32_f16 v93, v98, v106, v93
	;;#ASMEND
	;;#ASMSTART
	v_dot2_f32_f16 v93, v99, v107, v93
	;;#ASMEND
	;; [unrolled: 13-line block ×8, first 2 shown]
	;;#ASMSTART
	v_dot2_f32_f16 v79, v116, v100, v79
	;;#ASMEND
	;;#ASMSTART
	v_dot2_f32_f16 v79, v117, v101, v79
	;;#ASMEND
	;; [unrolled: 3-line block ×32, first 2 shown]
	s_wait_loadcnt 0x0
	s_barrier_signal -1
	s_barrier_wait -1
	global_inv scope:SCOPE_SE
	s_clause 0x1
	global_load_b128 v[96:99], v[0:1], off offset:128
	global_load_b128 v[0:3], v[2:3], off offset:128
	s_wait_loadcnt 0x1
	ds_store_b128 v23, v[96:99]
	s_wait_loadcnt 0x0
	ds_store_b128 v40, v[0:3]
	s_wait_dscnt 0x0
	s_barrier_signal -1
	s_barrier_wait -1
	global_inv scope:SCOPE_SE
	ds_load_b128 v[0:3], v41
	ds_load_b128 v[96:99], v20 offset:128
	ds_load_b128 v[100:103], v20 offset:384
	;; [unrolled: 1-line block ×9, first 2 shown]
	s_wait_dscnt 0x8
	;;#ASMSTART
	v_dot2_f32_f16 v77, v0, v96, v77
	;;#ASMEND
	;;#ASMSTART
	v_dot2_f32_f16 v77, v1, v97, v77
	;;#ASMEND
	;;#ASMSTART
	v_dot2_f32_f16 v77, v2, v98, v77
	;;#ASMEND
	;;#ASMSTART
	v_dot2_f32_f16 v77, v3, v99, v77
	;;#ASMEND
	s_wait_dscnt 0x7
	;;#ASMSTART
	v_dot2_f32_f16 v93, v0, v100, v93
	;;#ASMEND
	;;#ASMSTART
	v_dot2_f32_f16 v93, v1, v101, v93
	;;#ASMEND
	;;#ASMSTART
	v_dot2_f32_f16 v93, v2, v102, v93
	;;#ASMEND
	;;#ASMSTART
	v_dot2_f32_f16 v93, v3, v103, v93
	;;#ASMEND
	;; [unrolled: 13-line block ×8, first 2 shown]
	;;#ASMSTART
	v_dot2_f32_f16 v79, v112, v96, v79
	;;#ASMEND
	;;#ASMSTART
	v_dot2_f32_f16 v79, v113, v97, v79
	;;#ASMEND
	;; [unrolled: 3-line block ×32, first 2 shown]
	ds_load_b128 v[0:3], v41 offset:16
	ds_load_b128 v[96:99], v20 offset:144
	;; [unrolled: 1-line block ×10, first 2 shown]
	s_wait_dscnt 0x8
	;;#ASMSTART
	v_dot2_f32_f16 v77, v0, v96, v77
	;;#ASMEND
	;;#ASMSTART
	v_dot2_f32_f16 v77, v1, v97, v77
	;;#ASMEND
	;;#ASMSTART
	v_dot2_f32_f16 v77, v2, v98, v77
	;;#ASMEND
	;;#ASMSTART
	v_dot2_f32_f16 v77, v3, v99, v77
	;;#ASMEND
	s_wait_dscnt 0x7
	;;#ASMSTART
	v_dot2_f32_f16 v93, v0, v100, v93
	;;#ASMEND
	;;#ASMSTART
	v_dot2_f32_f16 v93, v1, v101, v93
	;;#ASMEND
	;;#ASMSTART
	v_dot2_f32_f16 v93, v2, v102, v93
	;;#ASMEND
	;;#ASMSTART
	v_dot2_f32_f16 v93, v3, v103, v93
	;;#ASMEND
	s_wait_dscnt 0x6
	;;#ASMSTART
	v_dot2_f32_f16 v91, v0, v104, v91
	;;#ASMEND
	;;#ASMSTART
	v_dot2_f32_f16 v91, v1, v105, v91
	;;#ASMEND
	;;#ASMSTART
	v_dot2_f32_f16 v91, v2, v106, v91
	;;#ASMEND
	;;#ASMSTART
	v_dot2_f32_f16 v91, v3, v107, v91
	;;#ASMEND
	s_wait_dscnt 0x5
	;;#ASMSTART
	v_dot2_f32_f16 v90, v0, v108, v90
	;;#ASMEND
	;;#ASMSTART
	v_dot2_f32_f16 v90, v1, v109, v90
	;;#ASMEND
	;;#ASMSTART
	v_dot2_f32_f16 v90, v2, v110, v90
	;;#ASMEND
	;;#ASMSTART
	v_dot2_f32_f16 v90, v3, v111, v90
	;;#ASMEND
	s_wait_dscnt 0x3
	;;#ASMSTART
	v_dot2_f32_f16 v87, v0, v116, v87
	;;#ASMEND
	;;#ASMSTART
	v_dot2_f32_f16 v87, v1, v117, v87
	;;#ASMEND
	;;#ASMSTART
	v_dot2_f32_f16 v87, v2, v118, v87
	;;#ASMEND
	;;#ASMSTART
	v_dot2_f32_f16 v87, v3, v119, v87
	;;#ASMEND
	s_wait_dscnt 0x2
	;;#ASMSTART
	v_dot2_f32_f16 v86, v0, v120, v86
	;;#ASMEND
	;;#ASMSTART
	v_dot2_f32_f16 v86, v1, v121, v86
	;;#ASMEND
	;;#ASMSTART
	v_dot2_f32_f16 v86, v2, v122, v86
	;;#ASMEND
	;;#ASMSTART
	v_dot2_f32_f16 v86, v3, v123, v86
	;;#ASMEND
	s_wait_dscnt 0x1
	;;#ASMSTART
	v_dot2_f32_f16 v6, v0, v124, v6
	;;#ASMEND
	;;#ASMSTART
	v_dot2_f32_f16 v6, v1, v125, v6
	;;#ASMEND
	;;#ASMSTART
	v_dot2_f32_f16 v6, v2, v126, v6
	;;#ASMEND
	;;#ASMSTART
	v_dot2_f32_f16 v6, v3, v127, v6
	;;#ASMEND
	s_wait_dscnt 0x0
	;;#ASMSTART
	v_dot2_f32_f16 v4, v0, v128, v4
	;;#ASMEND
	;;#ASMSTART
	v_dot2_f32_f16 v4, v1, v129, v4
	;;#ASMEND
	;;#ASMSTART
	v_dot2_f32_f16 v4, v2, v130, v4
	;;#ASMEND
	;;#ASMSTART
	v_dot2_f32_f16 v4, v3, v131, v4
	;;#ASMEND
	;;#ASMSTART
	v_dot2_f32_f16 v79, v112, v96, v79
	;;#ASMEND
	;;#ASMSTART
	v_dot2_f32_f16 v79, v113, v97, v79
	;;#ASMEND
	;; [unrolled: 3-line block ×32, first 2 shown]
	ds_load_b128 v[0:3], v41 offset:32
	ds_load_b128 v[96:99], v20 offset:160
	;; [unrolled: 1-line block ×10, first 2 shown]
	s_wait_dscnt 0x8
	;;#ASMSTART
	v_dot2_f32_f16 v77, v0, v96, v77
	;;#ASMEND
	;;#ASMSTART
	v_dot2_f32_f16 v77, v1, v97, v77
	;;#ASMEND
	;;#ASMSTART
	v_dot2_f32_f16 v77, v2, v98, v77
	;;#ASMEND
	;;#ASMSTART
	v_dot2_f32_f16 v77, v3, v99, v77
	;;#ASMEND
	s_wait_dscnt 0x7
	;;#ASMSTART
	v_dot2_f32_f16 v93, v0, v100, v93
	;;#ASMEND
	;;#ASMSTART
	v_dot2_f32_f16 v93, v1, v101, v93
	;;#ASMEND
	;;#ASMSTART
	v_dot2_f32_f16 v93, v2, v102, v93
	;;#ASMEND
	;;#ASMSTART
	v_dot2_f32_f16 v93, v3, v103, v93
	;;#ASMEND
	;; [unrolled: 13-line block ×8, first 2 shown]
	;;#ASMSTART
	v_dot2_f32_f16 v79, v112, v96, v79
	;;#ASMEND
	;;#ASMSTART
	v_dot2_f32_f16 v79, v113, v97, v79
	;;#ASMEND
	;; [unrolled: 3-line block ×32, first 2 shown]
	ds_load_b128 v[0:3], v41 offset:48
	ds_load_b128 v[96:99], v20 offset:176
	;; [unrolled: 1-line block ×10, first 2 shown]
	s_wait_dscnt 0x8
	;;#ASMSTART
	v_dot2_f32_f16 v77, v0, v96, v77
	;;#ASMEND
	;;#ASMSTART
	v_dot2_f32_f16 v77, v1, v97, v77
	;;#ASMEND
	;;#ASMSTART
	v_dot2_f32_f16 v77, v2, v98, v77
	;;#ASMEND
	;;#ASMSTART
	v_dot2_f32_f16 v77, v3, v99, v77
	;;#ASMEND
	s_wait_dscnt 0x7
	;;#ASMSTART
	v_dot2_f32_f16 v93, v0, v100, v93
	;;#ASMEND
	;;#ASMSTART
	v_dot2_f32_f16 v93, v1, v101, v93
	;;#ASMEND
	;;#ASMSTART
	v_dot2_f32_f16 v93, v2, v102, v93
	;;#ASMEND
	;;#ASMSTART
	v_dot2_f32_f16 v93, v3, v103, v93
	;;#ASMEND
	;; [unrolled: 13-line block ×8, first 2 shown]
	;;#ASMSTART
	v_dot2_f32_f16 v79, v112, v96, v79
	;;#ASMEND
	;;#ASMSTART
	v_dot2_f32_f16 v79, v113, v97, v79
	;;#ASMEND
	;; [unrolled: 3-line block ×32, first 2 shown]
	ds_load_b128 v[0:3], v41 offset:64
	ds_load_b128 v[96:99], v20 offset:192
	;; [unrolled: 1-line block ×10, first 2 shown]
	s_wait_dscnt 0x8
	;;#ASMSTART
	v_dot2_f32_f16 v77, v0, v96, v77
	;;#ASMEND
	;;#ASMSTART
	v_dot2_f32_f16 v77, v1, v97, v77
	;;#ASMEND
	;;#ASMSTART
	v_dot2_f32_f16 v77, v2, v98, v77
	;;#ASMEND
	;;#ASMSTART
	v_dot2_f32_f16 v77, v3, v99, v77
	;;#ASMEND
	s_wait_dscnt 0x7
	;;#ASMSTART
	v_dot2_f32_f16 v93, v0, v100, v93
	;;#ASMEND
	;;#ASMSTART
	v_dot2_f32_f16 v93, v1, v101, v93
	;;#ASMEND
	;;#ASMSTART
	v_dot2_f32_f16 v93, v2, v102, v93
	;;#ASMEND
	;;#ASMSTART
	v_dot2_f32_f16 v93, v3, v103, v93
	;;#ASMEND
	;; [unrolled: 13-line block ×8, first 2 shown]
	;;#ASMSTART
	v_dot2_f32_f16 v79, v112, v96, v79
	;;#ASMEND
	;;#ASMSTART
	v_dot2_f32_f16 v79, v113, v97, v79
	;;#ASMEND
	;; [unrolled: 3-line block ×32, first 2 shown]
	ds_load_b128 v[0:3], v41 offset:80
	ds_load_b128 v[96:99], v20 offset:208
	;; [unrolled: 1-line block ×10, first 2 shown]
	s_wait_dscnt 0x8
	;;#ASMSTART
	v_dot2_f32_f16 v77, v0, v96, v77
	;;#ASMEND
	;;#ASMSTART
	v_dot2_f32_f16 v77, v1, v97, v77
	;;#ASMEND
	;;#ASMSTART
	v_dot2_f32_f16 v77, v2, v98, v77
	;;#ASMEND
	;;#ASMSTART
	v_dot2_f32_f16 v77, v3, v99, v77
	;;#ASMEND
	s_wait_dscnt 0x7
	;;#ASMSTART
	v_dot2_f32_f16 v93, v0, v100, v93
	;;#ASMEND
	;;#ASMSTART
	v_dot2_f32_f16 v93, v1, v101, v93
	;;#ASMEND
	;;#ASMSTART
	v_dot2_f32_f16 v93, v2, v102, v93
	;;#ASMEND
	;;#ASMSTART
	v_dot2_f32_f16 v93, v3, v103, v93
	;;#ASMEND
	;; [unrolled: 13-line block ×8, first 2 shown]
	;;#ASMSTART
	v_dot2_f32_f16 v79, v112, v96, v79
	;;#ASMEND
	;;#ASMSTART
	v_dot2_f32_f16 v79, v113, v97, v79
	;;#ASMEND
	;; [unrolled: 3-line block ×32, first 2 shown]
	ds_load_b128 v[0:3], v41 offset:96
	ds_load_b128 v[96:99], v20 offset:224
	;; [unrolled: 1-line block ×10, first 2 shown]
	s_wait_dscnt 0x8
	;;#ASMSTART
	v_dot2_f32_f16 v77, v0, v96, v77
	;;#ASMEND
	;;#ASMSTART
	v_dot2_f32_f16 v77, v1, v97, v77
	;;#ASMEND
	;;#ASMSTART
	v_dot2_f32_f16 v77, v2, v98, v77
	;;#ASMEND
	;;#ASMSTART
	v_dot2_f32_f16 v77, v3, v99, v77
	;;#ASMEND
	s_wait_dscnt 0x7
	;;#ASMSTART
	v_dot2_f32_f16 v93, v0, v100, v93
	;;#ASMEND
	;;#ASMSTART
	v_dot2_f32_f16 v93, v1, v101, v93
	;;#ASMEND
	;;#ASMSTART
	v_dot2_f32_f16 v93, v2, v102, v93
	;;#ASMEND
	;;#ASMSTART
	v_dot2_f32_f16 v93, v3, v103, v93
	;;#ASMEND
	;; [unrolled: 13-line block ×8, first 2 shown]
	;;#ASMSTART
	v_dot2_f32_f16 v79, v112, v96, v79
	;;#ASMEND
	;;#ASMSTART
	v_dot2_f32_f16 v79, v113, v97, v79
	;;#ASMEND
	;; [unrolled: 3-line block ×32, first 2 shown]
	ds_load_b128 v[0:3], v41 offset:112
	ds_load_b128 v[96:99], v20 offset:240
	;; [unrolled: 1-line block ×10, first 2 shown]
	s_wait_dscnt 0x8
	;;#ASMSTART
	v_dot2_f32_f16 v77, v0, v96, v77
	;;#ASMEND
	;;#ASMSTART
	v_dot2_f32_f16 v77, v1, v97, v77
	;;#ASMEND
	;;#ASMSTART
	v_dot2_f32_f16 v77, v2, v98, v77
	;;#ASMEND
	;;#ASMSTART
	v_dot2_f32_f16 v77, v3, v99, v77
	;;#ASMEND
	s_wait_dscnt 0x7
	;;#ASMSTART
	v_dot2_f32_f16 v93, v0, v100, v93
	;;#ASMEND
	;;#ASMSTART
	v_dot2_f32_f16 v93, v1, v101, v93
	;;#ASMEND
	;;#ASMSTART
	v_dot2_f32_f16 v93, v2, v102, v93
	;;#ASMEND
	;;#ASMSTART
	v_dot2_f32_f16 v93, v3, v103, v93
	;;#ASMEND
	;; [unrolled: 13-line block ×8, first 2 shown]
	;;#ASMSTART
	v_dot2_f32_f16 v79, v112, v96, v79
	;;#ASMEND
	;;#ASMSTART
	v_dot2_f32_f16 v79, v113, v97, v79
	;;#ASMEND
	;; [unrolled: 3-line block ×25, first 2 shown]
	v_cmp_ngt_f32_e64 s24, 0x3f200000, |v77|
	;;#ASMSTART
	v_dot2_f32_f16 v85, v113, v125, v85
	;;#ASMEND
	;;#ASMSTART
	v_dot2_f32_f16 v85, v114, v126, v85
	;;#ASMEND
	;; [unrolled: 3-line block ×7, first 2 shown]
                                        ; implicit-def: $vgpr2
	s_and_saveexec_b32 s25, s24
	s_wait_alu 0xfffe
	s_xor_b32 s24, exec_lo, s25
	s_cbranch_execz .LBB80_11
; %bb.10:                               ;   in Loop: Header=BB80_9 Depth=1
	v_add_f32_e64 v0, |v77|, |v77|
	s_delay_alu instid0(VALU_DEP_1) | instskip(SKIP_1) | instid1(VALU_DEP_2)
	v_mul_f32_e32 v1, 0x3fb8aa3b, v0
	v_cmp_ngt_f32_e32 vcc_lo, 0xc2ce8ed0, v0
	v_rndne_f32_e32 v2, v1
	v_fma_f32 v3, 0x3fb8aa3b, v0, -v1
	s_delay_alu instid0(VALU_DEP_2) | instskip(NEXT) | instid1(VALU_DEP_2)
	v_sub_f32_e32 v1, v1, v2
	v_fmac_f32_e32 v3, 0x32a5705f, v0
	v_cvt_i32_f32_e32 v2, v2
	s_delay_alu instid0(VALU_DEP_2) | instskip(NEXT) | instid1(VALU_DEP_1)
	v_add_f32_e32 v1, v1, v3
	v_exp_f32_e32 v1, v1
	s_delay_alu instid0(TRANS32_DEP_1) | instskip(SKIP_1) | instid1(VALU_DEP_1)
	v_ldexp_f32 v1, v1, v2
	s_wait_alu 0xfffd
	v_cndmask_b32_e32 v1, 0, v1, vcc_lo
	v_cmp_nlt_f32_e32 vcc_lo, 0x42b17218, v0
	s_wait_alu 0xfffd
	s_delay_alu instid0(VALU_DEP_2) | instskip(NEXT) | instid1(VALU_DEP_1)
	v_cndmask_b32_e32 v0, 0x7f800000, v1, vcc_lo
	v_add_f32_e32 v0, 1.0, v0
	s_delay_alu instid0(VALU_DEP_1) | instskip(NEXT) | instid1(TRANS32_DEP_1)
	v_rcp_f32_e32 v0, v0
	v_fma_f32 v2, v0, -2.0, 1.0
.LBB80_11:                              ;   in Loop: Header=BB80_9 Depth=1
	s_wait_alu 0xfffe
	s_and_not1_saveexec_b32 s24, s24
	s_cbranch_execz .LBB80_13
; %bb.12:                               ;   in Loop: Header=BB80_9 Depth=1
	v_mul_f32_e32 v0, v77, v77
	s_delay_alu instid0(VALU_DEP_1) | instskip(NEXT) | instid1(VALU_DEP_1)
	v_fmaak_f32 v1, s5, v0, 0x3ca908c9
	v_fmaak_f32 v1, v0, v1, 0xbd5c1c4e
	s_delay_alu instid0(VALU_DEP_1) | instskip(NEXT) | instid1(VALU_DEP_1)
	v_fmaak_f32 v1, v0, v1, 0x3e088382
	v_fmaak_f32 v1, v0, v1, 0xbeaaaa99
	s_delay_alu instid0(VALU_DEP_1) | instskip(NEXT) | instid1(VALU_DEP_1)
	v_mul_f32_e64 v1, |v77|, v1
	v_fma_f32 v2, v0, v1, |v77|
.LBB80_13:                              ;   in Loop: Header=BB80_9 Depth=1
	s_wait_alu 0xfffe
	s_or_b32 exec_lo, exec_lo, s24
	v_add_nc_u32_e32 v105, s10, v39
	v_cmp_ngt_f32_e64 s24, 0x3f200000, |v79|
                                        ; implicit-def: $vgpr3
	s_delay_alu instid0(VALU_DEP_2) | instskip(NEXT) | instid1(VALU_DEP_1)
	v_add_nc_u32_e32 v0, v105, v42
	v_ashrrev_i32_e32 v1, 31, v0
	s_delay_alu instid0(VALU_DEP_1) | instskip(NEXT) | instid1(VALU_DEP_1)
	v_lshlrev_b64_e32 v[0:1], 1, v[0:1]
	v_add_co_u32 v0, vcc_lo, s34, v0
	s_wait_alu 0xfffd
	s_delay_alu instid0(VALU_DEP_2)
	v_add_co_ci_u32_e64 v1, null, s35, v1, vcc_lo
	global_load_u16 v102, v[0:1], off
	s_and_saveexec_b32 s25, s24
	s_wait_alu 0xfffe
	s_xor_b32 s24, exec_lo, s25
	s_cbranch_execz .LBB80_15
; %bb.14:                               ;   in Loop: Header=BB80_9 Depth=1
	v_add_f32_e64 v3, |v79|, |v79|
	s_delay_alu instid0(VALU_DEP_1) | instskip(SKIP_1) | instid1(VALU_DEP_2)
	v_mul_f32_e32 v80, 0x3fb8aa3b, v3
	v_cmp_ngt_f32_e32 vcc_lo, 0xc2ce8ed0, v3
	v_rndne_f32_e32 v81, v80
	v_fma_f32 v83, 0x3fb8aa3b, v3, -v80
	s_delay_alu instid0(VALU_DEP_1) | instskip(SKIP_1) | instid1(VALU_DEP_2)
	v_dual_sub_f32 v80, v80, v81 :: v_dual_fmac_f32 v83, 0x32a5705f, v3
	v_cvt_i32_f32_e32 v81, v81
	v_add_f32_e32 v80, v80, v83
	s_delay_alu instid0(VALU_DEP_1) | instskip(NEXT) | instid1(TRANS32_DEP_1)
	v_exp_f32_e32 v80, v80
	v_ldexp_f32 v80, v80, v81
	s_wait_alu 0xfffd
	s_delay_alu instid0(VALU_DEP_1) | instskip(SKIP_2) | instid1(VALU_DEP_2)
	v_cndmask_b32_e32 v80, 0, v80, vcc_lo
	v_cmp_nlt_f32_e32 vcc_lo, 0x42b17218, v3
	s_wait_alu 0xfffd
	v_cndmask_b32_e32 v3, 0x7f800000, v80, vcc_lo
	s_delay_alu instid0(VALU_DEP_1) | instskip(NEXT) | instid1(VALU_DEP_1)
	v_add_f32_e32 v3, 1.0, v3
	v_rcp_f32_e32 v3, v3
	s_delay_alu instid0(TRANS32_DEP_1)
	v_fma_f32 v3, v3, -2.0, 1.0
.LBB80_15:                              ;   in Loop: Header=BB80_9 Depth=1
	s_wait_alu 0xfffe
	s_and_not1_saveexec_b32 s24, s24
	s_cbranch_execz .LBB80_17
; %bb.16:                               ;   in Loop: Header=BB80_9 Depth=1
	v_mul_f32_e32 v3, v79, v79
	s_delay_alu instid0(VALU_DEP_1) | instskip(NEXT) | instid1(VALU_DEP_1)
	v_fmaak_f32 v80, s5, v3, 0x3ca908c9
	v_fmaak_f32 v80, v3, v80, 0xbd5c1c4e
	s_delay_alu instid0(VALU_DEP_1) | instskip(NEXT) | instid1(VALU_DEP_1)
	v_fmaak_f32 v80, v3, v80, 0x3e088382
	v_fmaak_f32 v80, v3, v80, 0xbeaaaa99
	s_delay_alu instid0(VALU_DEP_1) | instskip(NEXT) | instid1(VALU_DEP_1)
	v_mul_f32_e64 v80, |v79|, v80
	v_fma_f32 v3, v3, v80, |v79|
.LBB80_17:                              ;   in Loop: Header=BB80_9 Depth=1
	s_wait_alu 0xfffe
	s_or_b32 exec_lo, exec_lo, s24
	global_load_u16 v0, v[0:1], off offset:64
	v_bfi_b32 v1, 0x7fffffff, v2, v77
	v_bfi_b32 v2, 0x7fffffff, v3, v79
	v_xor_b32_e32 v83, 16, v22
	v_xor_b32_e32 v81, 8, v22
	v_xor_b32_e32 v80, 4, v22
	s_wait_loadcnt 0x1
	v_fma_mix_f32 v99, s3, v1, v102 op_sel_hi:[0,0,1]
	v_xor_b32_e32 v79, 2, v22
	v_cmp_gt_i32_e32 vcc_lo, 32, v83
	v_cmp_ngt_f32_e64 s24, 0x3f200000, |v93|
	s_wait_loadcnt 0x0
	v_fma_mix_f32 v100, s3, v2, v0 op_sel_hi:[0,0,1]
	s_wait_alu 0xfffd
	v_cndmask_b32_e32 v2, v22, v83, vcc_lo
	v_cmp_gt_i32_e32 vcc_lo, 32, v81
	s_delay_alu instid0(VALU_DEP_3) | instskip(NEXT) | instid1(VALU_DEP_3)
	v_add_f32_e32 v3, 0x40051340, v100
	v_dual_add_f32 v1, 0x40051340, v99 :: v_dual_lshlrev_b32 v2, 2, v2
	s_wait_alu 0xfffd
	v_cndmask_b32_e32 v77, v22, v81, vcc_lo
	v_cmp_gt_i32_e32 vcc_lo, 32, v80
	s_delay_alu instid0(VALU_DEP_3) | instskip(NEXT) | instid1(VALU_DEP_3)
	v_max3_num_f32 v1, v82, v1, v3
	v_lshlrev_b32_e32 v101, 2, v77
	s_wait_alu 0xfffd
	v_cndmask_b32_e32 v77, v22, v80, vcc_lo
	v_cmp_gt_i32_e32 vcc_lo, 32, v79
	ds_bpermute_b32 v3, v2, v1
	s_wait_alu 0xfffd
	v_dual_cndmask_b32 v77, v22, v79 :: v_dual_lshlrev_b32 v98, 2, v77
	s_delay_alu instid0(VALU_DEP_1) | instskip(SKIP_1) | instid1(VALU_DEP_1)
	v_lshlrev_b32_e32 v97, 2, v77
	v_xor_b32_e32 v77, 1, v22
	v_cmp_gt_i32_e32 vcc_lo, 32, v77
	s_wait_dscnt 0x0
	s_wait_alu 0xfffd
	v_dual_max_num_f32 v3, v3, v3 :: v_dual_cndmask_b32 v96, v22, v77
	s_delay_alu instid0(VALU_DEP_1) | instskip(SKIP_3) | instid1(VALU_DEP_1)
	v_dual_max_num_f32 v1, v1, v3 :: v_dual_lshlrev_b32 v96, 2, v96
	ds_bpermute_b32 v3, v101, v1
	s_wait_dscnt 0x0
	v_max_num_f32_e32 v3, v3, v3
	v_max_num_f32_e32 v1, v1, v3
	ds_bpermute_b32 v3, v98, v1
	s_wait_dscnt 0x0
	v_max_num_f32_e32 v3, v3, v3
	s_delay_alu instid0(VALU_DEP_1) | instskip(SKIP_3) | instid1(VALU_DEP_1)
	v_max_num_f32_e32 v1, v1, v3
	ds_bpermute_b32 v3, v97, v1
	s_wait_dscnt 0x0
	v_max_num_f32_e32 v3, v3, v3
	v_max_num_f32_e32 v3, v1, v3
                                        ; implicit-def: $vgpr1
	ds_bpermute_b32 v107, v96, v3
	s_and_saveexec_b32 s25, s24
	s_wait_alu 0xfffe
	s_xor_b32 s24, exec_lo, s25
	s_cbranch_execz .LBB80_19
; %bb.18:                               ;   in Loop: Header=BB80_9 Depth=1
	v_add_f32_e64 v1, |v93|, |v93|
	s_delay_alu instid0(VALU_DEP_1) | instskip(SKIP_1) | instid1(VALU_DEP_2)
	v_mul_f32_e32 v103, 0x3fb8aa3b, v1
	v_cmp_ngt_f32_e32 vcc_lo, 0xc2ce8ed0, v1
	v_rndne_f32_e32 v104, v103
	v_fma_f32 v106, 0x3fb8aa3b, v1, -v103
	s_delay_alu instid0(VALU_DEP_1) | instskip(SKIP_1) | instid1(VALU_DEP_2)
	v_dual_sub_f32 v103, v103, v104 :: v_dual_fmac_f32 v106, 0x32a5705f, v1
	v_cvt_i32_f32_e32 v104, v104
	v_add_f32_e32 v103, v103, v106
	s_delay_alu instid0(VALU_DEP_1) | instskip(NEXT) | instid1(TRANS32_DEP_1)
	v_exp_f32_e32 v103, v103
	v_ldexp_f32 v103, v103, v104
	s_wait_alu 0xfffd
	s_delay_alu instid0(VALU_DEP_1) | instskip(SKIP_2) | instid1(VALU_DEP_2)
	v_cndmask_b32_e32 v103, 0, v103, vcc_lo
	v_cmp_nlt_f32_e32 vcc_lo, 0x42b17218, v1
	s_wait_alu 0xfffd
	v_cndmask_b32_e32 v1, 0x7f800000, v103, vcc_lo
	s_delay_alu instid0(VALU_DEP_1) | instskip(NEXT) | instid1(VALU_DEP_1)
	v_add_f32_e32 v1, 1.0, v1
	v_rcp_f32_e32 v1, v1
	s_delay_alu instid0(TRANS32_DEP_1)
	v_fma_f32 v1, v1, -2.0, 1.0
.LBB80_19:                              ;   in Loop: Header=BB80_9 Depth=1
	s_wait_alu 0xfffe
	s_and_not1_saveexec_b32 s24, s24
	s_cbranch_execz .LBB80_21
; %bb.20:                               ;   in Loop: Header=BB80_9 Depth=1
	v_mul_f32_e32 v1, v93, v93
	s_delay_alu instid0(VALU_DEP_1) | instskip(NEXT) | instid1(VALU_DEP_1)
	v_fmaak_f32 v103, s5, v1, 0x3ca908c9
	v_fmaak_f32 v103, v1, v103, 0xbd5c1c4e
	s_delay_alu instid0(VALU_DEP_1) | instskip(NEXT) | instid1(VALU_DEP_1)
	v_fmaak_f32 v103, v1, v103, 0x3e088382
	v_fmaak_f32 v103, v1, v103, 0xbeaaaa99
	s_delay_alu instid0(VALU_DEP_1) | instskip(NEXT) | instid1(VALU_DEP_1)
	v_mul_f32_e64 v103, |v93|, v103
	v_fma_f32 v1, v1, v103, |v93|
.LBB80_21:                              ;   in Loop: Header=BB80_9 Depth=1
	s_wait_alu 0xfffe
	s_or_b32 exec_lo, exec_lo, s24
	v_cmp_ngt_f32_e64 s24, 0x3f200000, |v95|
                                        ; implicit-def: $vgpr104
	s_and_saveexec_b32 s25, s24
	s_wait_alu 0xfffe
	s_xor_b32 s24, exec_lo, s25
	s_cbranch_execz .LBB80_23
; %bb.22:                               ;   in Loop: Header=BB80_9 Depth=1
	v_add_f32_e64 v103, |v95|, |v95|
	s_delay_alu instid0(VALU_DEP_1) | instskip(SKIP_1) | instid1(VALU_DEP_2)
	v_mul_f32_e32 v104, 0x3fb8aa3b, v103
	v_cmp_ngt_f32_e32 vcc_lo, 0xc2ce8ed0, v103
	v_rndne_f32_e32 v106, v104
	v_fma_f32 v108, 0x3fb8aa3b, v103, -v104
	s_delay_alu instid0(VALU_DEP_2) | instskip(NEXT) | instid1(VALU_DEP_2)
	v_sub_f32_e32 v104, v104, v106
	v_fmac_f32_e32 v108, 0x32a5705f, v103
	v_cvt_i32_f32_e32 v106, v106
	s_delay_alu instid0(VALU_DEP_2) | instskip(NEXT) | instid1(VALU_DEP_1)
	v_add_f32_e32 v104, v104, v108
	v_exp_f32_e32 v104, v104
	s_delay_alu instid0(TRANS32_DEP_1) | instskip(SKIP_1) | instid1(VALU_DEP_1)
	v_ldexp_f32 v104, v104, v106
	s_wait_alu 0xfffd
	v_cndmask_b32_e32 v104, 0, v104, vcc_lo
	v_cmp_nlt_f32_e32 vcc_lo, 0x42b17218, v103
	s_wait_alu 0xfffd
	s_delay_alu instid0(VALU_DEP_2) | instskip(NEXT) | instid1(VALU_DEP_1)
	v_cndmask_b32_e32 v103, 0x7f800000, v104, vcc_lo
	v_add_f32_e32 v103, 1.0, v103
	s_delay_alu instid0(VALU_DEP_1) | instskip(NEXT) | instid1(TRANS32_DEP_1)
	v_rcp_f32_e32 v103, v103
	v_fma_f32 v104, v103, -2.0, 1.0
.LBB80_23:                              ;   in Loop: Header=BB80_9 Depth=1
	s_wait_alu 0xfffe
	s_and_not1_saveexec_b32 s24, s24
	s_cbranch_execz .LBB80_25
; %bb.24:                               ;   in Loop: Header=BB80_9 Depth=1
	v_mul_f32_e32 v103, v95, v95
	s_delay_alu instid0(VALU_DEP_1) | instskip(NEXT) | instid1(VALU_DEP_1)
	v_fmaak_f32 v104, s5, v103, 0x3ca908c9
	v_fmaak_f32 v104, v103, v104, 0xbd5c1c4e
	s_delay_alu instid0(VALU_DEP_1) | instskip(NEXT) | instid1(VALU_DEP_1)
	v_fmaak_f32 v104, v103, v104, 0x3e088382
	v_fmaak_f32 v104, v103, v104, 0xbeaaaa99
	s_delay_alu instid0(VALU_DEP_1) | instskip(NEXT) | instid1(VALU_DEP_1)
	v_mul_f32_e64 v104, |v95|, v104
	v_fma_f32 v104, v103, v104, |v95|
.LBB80_25:                              ;   in Loop: Header=BB80_9 Depth=1
	s_wait_alu 0xfffe
	s_or_b32 exec_lo, exec_lo, s24
	v_cvt_f32_f16_e32 v102, v102
	v_cvt_f32_f16_e32 v103, v0
	v_bfi_b32 v0, 0x7fffffff, v1, v93
	v_bfi_b32 v1, 0x7fffffff, v104, v95
	v_cmp_ngt_f32_e64 s24, 0x3f200000, |v91|
                                        ; implicit-def: $vgpr95
	s_delay_alu instid0(VALU_DEP_2) | instskip(NEXT) | instid1(VALU_DEP_1)
	v_dual_fmac_f32 v102, s3, v0 :: v_dual_fmac_f32 v103, s3, v1
	v_dual_add_f32 v0, 0x40051340, v102 :: v_dual_add_f32 v1, 0x40051340, v103
	s_delay_alu instid0(VALU_DEP_1) | instskip(SKIP_3) | instid1(VALU_DEP_1)
	v_max3_num_f32 v0, v84, v0, v1
	ds_bpermute_b32 v1, v2, v0
	s_wait_dscnt 0x0
	v_max_num_f32_e32 v1, v1, v1
	v_max_num_f32_e32 v0, v0, v1
	ds_bpermute_b32 v1, v101, v0
	s_wait_dscnt 0x0
	v_max_num_f32_e32 v1, v1, v1
	s_delay_alu instid0(VALU_DEP_1) | instskip(SKIP_3) | instid1(VALU_DEP_1)
	v_max_num_f32_e32 v0, v0, v1
	ds_bpermute_b32 v1, v98, v0
	s_wait_dscnt 0x0
	v_max_num_f32_e32 v1, v1, v1
	v_max_num_f32_e32 v0, v0, v1
	ds_bpermute_b32 v1, v97, v0
	s_wait_dscnt 0x0
	v_max_num_f32_e32 v1, v1, v1
	s_delay_alu instid0(VALU_DEP_1)
	v_max_num_f32_e32 v110, v0, v1
	ds_bpermute_b32 v111, v96, v110
	s_and_saveexec_b32 s25, s24
	s_wait_alu 0xfffe
	s_xor_b32 s24, exec_lo, s25
	s_cbranch_execz .LBB80_27
; %bb.26:                               ;   in Loop: Header=BB80_9 Depth=1
	v_add_f32_e64 v0, |v91|, |v91|
	s_delay_alu instid0(VALU_DEP_1) | instskip(SKIP_1) | instid1(VALU_DEP_2)
	v_mul_f32_e32 v1, 0x3fb8aa3b, v0
	v_cmp_ngt_f32_e32 vcc_lo, 0xc2ce8ed0, v0
	v_rndne_f32_e32 v93, v1
	v_fma_f32 v95, 0x3fb8aa3b, v0, -v1
	s_delay_alu instid0(VALU_DEP_2) | instskip(NEXT) | instid1(VALU_DEP_2)
	v_sub_f32_e32 v1, v1, v93
	v_fmac_f32_e32 v95, 0x32a5705f, v0
	v_cvt_i32_f32_e32 v93, v93
	s_delay_alu instid0(VALU_DEP_2) | instskip(NEXT) | instid1(VALU_DEP_1)
	v_add_f32_e32 v1, v1, v95
	v_exp_f32_e32 v1, v1
	s_delay_alu instid0(TRANS32_DEP_1) | instskip(SKIP_1) | instid1(VALU_DEP_1)
	v_ldexp_f32 v1, v1, v93
	s_wait_alu 0xfffd
	v_cndmask_b32_e32 v1, 0, v1, vcc_lo
	v_cmp_nlt_f32_e32 vcc_lo, 0x42b17218, v0
	s_wait_alu 0xfffd
	s_delay_alu instid0(VALU_DEP_2) | instskip(NEXT) | instid1(VALU_DEP_1)
	v_cndmask_b32_e32 v0, 0x7f800000, v1, vcc_lo
	v_add_f32_e32 v0, 1.0, v0
	s_delay_alu instid0(VALU_DEP_1) | instskip(NEXT) | instid1(TRANS32_DEP_1)
	v_rcp_f32_e32 v0, v0
	v_fma_f32 v95, v0, -2.0, 1.0
.LBB80_27:                              ;   in Loop: Header=BB80_9 Depth=1
	s_wait_alu 0xfffe
	s_and_not1_saveexec_b32 s24, s24
	s_cbranch_execz .LBB80_29
; %bb.28:                               ;   in Loop: Header=BB80_9 Depth=1
	v_mul_f32_e32 v0, v91, v91
	s_delay_alu instid0(VALU_DEP_1) | instskip(NEXT) | instid1(VALU_DEP_1)
	v_fmaak_f32 v1, s5, v0, 0x3ca908c9
	v_fmaak_f32 v1, v0, v1, 0xbd5c1c4e
	s_delay_alu instid0(VALU_DEP_1) | instskip(NEXT) | instid1(VALU_DEP_1)
	v_fmaak_f32 v1, v0, v1, 0x3e088382
	v_fmaak_f32 v1, v0, v1, 0xbeaaaa99
	s_delay_alu instid0(VALU_DEP_1) | instskip(NEXT) | instid1(VALU_DEP_1)
	v_mul_f32_e64 v1, |v91|, v1
	v_fma_f32 v95, v0, v1, |v91|
.LBB80_29:                              ;   in Loop: Header=BB80_9 Depth=1
	s_wait_alu 0xfffe
	s_or_b32 exec_lo, exec_lo, s24
	v_add_nc_u32_e32 v0, v105, v43
	v_cmp_ngt_f32_e64 s24, 0x3f200000, |v94|
                                        ; implicit-def: $vgpr104
	s_delay_alu instid0(VALU_DEP_2) | instskip(NEXT) | instid1(VALU_DEP_1)
	v_ashrrev_i32_e32 v1, 31, v0
	v_lshlrev_b64_e32 v[0:1], 1, v[0:1]
	s_delay_alu instid0(VALU_DEP_1) | instskip(SKIP_1) | instid1(VALU_DEP_2)
	v_add_co_u32 v0, vcc_lo, s34, v0
	s_wait_alu 0xfffd
	v_add_co_ci_u32_e64 v1, null, s35, v1, vcc_lo
	global_load_u16 v93, v[0:1], off
	s_and_saveexec_b32 s25, s24
	s_wait_alu 0xfffe
	s_xor_b32 s24, exec_lo, s25
	s_cbranch_execz .LBB80_31
; %bb.30:                               ;   in Loop: Header=BB80_9 Depth=1
	v_add_f32_e64 v104, |v94|, |v94|
	s_delay_alu instid0(VALU_DEP_1) | instskip(SKIP_1) | instid1(VALU_DEP_2)
	v_mul_f32_e32 v106, 0x3fb8aa3b, v104
	v_cmp_ngt_f32_e32 vcc_lo, 0xc2ce8ed0, v104
	v_rndne_f32_e32 v108, v106
	v_fma_f32 v109, 0x3fb8aa3b, v104, -v106
	s_delay_alu instid0(VALU_DEP_2) | instskip(NEXT) | instid1(VALU_DEP_2)
	v_sub_f32_e32 v106, v106, v108
	v_fmac_f32_e32 v109, 0x32a5705f, v104
	v_cvt_i32_f32_e32 v108, v108
	s_delay_alu instid0(VALU_DEP_2) | instskip(NEXT) | instid1(VALU_DEP_1)
	v_add_f32_e32 v106, v106, v109
	v_exp_f32_e32 v106, v106
	s_delay_alu instid0(TRANS32_DEP_1) | instskip(SKIP_1) | instid1(VALU_DEP_1)
	v_ldexp_f32 v106, v106, v108
	s_wait_alu 0xfffd
	v_cndmask_b32_e32 v106, 0, v106, vcc_lo
	v_cmp_nlt_f32_e32 vcc_lo, 0x42b17218, v104
	s_wait_alu 0xfffd
	s_delay_alu instid0(VALU_DEP_2) | instskip(NEXT) | instid1(VALU_DEP_1)
	v_cndmask_b32_e32 v104, 0x7f800000, v106, vcc_lo
	v_add_f32_e32 v104, 1.0, v104
	s_delay_alu instid0(VALU_DEP_1) | instskip(NEXT) | instid1(TRANS32_DEP_1)
	v_rcp_f32_e32 v104, v104
	v_fma_f32 v104, v104, -2.0, 1.0
.LBB80_31:                              ;   in Loop: Header=BB80_9 Depth=1
	s_wait_alu 0xfffe
	s_and_not1_saveexec_b32 s24, s24
	s_cbranch_execz .LBB80_33
; %bb.32:                               ;   in Loop: Header=BB80_9 Depth=1
	v_mul_f32_e32 v104, v94, v94
	s_delay_alu instid0(VALU_DEP_1) | instskip(NEXT) | instid1(VALU_DEP_1)
	v_fmaak_f32 v106, s5, v104, 0x3ca908c9
	v_fmaak_f32 v106, v104, v106, 0xbd5c1c4e
	s_delay_alu instid0(VALU_DEP_1) | instskip(NEXT) | instid1(VALU_DEP_1)
	v_fmaak_f32 v106, v104, v106, 0x3e088382
	v_fmaak_f32 v106, v104, v106, 0xbeaaaa99
	s_delay_alu instid0(VALU_DEP_1) | instskip(NEXT) | instid1(VALU_DEP_1)
	v_mul_f32_e64 v106, |v94|, v106
	v_fma_f32 v104, v104, v106, |v94|
.LBB80_33:                              ;   in Loop: Header=BB80_9 Depth=1
	s_wait_alu 0xfffe
	s_or_b32 exec_lo, exec_lo, s24
	global_load_u16 v0, v[0:1], off offset:64
	v_bfi_b32 v1, 0x7fffffff, v95, v91
	v_bfi_b32 v91, 0x7fffffff, v104, v94
	v_cmp_ngt_f32_e64 s24, 0x3f200000, |v90|
	s_wait_loadcnt 0x1
	s_delay_alu instid0(VALU_DEP_3) | instskip(NEXT) | instid1(VALU_DEP_1)
	v_fma_mix_f32 v94, s3, v1, v93 op_sel_hi:[0,0,1]
	v_add_f32_e32 v1, 0x40051340, v94
	s_wait_loadcnt 0x0
	v_fma_mix_f32 v95, s3, v91, v0 op_sel_hi:[0,0,1]
	s_delay_alu instid0(VALU_DEP_1) | instskip(NEXT) | instid1(VALU_DEP_1)
	v_add_f32_e32 v91, 0x40051340, v95
	v_max3_num_f32 v1, v76, v1, v91
	ds_bpermute_b32 v91, v2, v1
	s_wait_dscnt 0x0
	v_max_num_f32_e32 v91, v91, v91
	s_delay_alu instid0(VALU_DEP_1) | instskip(SKIP_3) | instid1(VALU_DEP_1)
	v_max_num_f32_e32 v1, v1, v91
	ds_bpermute_b32 v91, v101, v1
	s_wait_dscnt 0x0
	v_max_num_f32_e32 v91, v91, v91
	v_max_num_f32_e32 v1, v1, v91
	ds_bpermute_b32 v91, v98, v1
	s_wait_dscnt 0x0
	v_max_num_f32_e32 v91, v91, v91
	s_delay_alu instid0(VALU_DEP_1) | instskip(SKIP_3) | instid1(VALU_DEP_1)
	v_max_num_f32_e32 v1, v1, v91
	ds_bpermute_b32 v91, v97, v1
	s_wait_dscnt 0x0
	v_max_num_f32_e32 v91, v91, v91
	v_max_num_f32_e32 v112, v1, v91
                                        ; implicit-def: $vgpr1
	ds_bpermute_b32 v113, v96, v112
	s_and_saveexec_b32 s25, s24
	s_wait_alu 0xfffe
	s_xor_b32 s24, exec_lo, s25
	s_cbranch_execz .LBB80_35
; %bb.34:                               ;   in Loop: Header=BB80_9 Depth=1
	v_add_f32_e64 v1, |v90|, |v90|
	s_delay_alu instid0(VALU_DEP_1) | instskip(SKIP_1) | instid1(VALU_DEP_2)
	v_mul_f32_e32 v91, 0x3fb8aa3b, v1
	v_cmp_ngt_f32_e32 vcc_lo, 0xc2ce8ed0, v1
	v_rndne_f32_e32 v104, v91
	v_fma_f32 v106, 0x3fb8aa3b, v1, -v91
	s_delay_alu instid0(VALU_DEP_1) | instskip(SKIP_1) | instid1(VALU_DEP_2)
	v_dual_sub_f32 v91, v91, v104 :: v_dual_fmac_f32 v106, 0x32a5705f, v1
	v_cvt_i32_f32_e32 v104, v104
	v_add_f32_e32 v91, v91, v106
	s_delay_alu instid0(VALU_DEP_1) | instskip(NEXT) | instid1(TRANS32_DEP_1)
	v_exp_f32_e32 v91, v91
	v_ldexp_f32 v91, v91, v104
	s_wait_alu 0xfffd
	s_delay_alu instid0(VALU_DEP_1) | instskip(SKIP_2) | instid1(VALU_DEP_2)
	v_cndmask_b32_e32 v91, 0, v91, vcc_lo
	v_cmp_nlt_f32_e32 vcc_lo, 0x42b17218, v1
	s_wait_alu 0xfffd
	v_cndmask_b32_e32 v1, 0x7f800000, v91, vcc_lo
	s_delay_alu instid0(VALU_DEP_1) | instskip(NEXT) | instid1(VALU_DEP_1)
	v_add_f32_e32 v1, 1.0, v1
	v_rcp_f32_e32 v1, v1
	s_delay_alu instid0(TRANS32_DEP_1)
	v_fma_f32 v1, v1, -2.0, 1.0
.LBB80_35:                              ;   in Loop: Header=BB80_9 Depth=1
	s_wait_alu 0xfffe
	s_and_not1_saveexec_b32 s24, s24
	s_cbranch_execz .LBB80_37
; %bb.36:                               ;   in Loop: Header=BB80_9 Depth=1
	v_mul_f32_e32 v1, v90, v90
	s_delay_alu instid0(VALU_DEP_1) | instskip(NEXT) | instid1(VALU_DEP_1)
	v_fmaak_f32 v91, s5, v1, 0x3ca908c9
	v_fmaak_f32 v91, v1, v91, 0xbd5c1c4e
	s_delay_alu instid0(VALU_DEP_1) | instskip(NEXT) | instid1(VALU_DEP_1)
	v_fmaak_f32 v91, v1, v91, 0x3e088382
	v_fmaak_f32 v91, v1, v91, 0xbeaaaa99
	s_delay_alu instid0(VALU_DEP_1) | instskip(NEXT) | instid1(VALU_DEP_1)
	v_mul_f32_e64 v91, |v90|, v91
	v_fma_f32 v1, v1, v91, |v90|
.LBB80_37:                              ;   in Loop: Header=BB80_9 Depth=1
	s_wait_alu 0xfffe
	s_or_b32 exec_lo, exec_lo, s24
	v_cmp_ngt_f32_e64 s24, 0x3f200000, |v92|
                                        ; implicit-def: $vgpr104
	s_and_saveexec_b32 s25, s24
	s_wait_alu 0xfffe
	s_xor_b32 s24, exec_lo, s25
	s_cbranch_execz .LBB80_39
; %bb.38:                               ;   in Loop: Header=BB80_9 Depth=1
	v_add_f32_e64 v91, |v92|, |v92|
	s_delay_alu instid0(VALU_DEP_1) | instskip(SKIP_1) | instid1(VALU_DEP_2)
	v_mul_f32_e32 v104, 0x3fb8aa3b, v91
	v_cmp_ngt_f32_e32 vcc_lo, 0xc2ce8ed0, v91
	v_rndne_f32_e32 v106, v104
	v_fma_f32 v108, 0x3fb8aa3b, v91, -v104
	s_delay_alu instid0(VALU_DEP_2) | instskip(NEXT) | instid1(VALU_DEP_2)
	v_sub_f32_e32 v104, v104, v106
	v_fmac_f32_e32 v108, 0x32a5705f, v91
	v_cvt_i32_f32_e32 v106, v106
	s_delay_alu instid0(VALU_DEP_2) | instskip(NEXT) | instid1(VALU_DEP_1)
	v_add_f32_e32 v104, v104, v108
	v_exp_f32_e32 v104, v104
	s_delay_alu instid0(TRANS32_DEP_1) | instskip(SKIP_1) | instid1(VALU_DEP_1)
	v_ldexp_f32 v104, v104, v106
	s_wait_alu 0xfffd
	v_cndmask_b32_e32 v104, 0, v104, vcc_lo
	v_cmp_nlt_f32_e32 vcc_lo, 0x42b17218, v91
	s_wait_alu 0xfffd
	s_delay_alu instid0(VALU_DEP_2) | instskip(NEXT) | instid1(VALU_DEP_1)
	v_cndmask_b32_e32 v91, 0x7f800000, v104, vcc_lo
	v_add_f32_e32 v91, 1.0, v91
	s_delay_alu instid0(VALU_DEP_1) | instskip(NEXT) | instid1(TRANS32_DEP_1)
	v_rcp_f32_e32 v91, v91
	v_fma_f32 v104, v91, -2.0, 1.0
.LBB80_39:                              ;   in Loop: Header=BB80_9 Depth=1
	s_wait_alu 0xfffe
	s_and_not1_saveexec_b32 s24, s24
	s_cbranch_execz .LBB80_41
; %bb.40:                               ;   in Loop: Header=BB80_9 Depth=1
	v_mul_f32_e32 v91, v92, v92
	s_delay_alu instid0(VALU_DEP_1) | instskip(NEXT) | instid1(VALU_DEP_1)
	v_fmaak_f32 v104, s5, v91, 0x3ca908c9
	v_fmaak_f32 v104, v91, v104, 0xbd5c1c4e
	s_delay_alu instid0(VALU_DEP_1) | instskip(NEXT) | instid1(VALU_DEP_1)
	v_fmaak_f32 v104, v91, v104, 0x3e088382
	v_fmaak_f32 v104, v91, v104, 0xbeaaaa99
	s_delay_alu instid0(VALU_DEP_1) | instskip(NEXT) | instid1(VALU_DEP_1)
	v_mul_f32_e64 v104, |v92|, v104
	v_fma_f32 v104, v91, v104, |v92|
.LBB80_41:                              ;   in Loop: Header=BB80_9 Depth=1
	s_wait_alu 0xfffe
	s_or_b32 exec_lo, exec_lo, s24
	v_cvt_f32_f16_e32 v93, v93
	v_cvt_f32_f16_e32 v91, v0
	v_bfi_b32 v0, 0x7fffffff, v1, v90
	v_bfi_b32 v1, 0x7fffffff, v104, v92
	v_cmp_ngt_f32_e64 s24, 0x3f200000, |v87|
                                        ; implicit-def: $vgpr90
	s_delay_alu instid0(VALU_DEP_3) | instskip(NEXT) | instid1(VALU_DEP_3)
	v_fmac_f32_e32 v93, s3, v0
	v_fmac_f32_e32 v91, s3, v1
	s_delay_alu instid0(VALU_DEP_1) | instskip(NEXT) | instid1(VALU_DEP_1)
	v_dual_add_f32 v0, 0x40051340, v93 :: v_dual_add_f32 v1, 0x40051340, v91
	v_max3_num_f32 v0, v75, v0, v1
	ds_bpermute_b32 v1, v2, v0
	s_wait_dscnt 0x0
	v_max_num_f32_e32 v1, v1, v1
	s_delay_alu instid0(VALU_DEP_1) | instskip(SKIP_3) | instid1(VALU_DEP_1)
	v_max_num_f32_e32 v0, v0, v1
	ds_bpermute_b32 v1, v101, v0
	s_wait_dscnt 0x0
	v_max_num_f32_e32 v1, v1, v1
	v_max_num_f32_e32 v0, v0, v1
	ds_bpermute_b32 v1, v98, v0
	s_wait_dscnt 0x0
	v_max_num_f32_e32 v1, v1, v1
	s_delay_alu instid0(VALU_DEP_1) | instskip(SKIP_3) | instid1(VALU_DEP_1)
	v_max_num_f32_e32 v0, v0, v1
	ds_bpermute_b32 v1, v97, v0
	s_wait_dscnt 0x0
	v_max_num_f32_e32 v1, v1, v1
	v_max_num_f32_e32 v114, v0, v1
	ds_bpermute_b32 v115, v96, v114
	s_and_saveexec_b32 s25, s24
	s_wait_alu 0xfffe
	s_xor_b32 s24, exec_lo, s25
	s_cbranch_execz .LBB80_43
; %bb.42:                               ;   in Loop: Header=BB80_9 Depth=1
	v_add_f32_e64 v0, |v87|, |v87|
	s_delay_alu instid0(VALU_DEP_1) | instskip(SKIP_1) | instid1(VALU_DEP_2)
	v_mul_f32_e32 v1, 0x3fb8aa3b, v0
	v_cmp_ngt_f32_e32 vcc_lo, 0xc2ce8ed0, v0
	v_rndne_f32_e32 v90, v1
	v_fma_f32 v92, 0x3fb8aa3b, v0, -v1
	s_delay_alu instid0(VALU_DEP_1) | instskip(SKIP_1) | instid1(VALU_DEP_2)
	v_dual_sub_f32 v1, v1, v90 :: v_dual_fmac_f32 v92, 0x32a5705f, v0
	v_cvt_i32_f32_e32 v90, v90
	v_add_f32_e32 v1, v1, v92
	s_delay_alu instid0(VALU_DEP_1) | instskip(NEXT) | instid1(TRANS32_DEP_1)
	v_exp_f32_e32 v1, v1
	v_ldexp_f32 v1, v1, v90
	s_wait_alu 0xfffd
	s_delay_alu instid0(VALU_DEP_1) | instskip(SKIP_2) | instid1(VALU_DEP_2)
	v_cndmask_b32_e32 v1, 0, v1, vcc_lo
	v_cmp_nlt_f32_e32 vcc_lo, 0x42b17218, v0
	s_wait_alu 0xfffd
	v_cndmask_b32_e32 v0, 0x7f800000, v1, vcc_lo
	s_delay_alu instid0(VALU_DEP_1) | instskip(NEXT) | instid1(VALU_DEP_1)
	v_add_f32_e32 v0, 1.0, v0
	v_rcp_f32_e32 v0, v0
	s_delay_alu instid0(TRANS32_DEP_1)
	v_fma_f32 v90, v0, -2.0, 1.0
.LBB80_43:                              ;   in Loop: Header=BB80_9 Depth=1
	s_wait_alu 0xfffe
	s_and_not1_saveexec_b32 s24, s24
	s_cbranch_execz .LBB80_45
; %bb.44:                               ;   in Loop: Header=BB80_9 Depth=1
	v_mul_f32_e32 v0, v87, v87
	s_delay_alu instid0(VALU_DEP_1) | instskip(NEXT) | instid1(VALU_DEP_1)
	v_fmaak_f32 v1, s5, v0, 0x3ca908c9
	v_fmaak_f32 v1, v0, v1, 0xbd5c1c4e
	s_delay_alu instid0(VALU_DEP_1) | instskip(NEXT) | instid1(VALU_DEP_1)
	v_fmaak_f32 v1, v0, v1, 0x3e088382
	v_fmaak_f32 v1, v0, v1, 0xbeaaaa99
	s_delay_alu instid0(VALU_DEP_1) | instskip(NEXT) | instid1(VALU_DEP_1)
	v_mul_f32_e64 v1, |v87|, v1
	v_fma_f32 v90, v0, v1, |v87|
.LBB80_45:                              ;   in Loop: Header=BB80_9 Depth=1
	s_wait_alu 0xfffe
	s_or_b32 exec_lo, exec_lo, s24
	v_add_nc_u32_e32 v0, v105, v44
	v_cmp_ngt_f32_e64 s24, 0x3f200000, |v89|
                                        ; implicit-def: $vgpr104
	s_delay_alu instid0(VALU_DEP_2) | instskip(NEXT) | instid1(VALU_DEP_1)
	v_ashrrev_i32_e32 v1, 31, v0
	v_lshlrev_b64_e32 v[0:1], 1, v[0:1]
	s_delay_alu instid0(VALU_DEP_1) | instskip(SKIP_1) | instid1(VALU_DEP_2)
	v_add_co_u32 v0, vcc_lo, s34, v0
	s_wait_alu 0xfffd
	v_add_co_ci_u32_e64 v1, null, s35, v1, vcc_lo
	global_load_u16 v92, v[0:1], off
	s_and_saveexec_b32 s25, s24
	s_wait_alu 0xfffe
	s_xor_b32 s24, exec_lo, s25
	s_cbranch_execz .LBB80_47
; %bb.46:                               ;   in Loop: Header=BB80_9 Depth=1
	v_add_f32_e64 v104, |v89|, |v89|
	s_delay_alu instid0(VALU_DEP_1) | instskip(SKIP_1) | instid1(VALU_DEP_2)
	v_mul_f32_e32 v106, 0x3fb8aa3b, v104
	v_cmp_ngt_f32_e32 vcc_lo, 0xc2ce8ed0, v104
	v_rndne_f32_e32 v108, v106
	v_fma_f32 v109, 0x3fb8aa3b, v104, -v106
	s_delay_alu instid0(VALU_DEP_2) | instskip(NEXT) | instid1(VALU_DEP_2)
	v_sub_f32_e32 v106, v106, v108
	v_fmac_f32_e32 v109, 0x32a5705f, v104
	v_cvt_i32_f32_e32 v108, v108
	s_delay_alu instid0(VALU_DEP_2) | instskip(NEXT) | instid1(VALU_DEP_1)
	v_add_f32_e32 v106, v106, v109
	v_exp_f32_e32 v106, v106
	s_delay_alu instid0(TRANS32_DEP_1) | instskip(SKIP_1) | instid1(VALU_DEP_1)
	v_ldexp_f32 v106, v106, v108
	s_wait_alu 0xfffd
	v_cndmask_b32_e32 v106, 0, v106, vcc_lo
	v_cmp_nlt_f32_e32 vcc_lo, 0x42b17218, v104
	s_wait_alu 0xfffd
	s_delay_alu instid0(VALU_DEP_2) | instskip(NEXT) | instid1(VALU_DEP_1)
	v_cndmask_b32_e32 v104, 0x7f800000, v106, vcc_lo
	v_add_f32_e32 v104, 1.0, v104
	s_delay_alu instid0(VALU_DEP_1) | instskip(NEXT) | instid1(TRANS32_DEP_1)
	v_rcp_f32_e32 v104, v104
	v_fma_f32 v104, v104, -2.0, 1.0
.LBB80_47:                              ;   in Loop: Header=BB80_9 Depth=1
	s_wait_alu 0xfffe
	s_and_not1_saveexec_b32 s24, s24
	s_cbranch_execz .LBB80_49
; %bb.48:                               ;   in Loop: Header=BB80_9 Depth=1
	v_mul_f32_e32 v104, v89, v89
	s_delay_alu instid0(VALU_DEP_1) | instskip(NEXT) | instid1(VALU_DEP_1)
	v_fmaak_f32 v106, s5, v104, 0x3ca908c9
	v_fmaak_f32 v106, v104, v106, 0xbd5c1c4e
	s_delay_alu instid0(VALU_DEP_1) | instskip(NEXT) | instid1(VALU_DEP_1)
	v_fmaak_f32 v106, v104, v106, 0x3e088382
	v_fmaak_f32 v106, v104, v106, 0xbeaaaa99
	s_delay_alu instid0(VALU_DEP_1) | instskip(NEXT) | instid1(VALU_DEP_1)
	v_mul_f32_e64 v106, |v89|, v106
	v_fma_f32 v104, v104, v106, |v89|
.LBB80_49:                              ;   in Loop: Header=BB80_9 Depth=1
	s_wait_alu 0xfffe
	s_or_b32 exec_lo, exec_lo, s24
	global_load_u16 v0, v[0:1], off offset:64
	v_bfi_b32 v1, 0x7fffffff, v90, v87
	v_bfi_b32 v87, 0x7fffffff, v104, v89
	v_cmp_ngt_f32_e64 s24, 0x3f200000, |v86|
	s_wait_loadcnt 0x1
	s_delay_alu instid0(VALU_DEP_3) | instskip(NEXT) | instid1(VALU_DEP_1)
	v_fma_mix_f32 v90, s3, v1, v92 op_sel_hi:[0,0,1]
	v_add_f32_e32 v1, 0x40051340, v90
	s_wait_loadcnt 0x0
	v_fma_mix_f32 v89, s3, v87, v0 op_sel_hi:[0,0,1]
	s_delay_alu instid0(VALU_DEP_1) | instskip(NEXT) | instid1(VALU_DEP_1)
	v_add_f32_e32 v87, 0x40051340, v89
	v_max3_num_f32 v1, v73, v1, v87
	ds_bpermute_b32 v87, v2, v1
	s_wait_dscnt 0x0
	v_max_num_f32_e32 v87, v87, v87
	s_delay_alu instid0(VALU_DEP_1) | instskip(SKIP_3) | instid1(VALU_DEP_1)
	v_max_num_f32_e32 v1, v1, v87
	ds_bpermute_b32 v87, v101, v1
	s_wait_dscnt 0x0
	v_max_num_f32_e32 v87, v87, v87
	v_max_num_f32_e32 v1, v1, v87
	ds_bpermute_b32 v87, v98, v1
	s_wait_dscnt 0x0
	v_max_num_f32_e32 v87, v87, v87
	s_delay_alu instid0(VALU_DEP_1) | instskip(SKIP_3) | instid1(VALU_DEP_1)
	v_max_num_f32_e32 v1, v1, v87
	ds_bpermute_b32 v87, v97, v1
	s_wait_dscnt 0x0
	v_max_num_f32_e32 v87, v87, v87
	v_max_num_f32_e32 v87, v1, v87
                                        ; implicit-def: $vgpr1
	ds_bpermute_b32 v116, v96, v87
	s_and_saveexec_b32 s25, s24
	s_wait_alu 0xfffe
	s_xor_b32 s24, exec_lo, s25
	s_cbranch_execz .LBB80_51
; %bb.50:                               ;   in Loop: Header=BB80_9 Depth=1
	v_add_f32_e64 v1, |v86|, |v86|
	s_delay_alu instid0(VALU_DEP_1) | instskip(SKIP_1) | instid1(VALU_DEP_2)
	v_mul_f32_e32 v104, 0x3fb8aa3b, v1
	v_cmp_ngt_f32_e32 vcc_lo, 0xc2ce8ed0, v1
	v_rndne_f32_e32 v106, v104
	v_fma_f32 v108, 0x3fb8aa3b, v1, -v104
	s_delay_alu instid0(VALU_DEP_2) | instskip(NEXT) | instid1(VALU_DEP_2)
	v_sub_f32_e32 v104, v104, v106
	v_fmac_f32_e32 v108, 0x32a5705f, v1
	v_cvt_i32_f32_e32 v106, v106
	s_delay_alu instid0(VALU_DEP_2) | instskip(NEXT) | instid1(VALU_DEP_1)
	v_add_f32_e32 v104, v104, v108
	v_exp_f32_e32 v104, v104
	s_delay_alu instid0(TRANS32_DEP_1) | instskip(SKIP_1) | instid1(VALU_DEP_1)
	v_ldexp_f32 v104, v104, v106
	s_wait_alu 0xfffd
	v_cndmask_b32_e32 v104, 0, v104, vcc_lo
	v_cmp_nlt_f32_e32 vcc_lo, 0x42b17218, v1
	s_wait_alu 0xfffd
	s_delay_alu instid0(VALU_DEP_2) | instskip(NEXT) | instid1(VALU_DEP_1)
	v_cndmask_b32_e32 v1, 0x7f800000, v104, vcc_lo
	v_add_f32_e32 v1, 1.0, v1
	s_delay_alu instid0(VALU_DEP_1) | instskip(NEXT) | instid1(TRANS32_DEP_1)
	v_rcp_f32_e32 v1, v1
	v_fma_f32 v1, v1, -2.0, 1.0
.LBB80_51:                              ;   in Loop: Header=BB80_9 Depth=1
	s_wait_alu 0xfffe
	s_and_not1_saveexec_b32 s24, s24
	s_cbranch_execz .LBB80_53
; %bb.52:                               ;   in Loop: Header=BB80_9 Depth=1
	v_mul_f32_e32 v1, v86, v86
	s_delay_alu instid0(VALU_DEP_1) | instskip(NEXT) | instid1(VALU_DEP_1)
	v_fmaak_f32 v104, s5, v1, 0x3ca908c9
	v_fmaak_f32 v104, v1, v104, 0xbd5c1c4e
	s_delay_alu instid0(VALU_DEP_1) | instskip(NEXT) | instid1(VALU_DEP_1)
	v_fmaak_f32 v104, v1, v104, 0x3e088382
	v_fmaak_f32 v104, v1, v104, 0xbeaaaa99
	s_delay_alu instid0(VALU_DEP_1) | instskip(NEXT) | instid1(VALU_DEP_1)
	v_mul_f32_e64 v104, |v86|, v104
	v_fma_f32 v1, v1, v104, |v86|
.LBB80_53:                              ;   in Loop: Header=BB80_9 Depth=1
	s_wait_alu 0xfffe
	s_or_b32 exec_lo, exec_lo, s24
	v_cmp_ngt_f32_e64 s24, 0x3f200000, |v88|
                                        ; implicit-def: $vgpr106
	s_and_saveexec_b32 s25, s24
	s_wait_alu 0xfffe
	s_xor_b32 s24, exec_lo, s25
	s_cbranch_execz .LBB80_55
; %bb.54:                               ;   in Loop: Header=BB80_9 Depth=1
	v_add_f32_e64 v104, |v88|, |v88|
	s_delay_alu instid0(VALU_DEP_1) | instskip(SKIP_1) | instid1(VALU_DEP_2)
	v_mul_f32_e32 v106, 0x3fb8aa3b, v104
	v_cmp_ngt_f32_e32 vcc_lo, 0xc2ce8ed0, v104
	v_rndne_f32_e32 v108, v106
	v_fma_f32 v109, 0x3fb8aa3b, v104, -v106
	s_delay_alu instid0(VALU_DEP_2) | instskip(NEXT) | instid1(VALU_DEP_2)
	v_sub_f32_e32 v106, v106, v108
	v_fmac_f32_e32 v109, 0x32a5705f, v104
	v_cvt_i32_f32_e32 v108, v108
	s_delay_alu instid0(VALU_DEP_2) | instskip(NEXT) | instid1(VALU_DEP_1)
	v_add_f32_e32 v106, v106, v109
	v_exp_f32_e32 v106, v106
	s_delay_alu instid0(TRANS32_DEP_1) | instskip(SKIP_1) | instid1(VALU_DEP_1)
	v_ldexp_f32 v106, v106, v108
	s_wait_alu 0xfffd
	v_cndmask_b32_e32 v106, 0, v106, vcc_lo
	v_cmp_nlt_f32_e32 vcc_lo, 0x42b17218, v104
	s_wait_alu 0xfffd
	s_delay_alu instid0(VALU_DEP_2) | instskip(NEXT) | instid1(VALU_DEP_1)
	v_cndmask_b32_e32 v104, 0x7f800000, v106, vcc_lo
	v_add_f32_e32 v104, 1.0, v104
	s_delay_alu instid0(VALU_DEP_1) | instskip(NEXT) | instid1(TRANS32_DEP_1)
	v_rcp_f32_e32 v104, v104
	v_fma_f32 v106, v104, -2.0, 1.0
.LBB80_55:                              ;   in Loop: Header=BB80_9 Depth=1
	s_wait_alu 0xfffe
	s_and_not1_saveexec_b32 s24, s24
	s_cbranch_execz .LBB80_57
; %bb.56:                               ;   in Loop: Header=BB80_9 Depth=1
	v_mul_f32_e32 v104, v88, v88
	s_delay_alu instid0(VALU_DEP_1) | instskip(NEXT) | instid1(VALU_DEP_1)
	v_fmaak_f32 v106, s5, v104, 0x3ca908c9
	v_fmaak_f32 v106, v104, v106, 0xbd5c1c4e
	s_delay_alu instid0(VALU_DEP_1) | instskip(NEXT) | instid1(VALU_DEP_1)
	v_fmaak_f32 v106, v104, v106, 0x3e088382
	v_fmaak_f32 v106, v104, v106, 0xbeaaaa99
	s_delay_alu instid0(VALU_DEP_1) | instskip(NEXT) | instid1(VALU_DEP_1)
	v_mul_f32_e64 v106, |v88|, v106
	v_fma_f32 v106, v104, v106, |v88|
.LBB80_57:                              ;   in Loop: Header=BB80_9 Depth=1
	s_wait_alu 0xfffe
	s_or_b32 exec_lo, exec_lo, s24
	v_cvt_f32_f16_e32 v104, v92
	v_cvt_f32_f16_e32 v92, v0
	v_bfi_b32 v0, 0x7fffffff, v1, v86
	v_bfi_b32 v1, 0x7fffffff, v106, v88
	v_cmp_ngt_f32_e64 s24, 0x3f200000, |v6|
                                        ; implicit-def: $vgpr106
	s_delay_alu instid0(VALU_DEP_3) | instskip(NEXT) | instid1(VALU_DEP_3)
	v_fmac_f32_e32 v104, s3, v0
	v_fmac_f32_e32 v92, s3, v1
	s_delay_alu instid0(VALU_DEP_2) | instskip(NEXT) | instid1(VALU_DEP_2)
	v_add_f32_e32 v0, 0x40051340, v104
	v_add_f32_e32 v1, 0x40051340, v92
	s_delay_alu instid0(VALU_DEP_1) | instskip(SKIP_3) | instid1(VALU_DEP_1)
	v_max3_num_f32 v0, v70, v0, v1
	ds_bpermute_b32 v1, v2, v0
	s_wait_dscnt 0x0
	v_max_num_f32_e32 v1, v1, v1
	v_max_num_f32_e32 v0, v0, v1
	ds_bpermute_b32 v1, v101, v0
	s_wait_dscnt 0x0
	v_max_num_f32_e32 v1, v1, v1
	s_delay_alu instid0(VALU_DEP_1) | instskip(SKIP_3) | instid1(VALU_DEP_1)
	v_max_num_f32_e32 v0, v0, v1
	ds_bpermute_b32 v1, v98, v0
	s_wait_dscnt 0x0
	v_max_num_f32_e32 v1, v1, v1
	v_max_num_f32_e32 v0, v0, v1
	ds_bpermute_b32 v1, v97, v0
	s_wait_dscnt 0x0
	v_max_num_f32_e32 v1, v1, v1
	s_delay_alu instid0(VALU_DEP_1)
	v_max_num_f32_e32 v86, v0, v1
	ds_bpermute_b32 v88, v96, v86
	s_and_saveexec_b32 s25, s24
	s_wait_alu 0xfffe
	s_xor_b32 s24, exec_lo, s25
	s_cbranch_execz .LBB80_59
; %bb.58:                               ;   in Loop: Header=BB80_9 Depth=1
	v_add_f32_e64 v0, |v6|, |v6|
	s_delay_alu instid0(VALU_DEP_1) | instskip(SKIP_1) | instid1(VALU_DEP_2)
	v_mul_f32_e32 v1, 0x3fb8aa3b, v0
	v_cmp_ngt_f32_e32 vcc_lo, 0xc2ce8ed0, v0
	v_rndne_f32_e32 v106, v1
	v_fma_f32 v108, 0x3fb8aa3b, v0, -v1
	s_delay_alu instid0(VALU_DEP_1) | instskip(SKIP_1) | instid1(VALU_DEP_2)
	v_dual_sub_f32 v1, v1, v106 :: v_dual_fmac_f32 v108, 0x32a5705f, v0
	v_cvt_i32_f32_e32 v106, v106
	v_add_f32_e32 v1, v1, v108
	s_delay_alu instid0(VALU_DEP_1) | instskip(NEXT) | instid1(TRANS32_DEP_1)
	v_exp_f32_e32 v1, v1
	v_ldexp_f32 v1, v1, v106
	s_wait_alu 0xfffd
	s_delay_alu instid0(VALU_DEP_1) | instskip(SKIP_2) | instid1(VALU_DEP_2)
	v_cndmask_b32_e32 v1, 0, v1, vcc_lo
	v_cmp_nlt_f32_e32 vcc_lo, 0x42b17218, v0
	s_wait_alu 0xfffd
	v_cndmask_b32_e32 v0, 0x7f800000, v1, vcc_lo
	s_delay_alu instid0(VALU_DEP_1) | instskip(NEXT) | instid1(VALU_DEP_1)
	v_add_f32_e32 v0, 1.0, v0
	v_rcp_f32_e32 v0, v0
	s_delay_alu instid0(TRANS32_DEP_1)
	v_fma_f32 v106, v0, -2.0, 1.0
.LBB80_59:                              ;   in Loop: Header=BB80_9 Depth=1
	s_wait_alu 0xfffe
	s_and_not1_saveexec_b32 s24, s24
	s_cbranch_execz .LBB80_61
; %bb.60:                               ;   in Loop: Header=BB80_9 Depth=1
	v_mul_f32_e32 v0, v6, v6
	s_delay_alu instid0(VALU_DEP_1) | instskip(NEXT) | instid1(VALU_DEP_1)
	v_fmaak_f32 v1, s5, v0, 0x3ca908c9
	v_fmaak_f32 v1, v0, v1, 0xbd5c1c4e
	s_delay_alu instid0(VALU_DEP_1) | instskip(NEXT) | instid1(VALU_DEP_1)
	v_fmaak_f32 v1, v0, v1, 0x3e088382
	v_fmaak_f32 v1, v0, v1, 0xbeaaaa99
	s_delay_alu instid0(VALU_DEP_1) | instskip(NEXT) | instid1(VALU_DEP_1)
	v_mul_f32_e64 v1, |v6|, v1
	v_fma_f32 v106, v0, v1, |v6|
.LBB80_61:                              ;   in Loop: Header=BB80_9 Depth=1
	s_wait_alu 0xfffe
	s_or_b32 exec_lo, exec_lo, s24
	v_add_nc_u32_e32 v0, v105, v45
	v_cmp_ngt_f32_e64 s24, 0x3f200000, |v85|
                                        ; implicit-def: $vgpr105
	s_delay_alu instid0(VALU_DEP_2) | instskip(NEXT) | instid1(VALU_DEP_1)
	v_ashrrev_i32_e32 v1, 31, v0
	v_lshlrev_b64_e32 v[0:1], 1, v[0:1]
	s_delay_alu instid0(VALU_DEP_1) | instskip(SKIP_1) | instid1(VALU_DEP_2)
	v_add_co_u32 v0, vcc_lo, s34, v0
	s_wait_alu 0xfffd
	v_add_co_ci_u32_e64 v1, null, s35, v1, vcc_lo
	global_load_u16 v108, v[0:1], off
	s_and_saveexec_b32 s25, s24
	s_wait_alu 0xfffe
	s_xor_b32 s24, exec_lo, s25
	s_cbranch_execz .LBB80_63
; %bb.62:                               ;   in Loop: Header=BB80_9 Depth=1
	v_add_f32_e64 v105, |v85|, |v85|
	s_delay_alu instid0(VALU_DEP_1) | instskip(SKIP_1) | instid1(VALU_DEP_2)
	v_mul_f32_e32 v109, 0x3fb8aa3b, v105
	v_cmp_ngt_f32_e32 vcc_lo, 0xc2ce8ed0, v105
	v_rndne_f32_e32 v117, v109
	v_fma_f32 v118, 0x3fb8aa3b, v105, -v109
	s_delay_alu instid0(VALU_DEP_2) | instskip(NEXT) | instid1(VALU_DEP_2)
	v_sub_f32_e32 v109, v109, v117
	v_fmac_f32_e32 v118, 0x32a5705f, v105
	v_cvt_i32_f32_e32 v117, v117
	s_delay_alu instid0(VALU_DEP_2) | instskip(NEXT) | instid1(VALU_DEP_1)
	v_add_f32_e32 v109, v109, v118
	v_exp_f32_e32 v109, v109
	s_delay_alu instid0(TRANS32_DEP_1) | instskip(SKIP_1) | instid1(VALU_DEP_1)
	v_ldexp_f32 v109, v109, v117
	s_wait_alu 0xfffd
	v_cndmask_b32_e32 v109, 0, v109, vcc_lo
	v_cmp_nlt_f32_e32 vcc_lo, 0x42b17218, v105
	s_wait_alu 0xfffd
	s_delay_alu instid0(VALU_DEP_2) | instskip(NEXT) | instid1(VALU_DEP_1)
	v_cndmask_b32_e32 v105, 0x7f800000, v109, vcc_lo
	v_add_f32_e32 v105, 1.0, v105
	s_delay_alu instid0(VALU_DEP_1) | instskip(NEXT) | instid1(TRANS32_DEP_1)
	v_rcp_f32_e32 v105, v105
	v_fma_f32 v105, v105, -2.0, 1.0
.LBB80_63:                              ;   in Loop: Header=BB80_9 Depth=1
	s_wait_alu 0xfffe
	s_and_not1_saveexec_b32 s24, s24
	s_cbranch_execz .LBB80_65
; %bb.64:                               ;   in Loop: Header=BB80_9 Depth=1
	v_mul_f32_e32 v105, v85, v85
	s_delay_alu instid0(VALU_DEP_1) | instskip(NEXT) | instid1(VALU_DEP_1)
	v_fmaak_f32 v109, s5, v105, 0x3ca908c9
	v_fmaak_f32 v109, v105, v109, 0xbd5c1c4e
	s_delay_alu instid0(VALU_DEP_1) | instskip(NEXT) | instid1(VALU_DEP_1)
	v_fmaak_f32 v109, v105, v109, 0x3e088382
	v_fmaak_f32 v109, v105, v109, 0xbeaaaa99
	s_delay_alu instid0(VALU_DEP_1) | instskip(NEXT) | instid1(VALU_DEP_1)
	v_mul_f32_e64 v109, |v85|, v109
	v_fma_f32 v105, v105, v109, |v85|
.LBB80_65:                              ;   in Loop: Header=BB80_9 Depth=1
	s_wait_alu 0xfffe
	s_or_b32 exec_lo, exec_lo, s24
	global_load_u16 v117, v[0:1], off offset:64
	v_bfi_b32 v0, 0x7fffffff, v106, v6
	v_bfi_b32 v1, 0x7fffffff, v105, v85
	v_cmp_ngt_f32_e64 s24, 0x3f200000, |v4|
                                        ; implicit-def: $vgpr6
	s_wait_loadcnt 0x1
	s_delay_alu instid0(VALU_DEP_3) | instskip(SKIP_2) | instid1(VALU_DEP_1)
	v_fma_mix_f32 v106, s3, v0, v108 op_sel_hi:[0,0,1]
	s_wait_loadcnt 0x0
	v_fma_mix_f32 v105, s3, v1, v117 op_sel_hi:[0,0,1]
	v_dual_add_f32 v0, 0x40051340, v106 :: v_dual_add_f32 v1, 0x40051340, v105
	s_delay_alu instid0(VALU_DEP_1) | instskip(SKIP_3) | instid1(VALU_DEP_1)
	v_max3_num_f32 v0, v69, v0, v1
	ds_bpermute_b32 v1, v2, v0
	s_wait_dscnt 0x0
	v_max_num_f32_e32 v1, v1, v1
	v_max_num_f32_e32 v0, v0, v1
	ds_bpermute_b32 v1, v101, v0
	s_wait_dscnt 0x0
	v_max_num_f32_e32 v1, v1, v1
	s_delay_alu instid0(VALU_DEP_1) | instskip(SKIP_3) | instid1(VALU_DEP_1)
	v_max_num_f32_e32 v0, v0, v1
	ds_bpermute_b32 v1, v98, v0
	s_wait_dscnt 0x0
	v_max_num_f32_e32 v1, v1, v1
	v_max_num_f32_e32 v0, v0, v1
	ds_bpermute_b32 v1, v97, v0
	s_wait_dscnt 0x0
	v_max_num_f32_e32 v1, v1, v1
	s_delay_alu instid0(VALU_DEP_1)
	v_max_num_f32_e32 v0, v0, v1
	ds_bpermute_b32 v1, v96, v0
	s_and_saveexec_b32 s25, s24
	s_wait_alu 0xfffe
	s_xor_b32 s24, exec_lo, s25
	s_cbranch_execz .LBB80_67
; %bb.66:                               ;   in Loop: Header=BB80_9 Depth=1
	v_add_f32_e64 v6, |v4|, |v4|
	s_delay_alu instid0(VALU_DEP_1) | instskip(SKIP_1) | instid1(VALU_DEP_2)
	v_mul_f32_e32 v85, 0x3fb8aa3b, v6
	v_cmp_ngt_f32_e32 vcc_lo, 0xc2ce8ed0, v6
	v_rndne_f32_e32 v109, v85
	v_fma_f32 v118, 0x3fb8aa3b, v6, -v85
	s_delay_alu instid0(VALU_DEP_1) | instskip(SKIP_1) | instid1(VALU_DEP_2)
	v_dual_sub_f32 v85, v85, v109 :: v_dual_fmac_f32 v118, 0x32a5705f, v6
	v_cvt_i32_f32_e32 v109, v109
	v_add_f32_e32 v85, v85, v118
	s_delay_alu instid0(VALU_DEP_1) | instskip(NEXT) | instid1(TRANS32_DEP_1)
	v_exp_f32_e32 v85, v85
	v_ldexp_f32 v85, v85, v109
	s_wait_alu 0xfffd
	s_delay_alu instid0(VALU_DEP_1) | instskip(SKIP_2) | instid1(VALU_DEP_2)
	v_cndmask_b32_e32 v85, 0, v85, vcc_lo
	v_cmp_nlt_f32_e32 vcc_lo, 0x42b17218, v6
	s_wait_alu 0xfffd
	v_cndmask_b32_e32 v6, 0x7f800000, v85, vcc_lo
	s_delay_alu instid0(VALU_DEP_1) | instskip(NEXT) | instid1(VALU_DEP_1)
	v_add_f32_e32 v6, 1.0, v6
	v_rcp_f32_e32 v6, v6
	s_delay_alu instid0(TRANS32_DEP_1)
	v_fma_f32 v6, v6, -2.0, 1.0
.LBB80_67:                              ;   in Loop: Header=BB80_9 Depth=1
	s_wait_alu 0xfffe
	s_and_not1_saveexec_b32 s24, s24
	s_cbranch_execz .LBB80_69
; %bb.68:                               ;   in Loop: Header=BB80_9 Depth=1
	v_mul_f32_e32 v6, v4, v4
	s_delay_alu instid0(VALU_DEP_1) | instskip(NEXT) | instid1(VALU_DEP_1)
	v_fmaak_f32 v85, s5, v6, 0x3ca908c9
	v_fmaak_f32 v85, v6, v85, 0xbd5c1c4e
	s_delay_alu instid0(VALU_DEP_1) | instskip(NEXT) | instid1(VALU_DEP_1)
	v_fmaak_f32 v85, v6, v85, 0x3e088382
	v_fmaak_f32 v85, v6, v85, 0xbeaaaa99
	s_delay_alu instid0(VALU_DEP_1) | instskip(NEXT) | instid1(VALU_DEP_1)
	v_mul_f32_e64 v85, |v4|, v85
	v_fma_f32 v6, v6, v85, |v4|
.LBB80_69:                              ;   in Loop: Header=BB80_9 Depth=1
	s_wait_alu 0xfffe
	s_or_b32 exec_lo, exec_lo, s24
	v_cmp_ngt_f32_e64 s24, 0x3f200000, |v5|
                                        ; implicit-def: $vgpr85
	s_and_saveexec_b32 s25, s24
	s_wait_alu 0xfffe
	s_xor_b32 s24, exec_lo, s25
	s_cbranch_execz .LBB80_71
; %bb.70:                               ;   in Loop: Header=BB80_9 Depth=1
	v_add_f32_e64 v85, |v5|, |v5|
	s_delay_alu instid0(VALU_DEP_1) | instskip(SKIP_1) | instid1(VALU_DEP_2)
	v_mul_f32_e32 v109, 0x3fb8aa3b, v85
	v_cmp_ngt_f32_e32 vcc_lo, 0xc2ce8ed0, v85
	v_rndne_f32_e32 v118, v109
	v_fma_f32 v119, 0x3fb8aa3b, v85, -v109
	s_delay_alu instid0(VALU_DEP_2) | instskip(NEXT) | instid1(VALU_DEP_2)
	v_sub_f32_e32 v109, v109, v118
	v_fmac_f32_e32 v119, 0x32a5705f, v85
	v_cvt_i32_f32_e32 v118, v118
	s_delay_alu instid0(VALU_DEP_2) | instskip(NEXT) | instid1(VALU_DEP_1)
	v_add_f32_e32 v109, v109, v119
	v_exp_f32_e32 v109, v109
	s_delay_alu instid0(TRANS32_DEP_1) | instskip(SKIP_1) | instid1(VALU_DEP_1)
	v_ldexp_f32 v109, v109, v118
	s_wait_alu 0xfffd
	v_cndmask_b32_e32 v109, 0, v109, vcc_lo
	v_cmp_nlt_f32_e32 vcc_lo, 0x42b17218, v85
	s_wait_alu 0xfffd
	s_delay_alu instid0(VALU_DEP_2) | instskip(NEXT) | instid1(VALU_DEP_1)
	v_cndmask_b32_e32 v85, 0x7f800000, v109, vcc_lo
	v_add_f32_e32 v85, 1.0, v85
	s_delay_alu instid0(VALU_DEP_1) | instskip(NEXT) | instid1(TRANS32_DEP_1)
	v_rcp_f32_e32 v85, v85
	v_fma_f32 v85, v85, -2.0, 1.0
.LBB80_71:                              ;   in Loop: Header=BB80_9 Depth=1
	s_wait_alu 0xfffe
	s_and_not1_saveexec_b32 s24, s24
	s_cbranch_execz .LBB80_73
; %bb.72:                               ;   in Loop: Header=BB80_9 Depth=1
	v_mul_f32_e32 v85, v5, v5
	s_delay_alu instid0(VALU_DEP_1) | instskip(NEXT) | instid1(VALU_DEP_1)
	v_fmaak_f32 v109, s5, v85, 0x3ca908c9
	v_fmaak_f32 v109, v85, v109, 0xbd5c1c4e
	s_delay_alu instid0(VALU_DEP_1) | instskip(NEXT) | instid1(VALU_DEP_1)
	v_fmaak_f32 v109, v85, v109, 0x3e088382
	v_fmaak_f32 v109, v85, v109, 0xbeaaaa99
	s_delay_alu instid0(VALU_DEP_1) | instskip(NEXT) | instid1(VALU_DEP_1)
	v_mul_f32_e64 v109, |v5|, v109
	v_fma_f32 v85, v85, v109, |v5|
.LBB80_73:                              ;   in Loop: Header=BB80_9 Depth=1
	s_wait_alu 0xfffe
	s_or_b32 exec_lo, exec_lo, s24
	v_cvt_f32_f16_e32 v109, v108
	v_cvt_f32_f16_e32 v108, v117
	v_bfi_b32 v4, 0x7fffffff, v6, v4
	v_bfi_b32 v5, 0x7fffffff, v85, v5
	v_dual_max_num_f32 v85, v88, v88 :: v_dual_max_num_f32 v86, v86, v86
	v_max_num_f32_e32 v88, v116, v116
	s_delay_alu instid0(VALU_DEP_3) | instskip(SKIP_3) | instid1(VALU_DEP_3)
	v_dual_fmac_f32 v109, s3, v4 :: v_dual_fmac_f32 v108, s3, v5
	s_wait_dscnt 0x0
	v_dual_max_num_f32 v1, v1, v1 :: v_dual_max_num_f32 v0, v0, v0
	v_dual_max_num_f32 v114, v114, v114 :: v_dual_max_num_f32 v111, v111, v111
	v_dual_add_f32 v4, 0x40051340, v109 :: v_dual_add_f32 v5, 0x40051340, v108
	v_max_num_f32_e32 v113, v113, v113
	s_mul_u64 s[24:25], s[10:11], s[14:15]
	s_wait_alu 0xfffe
	s_lshl_b64 s[24:25], s[24:25], 2
	v_max3_num_f32 v116, v11, v4, v5
	v_max_num_f32_e32 v4, v87, v87
	v_max_num_f32_e32 v87, v115, v115
	v_dual_max_num_f32 v107, v107, v107 :: v_dual_max_num_f32 v6, v0, v1
	ds_bpermute_b32 v115, v2, v116
	v_max_num_f32_e32 v2, v112, v112
	v_max_num_f32_e32 v110, v110, v110
	v_dual_max_num_f32 v112, v3, v3 :: v_dual_max_num_f32 v5, v86, v85
	s_wait_alu 0xfffe
	s_add_nc_u64 s[24:25], s[8:9], s[24:25]
	v_max_num_f32_e32 v3, v114, v87
	s_wait_alu 0xfffe
	v_add_co_u32 v86, vcc_lo, s24, v16
	s_wait_alu 0xfffd
	v_add_co_ci_u32_e64 v87, null, s25, v17, vcc_lo
	s_barrier_signal -1
	s_barrier_wait -1
	s_wait_dscnt 0x0
	global_inv scope:SCOPE_SE
	v_sub_f32_e32 v91, v91, v3
	v_dual_max_num_f32 v85, v115, v115 :: v_dual_max_num_f32 v4, v4, v88
	v_max_num_f32_e32 v1, v110, v111
	v_max_num_f32_e32 v0, v112, v107
	v_add_co_u32 v107, vcc_lo, s24, v18
	s_wait_alu 0xfffd
	v_add_co_ci_u32_e64 v110, null, s25, v19, vcc_lo
	v_sub_f32_e32 v117, v102, v1
	v_dual_max_num_f32 v2, v2, v113 :: v_dual_sub_f32 v115, v100, v0
	v_max_num_f32_e32 v88, v116, v85
	v_dual_sub_f32 v82, v82, v0 :: v_dual_sub_f32 v103, v103, v1
	s_delay_alu instid0(VALU_DEP_3)
	v_sub_f32_e32 v95, v95, v2
	v_sub_f32_e32 v114, v99, v0
	ds_bpermute_b32 v101, v101, v88
	v_sub_f32_e32 v94, v94, v2
	v_dual_mul_f32 v119, 0x3fb8aa3b, v82 :: v_dual_sub_f32 v116, v84, v1
	v_add_co_u32 v84, vcc_lo, v86, v52
	s_wait_alu 0xfffd
	v_add_co_ci_u32_e64 v85, null, 0, v87, vcc_lo
	v_add_co_u32 v86, vcc_lo, v107, v52
	v_fma_f32 v125, 0x3fb8aa3b, v82, -v119
	s_wait_alu 0xfffd
	v_add_co_ci_u32_e64 v87, null, 0, v110, vcc_lo
	v_dual_mul_f32 v107, 0x3fb8aa3b, v114 :: v_dual_mul_f32 v120, 0x3fb8aa3b, v117
	v_mul_f32_e32 v121, 0x3fb8aa3b, v103
	v_fmac_f32_e32 v125, 0x32a5705f, v82
	v_rndne_f32_e32 v126, v119
	v_mul_f32_e32 v124, 0x3fb8aa3b, v95
	v_fma_f32 v127, 0x3fb8aa3b, v117, -v120
	s_wait_dscnt 0x0
	v_dual_max_num_f32 v99, v101, v101 :: v_dual_mul_f32 v118, 0x3fb8aa3b, v115
	v_mul_f32_e32 v123, 0x3fb8aa3b, v94
	v_fma_f32 v129, 0x3fb8aa3b, v103, -v121
	s_delay_alu instid0(VALU_DEP_3)
	v_dual_fmac_f32 v127, 0x32a5705f, v117 :: v_dual_max_num_f32 v88, v88, v99
	s_clause 0x1
	global_load_b128 v[99:102], v[84:85], off
	global_load_b128 v[110:113], v[86:87], off
	v_fma_f32 v84, 0x3fb8aa3b, v114, -v107
	v_rndne_f32_e32 v85, v107
	v_mul_f32_e32 v122, 0x3fb8aa3b, v116
	ds_bpermute_b32 v86, v98, v88
	v_fma_f32 v87, 0x3fb8aa3b, v115, -v118
	v_rndne_f32_e32 v98, v118
	v_dual_fmac_f32 v84, 0x32a5705f, v114 :: v_dual_sub_f32 v107, v107, v85
	v_fma_f32 v131, 0x3fb8aa3b, v116, -v122
	s_delay_alu instid0(VALU_DEP_3) | instskip(NEXT) | instid1(VALU_DEP_3)
	v_dual_fmac_f32 v87, 0x32a5705f, v115 :: v_dual_sub_f32 v118, v118, v98
	v_dual_fmac_f32 v129, 0x32a5705f, v103 :: v_dual_add_f32 v84, v107, v84
	v_rndne_f32_e32 v128, v120
	v_rndne_f32_e32 v132, v122
	v_sub_f32_e32 v119, v119, v126
	v_add_f32_e32 v87, v118, v87
	v_exp_f32_e32 v84, v84
	v_rndne_f32_e32 v130, v121
	v_cvt_i32_f32_e32 v85, v85
	v_dual_sub_f32 v120, v120, v128 :: v_dual_add_f32 v107, v119, v125
	v_exp_f32_e32 v87, v87
	s_wait_dscnt 0x0
	v_dual_max_num_f32 v86, v86, v86 :: v_dual_fmac_f32 v131, 0x32a5705f, v116
	v_cvt_i32_f32_e32 v98, v98
	v_dual_sub_f32 v121, v121, v130 :: v_dual_add_f32 v118, v120, v127
	s_delay_alu instid0(VALU_DEP_3)
	v_max_num_f32_e32 v86, v88, v86
	v_sub_f32_e32 v88, v122, v132
	v_exp_f32_e32 v107, v107
	v_ldexp_f32 v84, v84, v85
	v_cmp_ngt_f32_e32 vcc_lo, 0xc2ce8ed0, v114
	ds_bpermute_b32 v97, v97, v86
	v_add_f32_e32 v119, v121, v129
	v_exp_f32_e32 v118, v118
	v_cvt_i32_f32_e32 v120, v126
	v_ldexp_f32 v85, v87, v98
	s_wait_alu 0xfffd
	v_cndmask_b32_e32 v84, 0, v84, vcc_lo
	v_cmp_ngt_f32_e32 vcc_lo, 0xc2ce8ed0, v115
	v_add_f32_e32 v88, v88, v131
	v_exp_f32_e32 v119, v119
	v_cvt_i32_f32_e32 v121, v128
	v_ldexp_f32 v87, v107, v120
	s_wait_alu 0xfffd
	v_cndmask_b32_e32 v85, 0, v85, vcc_lo
	v_cmp_ngt_f32_e32 vcc_lo, 0xc2ce8ed0, v82
	v_cvt_i32_f32_e32 v122, v130
	v_ldexp_f32 v98, v118, v121
	v_cvt_i32_f32_e32 v125, v132
	v_sub_f32_e32 v76, v76, v2
	s_or_b32 s24, s10, 32
	v_ldexp_f32 v107, v119, v122
	s_wait_alu 0xfffe
	s_ashr_i32 s25, s24, 31
	s_wait_dscnt 0x0
	v_max_num_f32_e32 v97, v97, v97
	v_exp_f32_e32 v88, v88
	s_wait_alu 0xfffe
	s_mul_u64 s[24:25], s[24:25], s[14:15]
	s_wait_alu 0xfffe
	s_lshl_b64 s[24:25], s[24:25], 2
	s_wait_alu 0xfffd
	v_dual_max_num_f32 v97, v86, v97 :: v_dual_cndmask_b32 v86, 0, v87
	v_cmp_ngt_f32_e32 vcc_lo, 0xc2ce8ed0, v117
	s_wait_alu 0xfffe
	s_add_nc_u64 s[24:25], s[8:9], s[24:25]
	ds_bpermute_b32 v96, v96, v97
	v_ldexp_f32 v88, v88, v125
	s_wait_alu 0xfffd
	v_cndmask_b32_e32 v87, 0, v98, vcc_lo
	v_cmp_nlt_f32_e32 vcc_lo, 0x42b17218, v82
	s_wait_alu 0xfffd
	v_cndmask_b32_e32 v82, 0x7f800000, v86, vcc_lo
	v_cmp_ngt_f32_e32 vcc_lo, 0xc2ce8ed0, v103
	s_wait_alu 0xfffd
	v_cndmask_b32_e32 v86, 0, v107, vcc_lo
	v_cmp_nlt_f32_e32 vcc_lo, 0x42b17218, v114
	s_wait_alu 0xfffd
	v_cndmask_b32_e32 v84, 0x7f800000, v84, vcc_lo
	v_cmp_nlt_f32_e32 vcc_lo, 0x42b17218, v115
	s_wait_dscnt 0x0
	s_wait_alu 0xfffd
	v_dual_max_num_f32 v96, v96, v96 :: v_dual_cndmask_b32 v107, 0x7f800000, v85
	v_cmp_nlt_f32_e32 vcc_lo, 0x42b17218, v117
	s_delay_alu instid0(VALU_DEP_2)
	v_add_f32_e32 v85, v84, v107
	v_cvt_f16_f32_e32 v98, v82
	s_wait_alu 0xfffd
	v_cndmask_b32_e32 v87, 0x7f800000, v87, vcc_lo
	v_cmp_nlt_f32_e32 vcc_lo, 0x42b17218, v103
	v_fmac_f32_e32 v85, v7, v82
	v_dual_max_num_f32 v7, v97, v96 :: v_dual_and_b32 v98, 0xffff, v98
	v_cvt_f16_f32_e32 v114, v84
	v_cvt_f16_f32_e32 v84, v107
	;; [unrolled: 1-line block ×3, first 2 shown]
	s_delay_alu instid0(VALU_DEP_4) | instskip(SKIP_1) | instid1(VALU_DEP_2)
	v_mul_u32_u24_e32 v98, 0x10001, v98
	v_rndne_f32_e32 v96, v124
	v_pk_mul_f16 v82, v67, v98
	v_pk_mul_f16 v98, v68, v98
	v_fma_f32 v68, 0x3fb8aa3b, v94, -v123
	s_delay_alu instid0(VALU_DEP_4) | instskip(SKIP_1) | instid1(VALU_DEP_3)
	v_sub_f32_e32 v115, v124, v96
	v_cvt_i32_f32_e32 v96, v96
	v_fmac_f32_e32 v68, 0x32a5705f, v94
	s_wait_alu 0xfffd
	v_cndmask_b32_e32 v103, 0x7f800000, v86, vcc_lo
	v_cmp_ngt_f32_e32 vcc_lo, 0xc2ce8ed0, v116
	s_wait_alu 0xfffd
	s_delay_alu instid0(VALU_DEP_2) | instskip(SKIP_3) | instid1(VALU_DEP_3)
	v_dual_add_f32 v86, v87, v103 :: v_dual_cndmask_b32 v67, 0, v88
	v_rndne_f32_e32 v87, v123
	v_fma_f32 v88, 0x3fb8aa3b, v95, -v124
	v_cmp_nlt_f32_e32 vcc_lo, 0x42b17218, v116
	v_sub_f32_e32 v97, v123, v87
	s_delay_alu instid0(VALU_DEP_3)
	v_fmac_f32_e32 v88, 0x32a5705f, v95
	s_wait_alu 0xfffd
	v_cndmask_b32_e32 v67, 0x7f800000, v67, vcc_lo
	v_cvt_i32_f32_e32 v87, v87
	v_cmp_ngt_f32_e32 vcc_lo, 0xc2ce8ed0, v94
	v_add_f32_e32 v68, v97, v68
	v_add_f32_e32 v88, v115, v88
	v_cvt_f16_f32_e32 v116, v67
	v_dual_mul_f32 v97, 0x3fb8aa3b, v76 :: v_dual_fmac_f32 v86, v78, v67
	s_delay_alu instid0(VALU_DEP_4) | instskip(NEXT) | instid1(VALU_DEP_3)
	v_exp_f32_e32 v68, v68
	v_exp_f32_e32 v78, v88
	s_delay_alu instid0(VALU_DEP_2) | instskip(NEXT) | instid1(VALU_DEP_2)
	v_and_b32_e32 v67, 0xffff, v116
	v_fma_f32 v88, 0x3fb8aa3b, v76, -v97
	v_rndne_f32_e32 v115, v97
	v_cvt_f16_f32_e32 v103, v103
	s_delay_alu instid0(VALU_DEP_4) | instskip(NEXT) | instid1(VALU_DEP_3)
	v_mul_u32_u24_e32 v67, 0x10001, v67
	v_dual_fmac_f32 v88, 0x32a5705f, v76 :: v_dual_sub_f32 v97, v97, v115
	s_delay_alu instid0(VALU_DEP_2) | instskip(NEXT) | instid1(TRANS32_DEP_2)
	v_pk_mul_f16 v116, v65, v67
	v_ldexp_f32 v65, v68, v87
	v_pk_mul_f16 v117, v66, v67
	v_ldexp_f32 v66, v78, v96
	v_sub_f32_e32 v68, v93, v3
	v_cvt_i32_f32_e32 v78, v115
	s_wait_alu 0xfffd
	v_cndmask_b32_e32 v65, 0, v65, vcc_lo
	v_cmp_ngt_f32_e32 vcc_lo, 0xc2ce8ed0, v95
	s_wait_alu 0xfffd
	v_cndmask_b32_e32 v66, 0, v66, vcc_lo
	v_cmp_nlt_f32_e32 vcc_lo, 0x42b17218, v94
	s_wait_alu 0xfffd
	v_cndmask_b32_e32 v65, 0x7f800000, v65, vcc_lo
	v_cmp_nlt_f32_e32 vcc_lo, 0x42b17218, v95
	v_add_f32_e32 v67, v97, v88
	v_mul_f32_e32 v88, 0x3fb8aa3b, v68
	s_delay_alu instid0(VALU_DEP_4)
	v_cvt_f16_f32_e32 v93, v65
	s_wait_alu 0xfffd
	v_cndmask_b32_e32 v66, 0x7f800000, v66, vcc_lo
	v_exp_f32_e32 v67, v67
	v_cmp_ngt_f32_e32 vcc_lo, 0xc2ce8ed0, v76
	v_rndne_f32_e32 v94, v88
	s_delay_alu instid0(VALU_DEP_3) | instskip(SKIP_2) | instid1(VALU_DEP_4)
	v_add_f32_e32 v87, v65, v66
	v_fma_f32 v65, 0x3fb8aa3b, v68, -v88
	v_cvt_f16_f32_e32 v97, v66
	v_sub_f32_e32 v88, v88, v94
	v_cvt_i32_f32_e32 v94, v94
	s_delay_alu instid0(TRANS32_DEP_1) | instskip(SKIP_1) | instid1(VALU_DEP_1)
	v_ldexp_f32 v67, v67, v78
	v_mul_f32_e32 v78, 0x3fb8aa3b, v91
	v_rndne_f32_e32 v96, v78
	s_wait_alu 0xfffd
	s_delay_alu instid0(VALU_DEP_3)
	v_cndmask_b32_e32 v67, 0, v67, vcc_lo
	v_cmp_nlt_f32_e32 vcc_lo, 0x42b17218, v76
	v_fma_f32 v95, 0x3fb8aa3b, v91, -v78
	v_sub_f32_e32 v76, v78, v96
	v_cvt_i32_f32_e32 v96, v96
	s_wait_alu 0xfffd
	v_cndmask_b32_e32 v67, 0x7f800000, v67, vcc_lo
	v_fmac_f32_e32 v95, 0x32a5705f, v91
	v_fmac_f32_e32 v65, 0x32a5705f, v68
	v_cmp_ngt_f32_e32 vcc_lo, 0xc2ce8ed0, v68
	s_delay_alu instid0(VALU_DEP_4) | instskip(SKIP_2) | instid1(VALU_DEP_3)
	v_cvt_f16_f32_e32 v66, v67
	v_sub_f32_e32 v75, v75, v3
	v_add_f32_e32 v76, v76, v95
	v_dual_fmac_f32 v87, v74, v67 :: v_dual_and_b32 v66, 0xffff, v66
	s_delay_alu instid0(VALU_DEP_3) | instskip(NEXT) | instid1(VALU_DEP_3)
	v_dual_add_f32 v65, v88, v65 :: v_dual_mul_f32 v78, 0x3fb8aa3b, v75
	v_exp_f32_e32 v76, v76
	s_delay_alu instid0(VALU_DEP_2) | instskip(NEXT) | instid1(VALU_DEP_2)
	v_mul_u32_u24_e32 v66, 0x10001, v66
	v_exp_f32_e32 v65, v65
	s_delay_alu instid0(VALU_DEP_2) | instskip(SKIP_1) | instid1(VALU_DEP_3)
	v_fma_f32 v88, 0x3fb8aa3b, v75, -v78
	v_rndne_f32_e32 v95, v78
	v_pk_mul_f16 v74, v64, v66
	s_delay_alu instid0(TRANS32_DEP_2) | instskip(SKIP_1) | instid1(TRANS32_DEP_1)
	v_ldexp_f32 v64, v76, v96
	v_pk_mul_f16 v76, v63, v66
	v_ldexp_f32 v65, v65, v94
	s_wait_alu 0xfffd
	s_delay_alu instid0(VALU_DEP_1)
	v_dual_fmac_f32 v88, 0x32a5705f, v75 :: v_dual_cndmask_b32 v65, 0, v65
	v_cmp_ngt_f32_e32 vcc_lo, 0xc2ce8ed0, v91
	s_wait_alu 0xfffd
	v_cndmask_b32_e32 v64, 0, v64, vcc_lo
	v_cmp_nlt_f32_e32 vcc_lo, 0x42b17218, v68
	v_sub_f32_e32 v78, v78, v95
	v_cvt_i32_f32_e32 v68, v95
	s_wait_alu 0xfffd
	v_cndmask_b32_e32 v65, 0x7f800000, v65, vcc_lo
	v_cmp_nlt_f32_e32 vcc_lo, 0x42b17218, v91
	s_delay_alu instid0(VALU_DEP_2) | instskip(SKIP_4) | instid1(VALU_DEP_3)
	v_cvt_f16_f32_e32 v63, v65
	s_wait_alu 0xfffd
	v_cndmask_b32_e32 v64, 0x7f800000, v64, vcc_lo
	v_cmp_ngt_f32_e32 vcc_lo, 0xc2ce8ed0, v75
	v_add_f32_e32 v67, v78, v88
	v_add_f32_e32 v88, v65, v64
	v_cvt_f16_f32_e32 v64, v64
	s_delay_alu instid0(VALU_DEP_3) | instskip(NEXT) | instid1(VALU_DEP_1)
	v_exp_f32_e32 v67, v67
	v_pack_b32_f16 v64, v97, v64
	s_delay_alu instid0(TRANS32_DEP_1) | instskip(SKIP_1) | instid1(VALU_DEP_1)
	v_ldexp_f32 v66, v67, v68
	s_wait_alu 0xfffd
	v_cndmask_b32_e32 v66, 0, v66, vcc_lo
	v_cmp_nlt_f32_e32 vcc_lo, 0x42b17218, v75
	s_wait_alu 0xfffd
	s_delay_alu instid0(VALU_DEP_2) | instskip(NEXT) | instid1(VALU_DEP_1)
	v_dual_sub_f32 v67, v90, v4 :: v_dual_cndmask_b32 v66, 0x7f800000, v66
	v_dual_sub_f32 v65, v73, v4 :: v_dual_mul_f32 v68, 0x3fb8aa3b, v67
	v_cmp_ngt_f32_e32 vcc_lo, 0xc2ce8ed0, v67
	s_delay_alu instid0(VALU_DEP_3) | instskip(SKIP_1) | instid1(VALU_DEP_4)
	v_cvt_f16_f32_e32 v95, v66
	v_fmac_f32_e32 v88, v72, v66
	v_rndne_f32_e32 v78, v68
	v_mul_f32_e32 v73, 0x3fb8aa3b, v65
	v_fma_f32 v75, 0x3fb8aa3b, v67, -v68
	s_delay_alu instid0(VALU_DEP_3) | instskip(NEXT) | instid1(VALU_DEP_3)
	v_sub_f32_e32 v68, v68, v78
	v_fma_f32 v90, 0x3fb8aa3b, v65, -v73
	v_sub_f32_e32 v89, v89, v4
	v_rndne_f32_e32 v91, v73
	v_cvt_i32_f32_e32 v66, v78
	s_delay_alu instid0(VALU_DEP_4) | instskip(NEXT) | instid1(VALU_DEP_3)
	v_fmac_f32_e32 v90, 0x32a5705f, v65
	v_dual_mul_f32 v94, 0x3fb8aa3b, v89 :: v_dual_sub_f32 v73, v73, v91
	s_delay_alu instid0(VALU_DEP_1) | instskip(SKIP_1) | instid1(VALU_DEP_3)
	v_rndne_f32_e32 v96, v94
	v_fmac_f32_e32 v75, 0x32a5705f, v67
	v_dual_add_f32 v73, v73, v90 :: v_dual_and_b32 v90, 0xffff, v95
	s_delay_alu instid0(VALU_DEP_2) | instskip(SKIP_2) | instid1(VALU_DEP_4)
	v_add_f32_e32 v68, v68, v75
	v_fma_f32 v75, 0x3fb8aa3b, v89, -v94
	v_sub_f32_e32 v94, v94, v96
	v_exp_f32_e32 v73, v73
	v_mul_u32_u24_e32 v90, 0x10001, v90
	v_exp_f32_e32 v68, v68
	v_fmac_f32_e32 v75, 0x32a5705f, v89
	s_delay_alu instid0(VALU_DEP_2) | instskip(NEXT) | instid1(TRANS32_DEP_1)
	v_pk_mul_f16 v78, v61, v90
	v_ldexp_f32 v61, v68, v66
	v_sub_f32_e32 v68, v104, v5
	s_delay_alu instid0(VALU_DEP_4)
	v_add_f32_e32 v72, v94, v75
	v_cvt_i32_f32_e32 v75, v91
	v_pk_mul_f16 v94, v62, v90
	s_wait_alu 0xfffd
	v_cndmask_b32_e32 v61, 0, v61, vcc_lo
	v_cmp_ngt_f32_e32 vcc_lo, 0xc2ce8ed0, v65
	v_ldexp_f32 v66, v73, v75
	s_wait_alu 0xfffd
	s_delay_alu instid0(VALU_DEP_1)
	v_cndmask_b32_e32 v66, 0, v66, vcc_lo
	v_cmp_nlt_f32_e32 vcc_lo, 0x42b17218, v67
	s_wait_alu 0xfffd
	v_cndmask_b32_e32 v61, 0x7f800000, v61, vcc_lo
	v_cmp_nlt_f32_e32 vcc_lo, 0x42b17218, v65
	s_wait_alu 0xfffd
	v_cndmask_b32_e32 v65, 0x7f800000, v66, vcc_lo
	v_mul_f32_e32 v73, 0x3fb8aa3b, v68
	v_exp_f32_e32 v62, v72
	v_cvt_i32_f32_e32 v72, v96
	v_cmp_ngt_f32_e32 vcc_lo, 0xc2ce8ed0, v89
	s_delay_alu instid0(VALU_DEP_3) | instskip(SKIP_1) | instid1(VALU_DEP_2)
	v_fma_f32 v66, 0x3fb8aa3b, v68, -v73
	v_rndne_f32_e32 v67, v73
	v_fmac_f32_e32 v66, 0x32a5705f, v68
	s_delay_alu instid0(TRANS32_DEP_1) | instskip(NEXT) | instid1(VALU_DEP_3)
	v_ldexp_f32 v62, v62, v72
	v_sub_f32_e32 v73, v73, v67
	v_cvt_f16_f32_e32 v72, v65
	s_wait_alu 0xfffd
	s_delay_alu instid0(VALU_DEP_3)
	v_cndmask_b32_e32 v62, 0, v62, vcc_lo
	v_cmp_nlt_f32_e32 vcc_lo, 0x42b17218, v89
	v_dual_add_f32 v66, v73, v66 :: v_dual_sub_f32 v73, v92, v5
	v_and_b32_e32 v72, 0xffff, v72
	v_cvt_f16_f32_e32 v75, v61
	s_wait_alu 0xfffd
	v_cndmask_b32_e32 v62, 0x7f800000, v62, vcc_lo
	v_cmp_ngt_f32_e32 vcc_lo, 0xc2ce8ed0, v68
	v_sub_f32_e32 v92, v105, v6
	s_delay_alu instid0(VALU_DEP_1) | instskip(NEXT) | instid1(VALU_DEP_1)
	v_dual_add_f32 v89, v61, v62 :: v_dual_mul_f32 v90, 0x3fb8aa3b, v92
	v_fmac_f32_e32 v89, v71, v65
	v_cvt_f16_f32_e32 v91, v62
	v_exp_f32_e32 v62, v66
	v_sub_f32_e32 v65, v70, v5
	v_mul_u32_u24_e32 v61, 0x10001, v72
	s_delay_alu instid0(VALU_DEP_1)
	v_pk_mul_f16 v71, v59, v61
	v_cvt_i32_f32_e32 v59, v67
	v_pk_mul_f16 v95, v60, v61
	s_delay_alu instid0(TRANS32_DEP_1) | instid1(VALU_DEP_2)
	v_ldexp_f32 v59, v62, v59
	s_wait_alu 0xfffd
	s_delay_alu instid0(VALU_DEP_1) | instskip(NEXT) | instid1(VALU_DEP_1)
	v_dual_mul_f32 v66, 0x3fb8aa3b, v73 :: v_dual_cndmask_b32 v59, 0, v59
	v_fma_f32 v67, 0x3fb8aa3b, v73, -v66
	v_rndne_f32_e32 v70, v66
	v_cmp_nlt_f32_e32 vcc_lo, 0x42b17218, v68
	s_delay_alu instid0(VALU_DEP_2)
	v_dual_fmac_f32 v67, 0x32a5705f, v73 :: v_dual_sub_f32 v60, v66, v70
	s_wait_alu 0xfffd
	v_cndmask_b32_e32 v59, 0x7f800000, v59, vcc_lo
	v_cvt_i32_f32_e32 v70, v70
	v_cmp_ngt_f32_e32 vcc_lo, 0xc2ce8ed0, v73
	v_add_f32_e32 v60, v60, v67
	s_delay_alu instid0(VALU_DEP_4) | instskip(NEXT) | instid1(VALU_DEP_2)
	v_cvt_f16_f32_e32 v96, v59
	v_exp_f32_e32 v60, v60
	s_delay_alu instid0(TRANS32_DEP_1) | instskip(SKIP_2) | instid1(VALU_DEP_2)
	v_ldexp_f32 v60, v60, v70
	v_fma_f32 v70, 0x3fb8aa3b, v92, -v90
	s_wait_alu 0xfffd
	v_cndmask_b32_e32 v60, 0, v60, vcc_lo
	s_delay_alu instid0(VALU_DEP_2) | instskip(SKIP_2) | instid1(VALU_DEP_2)
	v_fmac_f32_e32 v70, 0x32a5705f, v92
	v_mul_f32_e32 v72, 0x3fb8aa3b, v65
	v_cmp_ngt_f32_e32 vcc_lo, 0xc2ce8ed0, v65
	v_fma_f32 v61, 0x3fb8aa3b, v65, -v72
	v_rndne_f32_e32 v62, v72
	s_delay_alu instid0(VALU_DEP_2) | instskip(NEXT) | instid1(VALU_DEP_2)
	v_dual_sub_f32 v66, v106, v6 :: v_dual_fmac_f32 v61, 0x32a5705f, v65
	v_sub_f32_e32 v67, v72, v62
	v_cvt_i32_f32_e32 v62, v62
	s_delay_alu instid0(VALU_DEP_2) | instskip(NEXT) | instid1(VALU_DEP_1)
	v_add_f32_e32 v61, v67, v61
	v_exp_f32_e32 v61, v61
	s_delay_alu instid0(TRANS32_DEP_1) | instskip(SKIP_1) | instid1(VALU_DEP_1)
	v_ldexp_f32 v61, v61, v62
	s_wait_alu 0xfffd
	v_dual_mul_f32 v72, 0x3fb8aa3b, v66 :: v_dual_cndmask_b32 v61, 0, v61
	s_delay_alu instid0(VALU_DEP_1) | instskip(SKIP_2) | instid1(VALU_DEP_2)
	v_fma_f32 v67, 0x3fb8aa3b, v66, -v72
	v_rndne_f32_e32 v68, v72
	v_cmp_nlt_f32_e32 vcc_lo, 0x42b17218, v73
	v_dual_fmac_f32 v67, 0x32a5705f, v66 :: v_dual_sub_f32 v72, v72, v68
	s_wait_alu 0xfffd
	v_cndmask_b32_e32 v60, 0x7f800000, v60, vcc_lo
	v_cmp_nlt_f32_e32 vcc_lo, 0x42b17218, v65
	v_cvt_i32_f32_e32 v68, v68
	v_add_f32_e32 v67, v72, v67
	v_rndne_f32_e32 v72, v90
	v_cvt_f16_f32_e32 v65, v60
	s_delay_alu instid0(VALU_DEP_3) | instskip(NEXT) | instid1(VALU_DEP_2)
	v_exp_f32_e32 v62, v67
	v_sub_f32_e32 v67, v90, v72
	v_add_f32_e32 v90, v59, v60
	s_delay_alu instid0(VALU_DEP_3) | instskip(SKIP_1) | instid1(VALU_DEP_3)
	v_pack_b32_f16 v65, v91, v65
	s_wait_alu 0xfffd
	v_dual_add_f32 v67, v67, v70 :: v_dual_cndmask_b32 v70, 0x7f800000, v61
	v_cmp_ngt_f32_e32 vcc_lo, 0xc2ce8ed0, v66
	s_delay_alu instid0(TRANS32_DEP_1) | instskip(NEXT) | instid1(VALU_DEP_3)
	v_ldexp_f32 v59, v62, v68
	v_exp_f32_e32 v60, v67
	v_cvt_i32_f32_e32 v67, v72
	v_cvt_f16_f32_e32 v61, v70
	v_sub_f32_e32 v68, v109, v7
	s_wait_alu 0xfffd
	v_cndmask_b32_e32 v59, 0, v59, vcc_lo
	v_cmp_nlt_f32_e32 vcc_lo, 0x42b17218, v66
	v_sub_f32_e32 v62, v69, v6
	v_sub_f32_e32 v104, v108, v7
	s_wait_alu 0xfffd
	v_cndmask_b32_e32 v69, 0x7f800000, v59, vcc_lo
	v_ldexp_f32 v59, v60, v67
	v_cmp_ngt_f32_e32 vcc_lo, 0xc2ce8ed0, v92
	v_and_b32_e32 v72, 0xffff, v61
	v_dual_mul_f32 v61, 0x3fb8aa3b, v68 :: v_dual_mul_f32 v60, 0x3fb8aa3b, v62
	s_wait_alu 0xfffd
	v_dual_fmac_f32 v90, v10, v70 :: v_dual_cndmask_b32 v59, 0, v59
	v_cmp_nlt_f32_e32 vcc_lo, 0x42b17218, v92
	s_delay_alu instid0(VALU_DEP_3)
	v_rndne_f32_e32 v105, v61
	v_cvt_f16_f32_e32 v66, v69
	s_wait_alu 0xfffd
	v_cndmask_b32_e32 v92, 0x7f800000, v59, vcc_lo
	v_mul_f32_e32 v59, 0x3fb8aa3b, v104
	v_fma_f32 v67, 0x3fb8aa3b, v62, -v60
	v_rndne_f32_e32 v106, v60
	v_sub_f32_e32 v11, v11, v7
	s_delay_alu instid0(VALU_DEP_4) | instskip(NEXT) | instid1(VALU_DEP_4)
	v_rndne_f32_e32 v109, v59
	v_fmac_f32_e32 v67, 0x32a5705f, v62
	v_fma_f32 v73, 0x3fb8aa3b, v68, -v61
	v_dual_sub_f32 v61, v61, v105 :: v_dual_sub_f32 v60, v60, v106
	v_cmp_ngt_f32_e32 vcc_lo, 0xc2ce8ed0, v68
	s_delay_alu instid0(VALU_DEP_3) | instskip(SKIP_2) | instid1(VALU_DEP_3)
	v_fmac_f32_e32 v73, 0x32a5705f, v68
	v_fma_f32 v108, 0x3fb8aa3b, v104, -v59
	v_sub_f32_e32 v59, v59, v109
	v_add_f32_e32 v61, v61, v73
	v_mul_f32_e32 v73, 0x3fb8aa3b, v11
	s_delay_alu instid0(VALU_DEP_4)
	v_fmac_f32_e32 v108, 0x32a5705f, v104
	v_add_f32_e32 v60, v60, v67
	v_cvt_i32_f32_e32 v67, v105
	v_exp_f32_e32 v61, v61
	v_fma_f32 v115, 0x3fb8aa3b, v11, -v73
	v_rndne_f32_e32 v118, v73
	v_add_f32_e32 v59, v59, v108
	v_exp_f32_e32 v60, v60
	v_cvt_f16_f32_e32 v105, v92
	v_dual_fmac_f32 v115, 0x32a5705f, v11 :: v_dual_add_f32 v92, v69, v92
	s_delay_alu instid0(VALU_DEP_3) | instskip(NEXT) | instid1(TRANS32_DEP_3)
	v_exp_f32_e32 v59, v59
	v_ldexp_f32 v61, v61, v67
	s_wait_alu 0xfffd
	s_delay_alu instid0(VALU_DEP_1) | instskip(SKIP_2) | instid1(VALU_DEP_2)
	v_cndmask_b32_e32 v61, 0, v61, vcc_lo
	v_cmp_nlt_f32_e32 vcc_lo, 0x42b17218, v68
	s_wait_alu 0xfffd
	v_dual_sub_f32 v73, v73, v118 :: v_dual_cndmask_b32 v68, 0x7f800000, v61
	s_delay_alu instid0(VALU_DEP_1)
	v_add_f32_e32 v67, v73, v115
	v_cvt_i32_f32_e32 v73, v106
	v_cvt_i32_f32_e32 v106, v109
	v_cmp_ngt_f32_e32 vcc_lo, 0xc2ce8ed0, v104
	v_cvt_i32_f32_e32 v61, v118
	v_exp_f32_e32 v67, v67
	v_ldexp_f32 v60, v60, v73
	v_ldexp_f32 v59, v59, v106
	s_wait_alu 0xfffd
	s_delay_alu instid0(VALU_DEP_1) | instskip(SKIP_1) | instid1(TRANS32_DEP_1)
	v_cndmask_b32_e32 v59, 0, v59, vcc_lo
	v_cmp_ngt_f32_e32 vcc_lo, 0xc2ce8ed0, v62
	v_ldexp_f32 v61, v67, v61
	v_cvt_f16_f32_e32 v67, v68
	s_wait_alu 0xfffd
	v_cndmask_b32_e32 v60, 0, v60, vcc_lo
	v_cmp_nlt_f32_e32 vcc_lo, 0x42b17218, v104
	s_wait_alu 0xfffd
	v_cndmask_b32_e32 v73, 0x7f800000, v59, vcc_lo
	v_cmp_ngt_f32_e32 vcc_lo, 0xc2ce8ed0, v11
	s_wait_alu 0xfffd
	v_cndmask_b32_e32 v59, 0, v61, vcc_lo
	v_cmp_nlt_f32_e32 vcc_lo, 0x42b17218, v62
	v_pack_b32_f16 v62, v66, v67
	v_pack_b32_f16 v61, v75, v96
	v_mul_u32_u24_e32 v67, 0x10001, v72
	s_wait_alu 0xfffd
	v_cndmask_b32_e32 v104, 0x7f800000, v60, vcc_lo
	v_cmp_nlt_f32_e32 vcc_lo, 0x42b17218, v11
	v_pack_b32_f16 v60, v93, v63
	v_pack_b32_f16 v63, v84, v103
	v_pk_mul_f16 v57, v57, v67
	v_fmac_f32_e32 v92, v9, v104
	v_cvt_f16_f32_e32 v106, v73
	s_wait_alu 0xfffd
	v_cndmask_b32_e32 v11, 0x7f800000, v59, vcc_lo
	v_pack_b32_f16 v59, v114, v107
	v_cvt_f16_f32_e32 v72, v104
	v_pk_mul_f16 v58, v58, v67
	v_pack_b32_f16 v66, v105, v106
	ds_store_b128 v51, v[59:62]
	ds_store_b128 v51, v[63:66] offset:512
	s_wait_loadcnt 0x1
	ds_store_b128 v47, v[99:102]
	s_wait_loadcnt 0x0
	ds_store_b128 v48, v[110:113]
	s_wait_dscnt 0x0
	s_barrier_signal -1
	s_barrier_wait -1
	global_inv scope:SCOPE_SE
	ds_load_b128 v[59:62], v46
	v_cvt_f16_f32_e32 v75, v11
	v_and_b32_e32 v63, 0xffff, v72
	s_delay_alu instid0(VALU_DEP_2) | instskip(NEXT) | instid1(VALU_DEP_2)
	v_dual_add_f32 v91, v68, v73 :: v_dual_and_b32 v10, 0xffff, v75
	v_mul_u32_u24_e32 v63, 0x10001, v63
	s_delay_alu instid0(VALU_DEP_2) | instskip(NEXT) | instid1(VALU_DEP_2)
	v_mul_u32_u24_e32 v10, 0x10001, v10
	v_pk_mul_f16 v72, v55, v63
	v_pk_mul_f16 v73, v56, v63
	s_delay_alu instid0(VALU_DEP_3)
	v_pk_mul_f16 v75, v54, v10
	v_pk_mul_f16 v84, v53, v10
	s_wait_dscnt 0x0
	v_lshrrev_b32_e32 v99, 16, v62
	v_dual_fmac_f32 v91, v8, v11 :: v_dual_and_b32 v62, 0xffff, v62
	ds_load_2addr_b64 v[8:11], v49 offset1:32
	ds_load_b128 v[53:56], v46 offset:16
	ds_load_b128 v[63:66], v46 offset:32
	;; [unrolled: 1-line block ×3, first 2 shown]
	v_lshrrev_b32_e32 v93, 16, v59
	v_and_b32_e32 v59, 0xffff, v59
	v_lshrrev_b32_e32 v96, 16, v60
	v_lshrrev_b32_e32 v97, 16, v61
	v_and_b32_e32 v60, 0xffff, v60
	v_and_b32_e32 v61, 0xffff, v61
	v_mul_u32_u24_e32 v59, 0x10001, v59
	v_mul_u32_u24_e32 v93, 0x10001, v93
	v_mul_u32_u24_e32 v96, 0x10001, v96
	v_mul_u32_u24_e32 v60, 0x10001, v60
	v_mul_u32_u24_e32 v61, 0x10001, v61
	v_mul_u32_u24_e32 v97, 0x10001, v97
	v_mul_u32_u24_e32 v62, 0x10001, v62
	v_mul_u32_u24_e32 v99, 0x10001, v99
	s_wait_dscnt 0x3
	v_pk_fma_f16 v82, v8, v59, v82
	v_pk_fma_f16 v100, v8, v93, v116
	;; [unrolled: 1-line block ×16, first 2 shown]
	s_wait_dscnt 0x2
	v_lshrrev_b32_e32 v73, 16, v53
	v_and_b32_e32 v53, 0xffff, v53
	v_lshrrev_b32_e32 v84, 16, v54
	v_lshrrev_b32_e32 v93, 16, v55
	;; [unrolled: 1-line block ×3, first 2 shown]
	v_and_b32_e32 v54, 0xffff, v54
	v_and_b32_e32 v55, 0xffff, v55
	;; [unrolled: 1-line block ×3, first 2 shown]
	v_mul_u32_u24_e32 v53, 0x10001, v53
	v_mul_u32_u24_e32 v73, 0x10001, v73
	;; [unrolled: 1-line block ×8, first 2 shown]
	v_pk_fma_f16 v82, v10, v53, v82
	v_pk_fma_f16 v96, v10, v73, v100
	v_pk_fma_f16 v74, v10, v54, v74
	v_pk_fma_f16 v78, v10, v84, v78
	v_pk_fma_f16 v71, v10, v55, v71
	v_pk_fma_f16 v57, v10, v93, v57
	v_pk_fma_f16 v72, v10, v95, v72
	v_pk_fma_f16 v8, v10, v94, v8
	v_pk_fma_f16 v10, v11, v53, v59
	v_pk_fma_f16 v60, v11, v54, v60
	v_pk_fma_f16 v61, v11, v55, v61
	ds_load_2addr_b64 v[53:56], v49 offset0:64 offset1:96
	v_pk_fma_f16 v59, v11, v73, v75
	v_pk_fma_f16 v73, v11, v84, v76
	;; [unrolled: 1-line block ×5, first 2 shown]
	s_wait_dscnt 0x2
	v_lshrrev_b32_e32 v11, 16, v63
	v_and_b32_e32 v63, 0xffff, v63
	v_lshrrev_b32_e32 v75, 16, v64
	v_lshrrev_b32_e32 v76, 16, v65
	;; [unrolled: 1-line block ×3, first 2 shown]
	v_and_b32_e32 v64, 0xffff, v64
	v_and_b32_e32 v65, 0xffff, v65
	;; [unrolled: 1-line block ×3, first 2 shown]
	v_mul_u32_u24_e32 v63, 0x10001, v63
	v_mul_u32_u24_e32 v11, 0x10001, v11
	;; [unrolled: 1-line block ×8, first 2 shown]
	s_wait_dscnt 0x0
	v_pk_fma_f16 v82, v53, v63, v82
	v_pk_fma_f16 v93, v53, v11, v96
	;; [unrolled: 1-line block ×16, first 2 shown]
	v_lshrrev_b32_e32 v8, 16, v67
	v_and_b32_e32 v9, 0xffff, v67
	v_lshrrev_b32_e32 v10, 16, v68
	v_lshrrev_b32_e32 v11, 16, v69
	v_and_b32_e32 v66, 0xffff, v68
	v_mul_u32_u24_e32 v68, 0x10001, v8
	v_mul_u32_u24_e32 v67, 0x10001, v9
	v_and_b32_e32 v9, 0xffff, v69
	v_and_b32_e32 v8, 0xffff, v70
	v_lshrrev_b32_e32 v65, 16, v70
	v_mul_u32_u24_e32 v69, 0x10001, v10
	v_mul_u32_u24_e32 v73, 0x10001, v11
	;; [unrolled: 1-line block ×4, first 2 shown]
	ds_load_b128 v[8:11], v46 offset:64
	v_mul_u32_u24_e32 v66, 0x10001, v66
	v_mul_u32_u24_e32 v65, 0x10001, v65
	v_pk_fma_f16 v76, v55, v67, v82
	v_pk_fma_f16 v82, v55, v68, v93
	;; [unrolled: 1-line block ×14, first 2 shown]
	ds_load_2addr_b64 v[57:60], v49 offset0:128 offset1:160
	v_pk_fma_f16 v62, v56, v75, v62
	v_pk_fma_f16 v65, v56, v65, v54
	ds_load_b128 v[53:56], v46 offset:80
	s_wait_dscnt 0x2
	v_lshrrev_b32_e32 v69, 16, v8
	v_and_b32_e32 v8, 0xffff, v8
	v_lshrrev_b32_e32 v70, 16, v9
	v_and_b32_e32 v9, 0xffff, v9
	v_lshrrev_b32_e32 v73, 16, v10
	v_lshrrev_b32_e32 v75, 16, v11
	v_mul_u32_u24_e32 v8, 0x10001, v8
	v_and_b32_e32 v10, 0xffff, v10
	v_and_b32_e32 v11, 0xffff, v11
	v_mul_u32_u24_e32 v9, 0x10001, v9
	v_mul_u32_u24_e32 v69, 0x10001, v69
	;; [unrolled: 1-line block ×7, first 2 shown]
	s_wait_dscnt 0x1
	v_pk_fma_f16 v76, v57, v8, v76
	v_pk_fma_f16 v74, v57, v9, v74
	;; [unrolled: 1-line block ×4, first 2 shown]
	s_wait_dscnt 0x0
	v_lshrrev_b32_e32 v8, 16, v53
	v_and_b32_e32 v9, 0xffff, v53
	v_pk_fma_f16 v71, v57, v10, v71
	v_pk_fma_f16 v72, v57, v11, v72
	;; [unrolled: 1-line block ×8, first 2 shown]
	v_lshrrev_b32_e32 v10, 16, v54
	v_lshrrev_b32_e32 v11, 16, v55
	v_mul_u32_u24_e32 v65, 0x10001, v9
	v_and_b32_e32 v9, 0xffff, v55
	v_mul_u32_u24_e32 v55, 0x10001, v8
	v_and_b32_e32 v8, 0xffff, v56
	v_pk_fma_f16 v82, v57, v69, v82
	v_pk_fma_f16 v78, v57, v70, v78
	;; [unrolled: 1-line block ×3, first 2 shown]
	v_lshrrev_b32_e32 v53, 16, v56
	v_and_b32_e32 v54, 0xffff, v54
	v_mul_u32_u24_e32 v56, 0x10001, v10
	v_mul_u32_u24_e32 v69, 0x10001, v9
	;; [unrolled: 1-line block ×4, first 2 shown]
	ds_load_b128 v[8:11], v46 offset:96
	v_pk_fma_f16 v57, v57, v75, v93
	v_mul_u32_u24_e32 v54, 0x10001, v54
	v_mul_u32_u24_e32 v75, 0x10001, v53
	v_pk_fma_f16 v76, v59, v65, v76
	v_pk_fma_f16 v82, v59, v55, v82
	;; [unrolled: 1-line block ×14, first 2 shown]
	ds_load_2addr_b64 v[53:56], v49 offset0:192 offset1:224
	v_pk_fma_f16 v62, v60, v73, v62
	v_pk_fma_f16 v68, v60, v75, v58
	ds_load_b128 v[57:60], v46 offset:112
	s_wait_dscnt 0x2
	v_lshrrev_b32_e32 v69, 16, v8
	v_and_b32_e32 v8, 0xffff, v8
	v_lshrrev_b32_e32 v70, 16, v9
	v_and_b32_e32 v9, 0xffff, v9
	v_lshrrev_b32_e32 v73, 16, v10
	v_lshrrev_b32_e32 v75, 16, v11
	v_mul_u32_u24_e32 v8, 0x10001, v8
	v_and_b32_e32 v10, 0xffff, v10
	v_and_b32_e32 v11, 0xffff, v11
	v_mul_u32_u24_e32 v9, 0x10001, v9
	v_mul_u32_u24_e32 v69, 0x10001, v69
	;; [unrolled: 1-line block ×7, first 2 shown]
	s_wait_dscnt 0x1
	v_pk_fma_f16 v76, v53, v8, v76
	v_pk_fma_f16 v74, v53, v9, v74
	;; [unrolled: 1-line block ×4, first 2 shown]
	s_wait_dscnt 0x0
	v_lshrrev_b32_e32 v8, 16, v57
	v_and_b32_e32 v9, 0xffff, v57
	v_pk_fma_f16 v71, v53, v10, v71
	v_pk_fma_f16 v72, v53, v11, v72
	v_pk_fma_f16 v65, v54, v69, v65
	v_pk_fma_f16 v64, v54, v70, v64
	v_pk_fma_f16 v61, v54, v10, v61
	v_pk_fma_f16 v67, v54, v73, v67
	v_pk_fma_f16 v62, v54, v11, v62
	v_pk_fma_f16 v54, v54, v75, v68
	v_lshrrev_b32_e32 v10, 16, v58
	v_lshrrev_b32_e32 v11, 16, v59
	;; [unrolled: 1-line block ×3, first 2 shown]
	v_and_b32_e32 v58, 0xffff, v58
	v_mul_u32_u24_e32 v68, 0x10001, v9
	v_and_b32_e32 v9, 0xffff, v59
	v_mul_u32_u24_e32 v59, 0x10001, v8
	v_and_b32_e32 v8, 0xffff, v60
	v_pk_fma_f16 v82, v53, v69, v82
	v_pk_fma_f16 v78, v53, v70, v78
	;; [unrolled: 1-line block ×4, first 2 shown]
	v_mul_u32_u24_e32 v58, 0x10001, v58
	v_mul_u32_u24_e32 v60, 0x10001, v10
	;; [unrolled: 1-line block ×6, first 2 shown]
	ds_load_b128 v[8:11], v46 offset:128
	v_pk_fma_f16 v76, v55, v68, v76
	v_pk_fma_f16 v82, v55, v59, v82
	;; [unrolled: 1-line block ×8, first 2 shown]
	v_add_nc_u32_e32 v53, 0x800, v49
	v_pk_fma_f16 v68, v56, v68, v63
	v_pk_fma_f16 v65, v56, v59, v65
	v_pk_fma_f16 v66, v56, v58, v66
	v_pk_fma_f16 v93, v56, v60, v64
	v_pk_fma_f16 v69, v56, v69, v61
	v_pk_fma_f16 v67, v56, v70, v67
	ds_load_2addr_b64 v[57:60], v53 offset1:32
	v_pk_fma_f16 v70, v56, v73, v62
	ds_load_b128 v[61:64], v46 offset:144
	v_pk_fma_f16 v54, v56, v75, v54
	s_wait_dscnt 0x2
	v_lshrrev_b32_e32 v56, 16, v8
	v_and_b32_e32 v8, 0xffff, v8
	v_lshrrev_b32_e32 v73, 16, v9
	v_lshrrev_b32_e32 v75, 16, v10
	;; [unrolled: 1-line block ×3, first 2 shown]
	v_and_b32_e32 v9, 0xffff, v9
	v_and_b32_e32 v10, 0xffff, v10
	;; [unrolled: 1-line block ×3, first 2 shown]
	v_mul_u32_u24_e32 v8, 0x10001, v8
	v_mul_u32_u24_e32 v56, 0x10001, v56
	;; [unrolled: 1-line block ×8, first 2 shown]
	s_wait_dscnt 0x1
	v_pk_fma_f16 v76, v57, v8, v76
	v_pk_fma_f16 v82, v57, v56, v82
	;; [unrolled: 1-line block ×11, first 2 shown]
	s_wait_dscnt 0x0
	v_lshrrev_b32_e32 v8, 16, v61
	v_and_b32_e32 v9, 0xffff, v61
	v_pk_fma_f16 v68, v58, v10, v69
	v_pk_fma_f16 v69, v58, v11, v70
	v_lshrrev_b32_e32 v10, 16, v62
	v_lshrrev_b32_e32 v11, 16, v63
	v_and_b32_e32 v61, 0xffff, v62
	v_mul_u32_u24_e32 v62, 0x10001, v9
	v_and_b32_e32 v9, 0xffff, v63
	v_mul_u32_u24_e32 v63, 0x10001, v8
	v_and_b32_e32 v8, 0xffff, v64
	v_pk_fma_f16 v66, v58, v73, v93
	v_pk_fma_f16 v67, v58, v75, v67
	;; [unrolled: 1-line block ×3, first 2 shown]
	v_lshrrev_b32_e32 v54, 16, v64
	v_mul_u32_u24_e32 v64, 0x10001, v10
	v_mul_u32_u24_e32 v70, 0x10001, v9
	;; [unrolled: 1-line block ×4, first 2 shown]
	ds_load_b128 v[8:11], v46 offset:160
	v_mul_u32_u24_e32 v61, 0x10001, v61
	v_mul_u32_u24_e32 v93, 0x10001, v54
	v_pk_fma_f16 v76, v59, v62, v76
	v_pk_fma_f16 v82, v59, v63, v82
	;; [unrolled: 1-line block ×14, first 2 shown]
	ds_load_2addr_b64 v[54:57], v53 offset0:64 offset1:96
	v_pk_fma_f16 v68, v60, v75, v69
	v_pk_fma_f16 v69, v60, v93, v58
	ds_load_b128 v[58:61], v46 offset:176
	s_wait_dscnt 0x2
	v_lshrrev_b32_e32 v70, 16, v8
	v_and_b32_e32 v8, 0xffff, v8
	v_lshrrev_b32_e32 v73, 16, v9
	v_and_b32_e32 v9, 0xffff, v9
	v_lshrrev_b32_e32 v75, 16, v10
	v_lshrrev_b32_e32 v93, 16, v11
	v_mul_u32_u24_e32 v8, 0x10001, v8
	v_and_b32_e32 v10, 0xffff, v10
	v_and_b32_e32 v11, 0xffff, v11
	v_mul_u32_u24_e32 v9, 0x10001, v9
	v_mul_u32_u24_e32 v70, 0x10001, v70
	;; [unrolled: 1-line block ×7, first 2 shown]
	s_wait_dscnt 0x1
	v_pk_fma_f16 v76, v54, v8, v76
	v_pk_fma_f16 v74, v54, v9, v74
	;; [unrolled: 1-line block ×4, first 2 shown]
	s_wait_dscnt 0x0
	v_lshrrev_b32_e32 v8, 16, v58
	v_and_b32_e32 v9, 0xffff, v58
	v_pk_fma_f16 v71, v54, v10, v71
	v_pk_fma_f16 v72, v54, v11, v72
	;; [unrolled: 1-line block ×8, first 2 shown]
	v_lshrrev_b32_e32 v10, 16, v59
	v_lshrrev_b32_e32 v11, 16, v60
	v_mul_u32_u24_e32 v69, 0x10001, v9
	v_and_b32_e32 v9, 0xffff, v60
	v_mul_u32_u24_e32 v60, 0x10001, v8
	v_and_b32_e32 v8, 0xffff, v61
	v_pk_fma_f16 v82, v54, v70, v82
	v_pk_fma_f16 v78, v54, v73, v78
	;; [unrolled: 1-line block ×3, first 2 shown]
	v_lshrrev_b32_e32 v58, 16, v61
	v_and_b32_e32 v59, 0xffff, v59
	v_mul_u32_u24_e32 v61, 0x10001, v10
	v_mul_u32_u24_e32 v70, 0x10001, v9
	;; [unrolled: 1-line block ×4, first 2 shown]
	ds_load_b128 v[8:11], v46 offset:192
	v_pk_fma_f16 v54, v54, v93, v94
	v_mul_u32_u24_e32 v59, 0x10001, v59
	v_mul_u32_u24_e32 v93, 0x10001, v58
	v_pk_fma_f16 v76, v56, v69, v76
	v_pk_fma_f16 v82, v56, v60, v82
	;; [unrolled: 1-line block ×14, first 2 shown]
	ds_load_2addr_b64 v[58:61], v53 offset0:128 offset1:160
	v_pk_fma_f16 v68, v57, v75, v68
	v_pk_fma_f16 v69, v57, v93, v55
	ds_load_b128 v[54:57], v46 offset:208
	s_wait_dscnt 0x2
	v_lshrrev_b32_e32 v70, 16, v8
	v_and_b32_e32 v8, 0xffff, v8
	v_lshrrev_b32_e32 v73, 16, v9
	v_and_b32_e32 v9, 0xffff, v9
	v_lshrrev_b32_e32 v75, 16, v10
	v_lshrrev_b32_e32 v93, 16, v11
	v_mul_u32_u24_e32 v8, 0x10001, v8
	v_and_b32_e32 v10, 0xffff, v10
	v_and_b32_e32 v11, 0xffff, v11
	v_mul_u32_u24_e32 v9, 0x10001, v9
	v_mul_u32_u24_e32 v70, 0x10001, v70
	;; [unrolled: 1-line block ×7, first 2 shown]
	s_wait_dscnt 0x1
	v_pk_fma_f16 v76, v58, v8, v76
	v_pk_fma_f16 v74, v58, v9, v74
	;; [unrolled: 1-line block ×4, first 2 shown]
	s_wait_dscnt 0x0
	v_lshrrev_b32_e32 v8, 16, v54
	v_and_b32_e32 v9, 0xffff, v54
	v_pk_fma_f16 v71, v58, v10, v71
	v_pk_fma_f16 v72, v58, v11, v72
	;; [unrolled: 1-line block ×8, first 2 shown]
	v_lshrrev_b32_e32 v10, 16, v55
	v_lshrrev_b32_e32 v11, 16, v56
	v_mul_u32_u24_e32 v69, 0x10001, v9
	v_and_b32_e32 v9, 0xffff, v56
	v_mul_u32_u24_e32 v56, 0x10001, v8
	v_and_b32_e32 v8, 0xffff, v57
	v_pk_fma_f16 v82, v58, v70, v82
	v_pk_fma_f16 v78, v58, v73, v78
	;; [unrolled: 1-line block ×3, first 2 shown]
	v_lshrrev_b32_e32 v54, 16, v57
	v_and_b32_e32 v55, 0xffff, v55
	v_mul_u32_u24_e32 v57, 0x10001, v10
	v_mul_u32_u24_e32 v70, 0x10001, v9
	;; [unrolled: 1-line block ×4, first 2 shown]
	ds_load_b128 v[8:11], v46 offset:224
	v_pk_fma_f16 v58, v58, v93, v94
	v_mul_u32_u24_e32 v55, 0x10001, v55
	v_mul_u32_u24_e32 v93, 0x10001, v54
	v_pk_fma_f16 v76, v60, v69, v76
	v_pk_fma_f16 v82, v60, v56, v82
	;; [unrolled: 1-line block ×14, first 2 shown]
	ds_load_2addr_b64 v[54:57], v53 offset0:192 offset1:224
	v_pk_fma_f16 v68, v61, v75, v68
	v_pk_fma_f16 v69, v61, v93, v59
	ds_load_b128 v[58:61], v46 offset:240
	s_wait_dscnt 0x2
	v_lshrrev_b32_e32 v70, 16, v8
	v_and_b32_e32 v8, 0xffff, v8
	v_lshrrev_b32_e32 v73, 16, v9
	v_and_b32_e32 v9, 0xffff, v9
	v_lshrrev_b32_e32 v75, 16, v10
	v_lshrrev_b32_e32 v93, 16, v11
	v_mul_u32_u24_e32 v8, 0x10001, v8
	v_and_b32_e32 v10, 0xffff, v10
	v_and_b32_e32 v11, 0xffff, v11
	v_mul_u32_u24_e32 v9, 0x10001, v9
	v_mul_u32_u24_e32 v70, 0x10001, v70
	;; [unrolled: 1-line block ×7, first 2 shown]
	s_wait_dscnt 0x1
	v_pk_fma_f16 v76, v54, v8, v76
	v_pk_fma_f16 v74, v54, v9, v74
	;; [unrolled: 1-line block ×4, first 2 shown]
	s_wait_dscnt 0x0
	v_lshrrev_b32_e32 v8, 16, v58
	v_and_b32_e32 v9, 0xffff, v58
	v_pk_fma_f16 v71, v54, v10, v71
	v_pk_fma_f16 v72, v54, v11, v72
	;; [unrolled: 1-line block ×8, first 2 shown]
	v_lshrrev_b32_e32 v10, 16, v59
	v_lshrrev_b32_e32 v11, 16, v60
	;; [unrolled: 1-line block ×3, first 2 shown]
	v_and_b32_e32 v59, 0xffff, v59
	v_mul_u32_u24_e32 v69, 0x10001, v9
	v_and_b32_e32 v9, 0xffff, v60
	v_mul_u32_u24_e32 v60, 0x10001, v8
	v_and_b32_e32 v8, 0xffff, v61
	v_pk_fma_f16 v82, v54, v70, v82
	v_pk_fma_f16 v78, v54, v73, v78
	;; [unrolled: 1-line block ×4, first 2 shown]
	v_mul_u32_u24_e32 v59, 0x10001, v59
	v_mul_u32_u24_e32 v61, 0x10001, v10
	v_mul_u32_u24_e32 v70, 0x10001, v9
	v_mul_u32_u24_e32 v73, 0x10001, v11
	v_mul_u32_u24_e32 v75, 0x10001, v8
	v_mul_u32_u24_e32 v93, 0x10001, v58
	ds_load_b128 v[8:11], v46 offset:256
	v_pk_fma_f16 v76, v56, v69, v76
	v_pk_fma_f16 v82, v56, v60, v82
	;; [unrolled: 1-line block ×8, first 2 shown]
	v_add_nc_u32_e32 v54, 0x1000, v49
	v_pk_fma_f16 v69, v57, v69, v62
	v_pk_fma_f16 v94, v57, v60, v63
	;; [unrolled: 1-line block ×4, first 2 shown]
	ds_load_2addr_b64 v[58:61], v54 offset1:32
	ds_load_b128 v[62:65], v46 offset:272
	v_pk_fma_f16 v66, v57, v70, v66
	v_pk_fma_f16 v67, v57, v73, v67
	;; [unrolled: 1-line block ×4, first 2 shown]
	s_wait_dscnt 0x2
	v_lshrrev_b32_e32 v57, 16, v8
	v_and_b32_e32 v8, 0xffff, v8
	v_lshrrev_b32_e32 v70, 16, v9
	v_lshrrev_b32_e32 v73, 16, v10
	;; [unrolled: 1-line block ×3, first 2 shown]
	v_and_b32_e32 v9, 0xffff, v9
	v_and_b32_e32 v10, 0xffff, v10
	v_and_b32_e32 v11, 0xffff, v11
	v_mul_u32_u24_e32 v8, 0x10001, v8
	v_mul_u32_u24_e32 v57, 0x10001, v57
	;; [unrolled: 1-line block ×8, first 2 shown]
	s_wait_dscnt 0x1
	v_pk_fma_f16 v76, v58, v8, v76
	v_pk_fma_f16 v82, v58, v57, v82
	;; [unrolled: 1-line block ×10, first 2 shown]
	s_wait_dscnt 0x0
	v_lshrrev_b32_e32 v8, 16, v62
	v_and_b32_e32 v9, 0xffff, v62
	v_pk_fma_f16 v66, v59, v10, v66
	v_pk_fma_f16 v68, v59, v11, v68
	v_lshrrev_b32_e32 v10, 16, v63
	v_lshrrev_b32_e32 v11, 16, v64
	v_and_b32_e32 v62, 0xffff, v63
	v_mul_u32_u24_e32 v63, 0x10001, v9
	v_and_b32_e32 v9, 0xffff, v64
	v_mul_u32_u24_e32 v64, 0x10001, v8
	v_and_b32_e32 v8, 0xffff, v65
	v_pk_fma_f16 v57, v59, v57, v94
	v_pk_fma_f16 v70, v59, v70, v96
	;; [unrolled: 1-line block ×4, first 2 shown]
	v_lshrrev_b32_e32 v55, 16, v65
	v_mul_u32_u24_e32 v65, 0x10001, v10
	v_mul_u32_u24_e32 v73, 0x10001, v9
	;; [unrolled: 1-line block ×4, first 2 shown]
	ds_load_b128 v[8:11], v46 offset:288
	v_mul_u32_u24_e32 v62, 0x10001, v62
	v_mul_u32_u24_e32 v94, 0x10001, v55
	v_pk_fma_f16 v76, v60, v63, v76
	v_pk_fma_f16 v82, v60, v64, v82
	;; [unrolled: 1-line block ×14, first 2 shown]
	ds_load_2addr_b64 v[55:58], v54 offset0:64 offset1:96
	v_pk_fma_f16 v68, v61, v93, v68
	v_pk_fma_f16 v70, v61, v94, v59
	ds_load_b128 v[59:62], v46 offset:304
	s_wait_dscnt 0x2
	v_lshrrev_b32_e32 v93, 16, v10
	v_lshrrev_b32_e32 v94, 16, v11
	v_and_b32_e32 v10, 0xffff, v10
	v_and_b32_e32 v11, 0xffff, v11
	v_lshrrev_b32_e32 v73, 16, v8
	v_and_b32_e32 v8, 0xffff, v8
	v_lshrrev_b32_e32 v75, 16, v9
	v_and_b32_e32 v9, 0xffff, v9
	v_mul_u32_u24_e32 v10, 0x10001, v10
	v_mul_u32_u24_e32 v11, 0x10001, v11
	;; [unrolled: 1-line block ×8, first 2 shown]
	s_wait_dscnt 0x1
	v_pk_fma_f16 v71, v55, v10, v71
	v_pk_fma_f16 v72, v55, v11, v72
	;; [unrolled: 1-line block ×4, first 2 shown]
	s_wait_dscnt 0x0
	v_lshrrev_b32_e32 v11, 16, v59
	v_and_b32_e32 v59, 0xffff, v59
	v_pk_fma_f16 v76, v55, v8, v76
	v_pk_fma_f16 v74, v55, v9, v74
	v_pk_fma_f16 v8, v56, v8, v63
	v_pk_fma_f16 v63, v56, v73, v64
	v_pk_fma_f16 v9, v56, v9, v69
	v_pk_fma_f16 v64, v56, v75, v65
	v_pk_fma_f16 v65, v56, v93, v67
	v_pk_fma_f16 v56, v56, v94, v70
	v_lshrrev_b32_e32 v67, 16, v60
	v_lshrrev_b32_e32 v68, 16, v61
	v_and_b32_e32 v60, 0xffff, v60
	v_mul_u32_u24_e32 v70, 0x10001, v59
	v_and_b32_e32 v59, 0xffff, v61
	v_and_b32_e32 v61, 0xffff, v62
	v_pk_fma_f16 v82, v55, v73, v82
	v_pk_fma_f16 v78, v55, v75, v78
	;; [unrolled: 1-line block ×3, first 2 shown]
	v_lshrrev_b32_e32 v69, 16, v62
	v_mul_u32_u24_e32 v73, 0x10001, v60
	v_mul_u32_u24_e32 v75, 0x10001, v59
	;; [unrolled: 1-line block ×3, first 2 shown]
	ds_load_b128 v[59:62], v46 offset:320
	v_pk_fma_f16 v55, v55, v94, v95
	v_mul_u32_u24_e32 v11, 0x10001, v11
	v_mul_u32_u24_e32 v67, 0x10001, v67
	;; [unrolled: 1-line block ×4, first 2 shown]
	v_pk_fma_f16 v76, v57, v70, v76
	v_pk_fma_f16 v82, v57, v11, v82
	;; [unrolled: 1-line block ×14, first 2 shown]
	ds_load_2addr_b64 v[8:11], v54 offset0:128 offset1:160
	v_pk_fma_f16 v66, v58, v93, v66
	v_pk_fma_f16 v68, v58, v69, v56
	ds_load_b128 v[55:58], v46 offset:336
	s_wait_dscnt 0x2
	v_lshrrev_b32_e32 v69, 16, v59
	v_and_b32_e32 v59, 0xffff, v59
	v_lshrrev_b32_e32 v75, 16, v60
	v_lshrrev_b32_e32 v93, 16, v61
	;; [unrolled: 1-line block ×3, first 2 shown]
	v_and_b32_e32 v60, 0xffff, v60
	v_and_b32_e32 v61, 0xffff, v61
	;; [unrolled: 1-line block ×3, first 2 shown]
	v_mul_u32_u24_e32 v59, 0x10001, v59
	v_mul_u32_u24_e32 v69, 0x10001, v69
	v_mul_u32_u24_e32 v60, 0x10001, v60
	v_mul_u32_u24_e32 v75, 0x10001, v75
	v_mul_u32_u24_e32 v61, 0x10001, v61
	v_mul_u32_u24_e32 v93, 0x10001, v93
	v_mul_u32_u24_e32 v62, 0x10001, v62
	v_mul_u32_u24_e32 v95, 0x10001, v95
	s_wait_dscnt 0x1
	v_pk_fma_f16 v76, v8, v59, v76
	v_pk_fma_f16 v82, v8, v69, v82
	;; [unrolled: 1-line block ×8, first 2 shown]
	s_wait_dscnt 0x0
	v_lshrrev_b32_e32 v8, 16, v55
	v_and_b32_e32 v55, 0xffff, v55
	v_pk_fma_f16 v147, v9, v75, v64
	s_wait_alu 0xfffe
	v_add_co_u32 v75, vcc_lo, s24, v16
	v_pk_fma_f16 v144, v9, v59, v70
	v_mul_u32_u24_e32 v151, 0x10001, v55
	v_lshrrev_b32_e32 v59, 16, v56
	v_and_b32_e32 v56, 0xffff, v56
	v_mul_u32_u24_e32 v152, 0x10001, v8
	v_and_b32_e32 v8, 0xffff, v58
	v_pk_fma_f16 v159, v10, v151, v76
	s_wait_alu 0xfffd
	v_add_co_ci_u32_e64 v76, null, s25, v17, vcc_lo
	v_add_co_u32 v133, vcc_lo, s24, v18
	s_wait_alu 0xfffd
	v_add_co_ci_u32_e64 v134, null, s25, v19, vcc_lo
	v_add_co_u32 v75, vcc_lo, v75, v52
	;; [unrolled: 3-line block ×3, first 2 shown]
	v_pk_fma_f16 v146, v9, v60, v73
	v_pk_fma_f16 v148, v9, v61, v67
	v_lshrrev_b32_e32 v60, 16, v57
	v_lshrrev_b32_e32 v61, 16, v58
	v_and_b32_e32 v55, 0xffff, v57
	v_mul_u32_u24_e32 v153, 0x10001, v56
	v_mul_u32_u24_e32 v157, 0x10001, v8
	v_add_nc_u32_e32 v8, 0x1800, v49
	s_wait_alu 0xfffd
	v_add_co_ci_u32_e64 v138, null, 0, v134, vcc_lo
	v_pk_fma_f16 v145, v9, v69, v63
	v_pk_fma_f16 v149, v9, v93, v65
	;; [unrolled: 1-line block ×4, first 2 shown]
	v_mul_u32_u24_e32 v154, 0x10001, v59
	v_mul_u32_u24_e32 v155, 0x10001, v55
	;; [unrolled: 1-line block ×4, first 2 shown]
	v_pk_fma_f16 v160, v10, v153, v74
	ds_load_2addr_b64 v[55:58], v54 offset0:192 offset1:224
	ds_load_b128 v[59:62], v46 offset:352
	ds_load_b128 v[63:66], v46 offset:368
	ds_load_2addr_b64 v[67:70], v8 offset1:32
	ds_load_b128 v[71:74], v46 offset:384
	ds_load_b128 v[93:96], v46 offset:400
	ds_load_2addr_b64 v[97:100], v8 offset0:64 offset1:96
	ds_load_b128 v[101:104], v46 offset:416
	ds_load_b128 v[105:108], v46 offset:432
	ds_load_2addr_b64 v[109:112], v8 offset0:128 offset1:160
	;; [unrolled: 3-line block ×3, first 2 shown]
	ds_load_b128 v[125:128], v46 offset:480
	ds_load_b128 v[129:132], v46 offset:496
	s_wait_loadcnt_dscnt 0x0
	s_barrier_signal -1
	s_barrier_wait -1
	global_inv scope:SCOPE_SE
	s_clause 0x1
	global_load_b128 v[133:136], v[75:76], off
	global_load_b128 v[137:140], v[137:138], off
	v_pk_fma_f16 v82, v10, v152, v82
	v_pk_fma_f16 v75, v10, v154, v78
	;; [unrolled: 1-line block ×14, first 2 shown]
	v_lshrrev_b32_e32 v11, 16, v59
	v_and_b32_e32 v59, 0xffff, v59
	v_lshrrev_b32_e32 v148, 16, v60
	v_lshrrev_b32_e32 v149, 16, v61
	;; [unrolled: 1-line block ×3, first 2 shown]
	v_and_b32_e32 v60, 0xffff, v60
	v_and_b32_e32 v61, 0xffff, v61
	;; [unrolled: 1-line block ×3, first 2 shown]
	v_mul_u32_u24_e32 v59, 0x10001, v59
	v_mul_u32_u24_e32 v11, 0x10001, v11
	v_mul_u32_u24_e32 v60, 0x10001, v60
	v_mul_u32_u24_e32 v148, 0x10001, v148
	v_mul_u32_u24_e32 v61, 0x10001, v61
	v_mul_u32_u24_e32 v149, 0x10001, v149
	v_mul_u32_u24_e32 v62, 0x10001, v62
	v_mul_u32_u24_e32 v150, 0x10001, v150
	v_pk_fma_f16 v151, v55, v59, v159
	v_pk_fma_f16 v82, v55, v11, v82
	;; [unrolled: 1-line block ×16, first 2 shown]
	v_lshrrev_b32_e32 v56, 16, v63
	v_and_b32_e32 v63, 0xffff, v63
	v_lshrrev_b32_e32 v142, 16, v64
	v_lshrrev_b32_e32 v143, 16, v65
	;; [unrolled: 1-line block ×3, first 2 shown]
	v_and_b32_e32 v64, 0xffff, v64
	v_and_b32_e32 v65, 0xffff, v65
	;; [unrolled: 1-line block ×3, first 2 shown]
	v_mul_u32_u24_e32 v63, 0x10001, v63
	v_mul_u32_u24_e32 v56, 0x10001, v56
	;; [unrolled: 1-line block ×8, first 2 shown]
	v_pk_fma_f16 v145, v57, v63, v151
	v_pk_fma_f16 v82, v57, v56, v82
	;; [unrolled: 1-line block ×16, first 2 shown]
	v_lshrrev_b32_e32 v58, 16, v71
	v_and_b32_e32 v62, 0xffff, v71
	v_lshrrev_b32_e32 v63, 16, v72
	v_lshrrev_b32_e32 v64, 16, v73
	v_and_b32_e32 v66, 0xffff, v72
	v_and_b32_e32 v71, 0xffff, v73
	;; [unrolled: 1-line block ×3, first 2 shown]
	v_lshrrev_b32_e32 v65, 16, v74
	v_mul_u32_u24_e32 v62, 0x10001, v62
	v_mul_u32_u24_e32 v58, 0x10001, v58
	;; [unrolled: 1-line block ×8, first 2 shown]
	v_pk_fma_f16 v73, v67, v62, v145
	v_pk_fma_f16 v74, v67, v58, v82
	;; [unrolled: 1-line block ×9, first 2 shown]
	v_lshrrev_b32_e32 v61, 16, v93
	v_and_b32_e32 v62, 0xffff, v93
	v_and_b32_e32 v66, 0xffff, v94
	v_pk_fma_f16 v75, v67, v63, v75
	v_pk_fma_f16 v76, v67, v71, v76
	;; [unrolled: 1-line block ×7, first 2 shown]
	v_lshrrev_b32_e32 v63, 16, v94
	v_lshrrev_b32_e32 v64, 16, v95
	v_mul_u32_u24_e32 v62, 0x10001, v62
	v_and_b32_e32 v67, 0xffff, v95
	v_mul_u32_u24_e32 v61, 0x10001, v61
	v_and_b32_e32 v68, 0xffff, v96
	v_mul_u32_u24_e32 v66, 0x10001, v66
	v_lshrrev_b32_e32 v65, 16, v96
	v_mul_u32_u24_e32 v63, 0x10001, v63
	v_mul_u32_u24_e32 v67, 0x10001, v67
	;; [unrolled: 1-line block ×4, first 2 shown]
	v_pk_fma_f16 v71, v69, v62, v73
	v_pk_fma_f16 v72, v69, v61, v74
	;; [unrolled: 1-line block ×6, first 2 shown]
	v_lshrrev_b32_e32 v61, 16, v101
	v_and_b32_e32 v62, 0xffff, v101
	v_and_b32_e32 v66, 0xffff, v102
	v_mul_u32_u24_e32 v65, 0x10001, v65
	v_pk_fma_f16 v74, v69, v63, v75
	v_pk_fma_f16 v75, v69, v67, v76
	;; [unrolled: 1-line block ×7, first 2 shown]
	v_lshrrev_b32_e32 v63, 16, v102
	v_mul_u32_u24_e32 v62, 0x10001, v62
	v_and_b32_e32 v67, 0xffff, v103
	v_mul_u32_u24_e32 v61, 0x10001, v61
	v_and_b32_e32 v68, 0xffff, v104
	v_mul_u32_u24_e32 v66, 0x10001, v66
	v_pk_fma_f16 v10, v69, v65, v10
	v_pk_fma_f16 v59, v70, v64, v59
	;; [unrolled: 1-line block ×3, first 2 shown]
	v_mul_u32_u24_e32 v63, 0x10001, v63
	v_mul_u32_u24_e32 v67, 0x10001, v67
	v_mul_u32_u24_e32 v68, 0x10001, v68
	v_pk_fma_f16 v69, v97, v62, v71
	v_pk_fma_f16 v70, v97, v61, v72
	v_pk_fma_f16 v71, v97, v66, v73
	v_pk_fma_f16 v55, v98, v62, v55
	v_pk_fma_f16 v11, v98, v61, v11
	v_pk_fma_f16 v56, v98, v66, v56
	v_lshrrev_b32_e32 v61, 16, v105
	v_and_b32_e32 v62, 0xffff, v105
	v_and_b32_e32 v66, 0xffff, v106
	v_lshrrev_b32_e32 v64, 16, v103
	v_lshrrev_b32_e32 v65, 16, v104
	v_pk_fma_f16 v72, v97, v63, v74
	v_pk_fma_f16 v73, v97, v67, v75
	v_pk_fma_f16 v75, v97, v68, v78
	v_pk_fma_f16 v57, v98, v63, v57
	v_pk_fma_f16 v58, v98, v67, v58
	v_pk_fma_f16 v60, v98, v68, v60
	v_lshrrev_b32_e32 v63, 16, v106
	v_mul_u32_u24_e32 v62, 0x10001, v62
	v_and_b32_e32 v67, 0xffff, v107
	v_mul_u32_u24_e32 v61, 0x10001, v61
	v_and_b32_e32 v68, 0xffff, v108
	v_mul_u32_u24_e32 v66, 0x10001, v66
	v_mul_u32_u24_e32 v64, 0x10001, v64
	v_mul_u32_u24_e32 v65, 0x10001, v65
	v_mul_u32_u24_e32 v63, 0x10001, v63
	v_mul_u32_u24_e32 v67, 0x10001, v67
	v_mul_u32_u24_e32 v68, 0x10001, v68
	v_pk_fma_f16 v69, v99, v62, v69
	v_pk_fma_f16 v70, v99, v61, v70
	v_pk_fma_f16 v71, v99, v66, v71
	v_pk_fma_f16 v55, v100, v62, v55
	v_pk_fma_f16 v11, v100, v61, v11
	v_pk_fma_f16 v56, v100, v66, v56
	v_lshrrev_b32_e32 v61, 16, v113
	v_and_b32_e32 v62, 0xffff, v113
	v_and_b32_e32 v66, 0xffff, v114
	v_pk_fma_f16 v74, v97, v64, v76
	v_pk_fma_f16 v10, v97, v65, v10
	v_pk_fma_f16 v59, v98, v64, v59
	v_pk_fma_f16 v9, v98, v65, v9
	v_lshrrev_b32_e32 v64, 16, v107
	v_lshrrev_b32_e32 v65, 16, v108
	v_pk_fma_f16 v72, v99, v63, v72
	v_pk_fma_f16 v73, v99, v67, v73
	v_pk_fma_f16 v75, v99, v68, v75
	v_pk_fma_f16 v57, v100, v63, v57
	v_pk_fma_f16 v58, v100, v67, v58
	v_pk_fma_f16 v60, v100, v68, v60
	v_lshrrev_b32_e32 v63, 16, v114
	v_mul_u32_u24_e32 v62, 0x10001, v62
	v_and_b32_e32 v67, 0xffff, v115
	v_mul_u32_u24_e32 v61, 0x10001, v61
	v_and_b32_e32 v68, 0xffff, v116
	v_mul_u32_u24_e32 v66, 0x10001, v66
	v_mul_u32_u24_e32 v64, 0x10001, v64
	v_mul_u32_u24_e32 v65, 0x10001, v65
	v_mul_u32_u24_e32 v63, 0x10001, v63
	v_mul_u32_u24_e32 v67, 0x10001, v67
	v_mul_u32_u24_e32 v68, 0x10001, v68
	v_pk_fma_f16 v69, v109, v62, v69
	v_pk_fma_f16 v70, v109, v61, v70
	v_pk_fma_f16 v71, v109, v66, v71
	v_pk_fma_f16 v55, v110, v62, v55
	v_pk_fma_f16 v11, v110, v61, v11
	v_pk_fma_f16 v56, v110, v66, v56
	v_lshrrev_b32_e32 v61, 16, v117
	v_and_b32_e32 v62, 0xffff, v117
	v_and_b32_e32 v66, 0xffff, v118
	v_pk_fma_f16 v74, v99, v64, v74
	v_pk_fma_f16 v10, v99, v65, v10
	v_pk_fma_f16 v59, v100, v64, v59
	v_pk_fma_f16 v9, v100, v65, v9
	;; [unrolled: 32-line block ×3, first 2 shown]
	v_lshrrev_b32_e32 v64, 16, v119
	v_lshrrev_b32_e32 v65, 16, v120
	v_pk_fma_f16 v72, v111, v63, v72
	v_pk_fma_f16 v73, v111, v67, v73
	v_pk_fma_f16 v75, v111, v68, v75
	v_pk_fma_f16 v57, v112, v63, v57
	v_pk_fma_f16 v58, v112, v67, v58
	v_pk_fma_f16 v60, v112, v68, v60
	v_lshrrev_b32_e32 v63, 16, v126
	v_mul_u32_u24_e32 v62, 0x10001, v62
	v_and_b32_e32 v67, 0xffff, v127
	v_mul_u32_u24_e32 v61, 0x10001, v61
	v_and_b32_e32 v68, 0xffff, v128
	v_mul_u32_u24_e32 v66, 0x10001, v66
	v_mul_u32_u24_e32 v64, 0x10001, v64
	v_mul_u32_u24_e32 v65, 0x10001, v65
	v_mul_u32_u24_e32 v63, 0x10001, v63
	v_mul_u32_u24_e32 v67, 0x10001, v67
	v_mul_u32_u24_e32 v68, 0x10001, v68
	v_pk_fma_f16 v69, v121, v62, v69
	v_pk_fma_f16 v70, v121, v61, v70
	;; [unrolled: 1-line block ×5, first 2 shown]
	v_lshrrev_b32_e32 v55, 16, v129
	v_and_b32_e32 v56, 0xffff, v129
	v_pk_fma_f16 v74, v111, v64, v74
	v_pk_fma_f16 v10, v111, v65, v10
	;; [unrolled: 1-line block ×4, first 2 shown]
	v_lshrrev_b32_e32 v64, 16, v127
	v_lshrrev_b32_e32 v65, 16, v128
	v_pk_fma_f16 v71, v121, v66, v71
	v_pk_fma_f16 v72, v121, v63, v72
	;; [unrolled: 1-line block ×7, first 2 shown]
	v_lshrrev_b32_e32 v57, 16, v130
	v_lshrrev_b32_e32 v58, 16, v131
	v_mul_u32_u24_e32 v67, 0x10001, v56
	v_and_b32_e32 v56, 0xffff, v131
	v_mul_u32_u24_e32 v68, 0x10001, v55
	v_and_b32_e32 v55, 0xffff, v132
	v_mul_u32_u24_e32 v64, 0x10001, v64
	v_mul_u32_u24_e32 v65, 0x10001, v65
	;; [unrolled: 1-line block ×6, first 2 shown]
	s_wait_loadcnt 0x1
	ds_store_b128 v47, v[133:136]
	s_wait_loadcnt 0x0
	ds_store_b128 v48, v[137:140]
	s_wait_dscnt 0x0
	s_barrier_signal -1
	s_barrier_wait -1
	global_inv scope:SCOPE_SE
	ds_load_b128 v[55:58], v46 offset:512
	v_pk_fma_f16 v74, v121, v64, v74
	v_pk_fma_f16 v10, v121, v65, v10
	;; [unrolled: 1-line block ×4, first 2 shown]
	v_lshrrev_b32_e32 v64, 16, v132
	v_and_b32_e32 v65, 0xffff, v130
	v_pk_fma_f16 v93, v123, v67, v69
	v_pk_fma_f16 v94, v123, v68, v70
	;; [unrolled: 1-line block ×3, first 2 shown]
	v_mul_u32_u24_e32 v64, 0x10001, v64
	v_mul_u32_u24_e32 v65, 0x10001, v65
	v_pk_fma_f16 v97, v123, v78, v73
	v_pk_fma_f16 v98, v123, v82, v74
	v_pk_fma_f16 v75, v123, v84, v75
	v_pk_fma_f16 v10, v123, v64, v10
	v_pk_fma_f16 v95, v123, v65, v71
	v_pk_fma_f16 v99, v124, v67, v62
	v_pk_fma_f16 v11, v124, v68, v11
	v_pk_fma_f16 v100, v124, v65, v61
	v_pk_fma_f16 v76, v124, v76, v63
	v_pk_fma_f16 v78, v124, v78, v66
	v_pk_fma_f16 v82, v124, v82, v59
	v_pk_fma_f16 v84, v124, v84, v60
	v_pk_fma_f16 v9, v124, v64, v9
	ds_load_2addr_b64 v[59:62], v49 offset1:32
	ds_load_b128 v[63:66], v46 offset:528
	ds_load_b128 v[67:70], v46 offset:544
	;; [unrolled: 1-line block ×3, first 2 shown]
	s_wait_dscnt 0x4
	v_lshrrev_b32_e32 v101, 16, v55
	v_and_b32_e32 v55, 0xffff, v55
	v_lshrrev_b32_e32 v102, 16, v56
	v_lshrrev_b32_e32 v103, 16, v57
	;; [unrolled: 1-line block ×3, first 2 shown]
	v_and_b32_e32 v56, 0xffff, v56
	v_and_b32_e32 v57, 0xffff, v57
	;; [unrolled: 1-line block ×3, first 2 shown]
	v_mul_u32_u24_e32 v55, 0x10001, v55
	v_mul_u32_u24_e32 v101, 0x10001, v101
	;; [unrolled: 1-line block ×8, first 2 shown]
	s_wait_dscnt 0x3
	v_pk_fma_f16 v93, v59, v55, v93
	v_pk_fma_f16 v94, v59, v101, v94
	;; [unrolled: 1-line block ×16, first 2 shown]
	s_wait_dscnt 0x2
	v_lshrrev_b32_e32 v58, 16, v63
	v_and_b32_e32 v60, 0xffff, v63
	v_lshrrev_b32_e32 v63, 16, v64
	v_lshrrev_b32_e32 v82, 16, v65
	;; [unrolled: 1-line block ×3, first 2 shown]
	v_and_b32_e32 v64, 0xffff, v64
	v_and_b32_e32 v65, 0xffff, v65
	;; [unrolled: 1-line block ×3, first 2 shown]
	v_mul_u32_u24_e32 v60, 0x10001, v60
	v_mul_u32_u24_e32 v58, 0x10001, v58
	v_mul_u32_u24_e32 v64, 0x10001, v64
	v_mul_u32_u24_e32 v63, 0x10001, v63
	v_mul_u32_u24_e32 v65, 0x10001, v65
	v_mul_u32_u24_e32 v82, 0x10001, v82
	v_mul_u32_u24_e32 v66, 0x10001, v66
	v_mul_u32_u24_e32 v84, 0x10001, v84
	v_pk_fma_f16 v93, v61, v60, v93
	v_pk_fma_f16 v94, v61, v58, v94
	;; [unrolled: 1-line block ×13, first 2 shown]
	ds_load_2addr_b64 v[55:58], v49 offset0:64 offset1:96
	v_pk_fma_f16 v64, v62, v82, v76
	v_pk_fma_f16 v65, v62, v66, v78
	v_pk_fma_f16 v9, v62, v84, v9
	s_wait_dscnt 0x2
	v_lshrrev_b32_e32 v62, 16, v67
	v_and_b32_e32 v66, 0xffff, v67
	v_lshrrev_b32_e32 v67, 16, v68
	v_lshrrev_b32_e32 v76, 16, v69
	;; [unrolled: 1-line block ×3, first 2 shown]
	v_and_b32_e32 v68, 0xffff, v68
	v_and_b32_e32 v69, 0xffff, v69
	v_mul_u32_u24_e32 v62, 0x10001, v62
	v_and_b32_e32 v70, 0xffff, v70
	v_mul_u32_u24_e32 v67, 0x10001, v67
	v_mul_u32_u24_e32 v66, 0x10001, v66
	;; [unrolled: 1-line block ×7, first 2 shown]
	s_wait_dscnt 0x0
	v_pk_fma_f16 v84, v55, v62, v94
	v_pk_fma_f16 v94, v55, v67, v96
	;; [unrolled: 1-line block ×3, first 2 shown]
	v_and_b32_e32 v59, 0xffff, v71
	v_pk_fma_f16 v82, v55, v66, v93
	v_pk_fma_f16 v93, v55, v68, v95
	;; [unrolled: 1-line block ×10, first 2 shown]
	v_lshrrev_b32_e32 v60, 16, v72
	v_lshrrev_b32_e32 v61, 16, v73
	v_and_b32_e32 v62, 0xffff, v72
	v_mul_u32_u24_e32 v69, 0x10001, v59
	v_and_b32_e32 v59, 0xffff, v73
	v_pk_fma_f16 v64, v56, v76, v64
	v_pk_fma_f16 v68, v56, v70, v65
	;; [unrolled: 1-line block ×3, first 2 shown]
	v_lshrrev_b32_e32 v56, 16, v71
	v_lshrrev_b32_e32 v65, 16, v74
	v_and_b32_e32 v70, 0xffff, v74
	v_mul_u32_u24_e32 v71, 0x10001, v62
	v_mul_u32_u24_e32 v72, 0x10001, v60
	;; [unrolled: 1-line block ×4, first 2 shown]
	ds_load_b128 v[59:62], v46 offset:576
	v_mul_u32_u24_e32 v56, 0x10001, v56
	v_mul_u32_u24_e32 v70, 0x10001, v70
	;; [unrolled: 1-line block ×3, first 2 shown]
	v_pk_fma_f16 v78, v57, v69, v82
	v_pk_fma_f16 v69, v58, v69, v55
	v_pk_fma_f16 v82, v57, v56, v84
	v_pk_fma_f16 v84, v57, v71, v93
	v_pk_fma_f16 v93, v57, v72, v94
	v_pk_fma_f16 v94, v57, v73, v95
	v_pk_fma_f16 v95, v57, v74, v96
	v_pk_fma_f16 v75, v57, v70, v75
	v_pk_fma_f16 v10, v57, v76, v10
	v_pk_fma_f16 v11, v58, v56, v11
	v_pk_fma_f16 v71, v58, v71, v66
	v_pk_fma_f16 v67, v58, v72, v67
	v_pk_fma_f16 v72, v58, v73, v63
	v_pk_fma_f16 v73, v58, v74, v64
	ds_load_2addr_b64 v[63:66], v49 offset0:128 offset1:160
	v_pk_fma_f16 v68, v58, v70, v68
	v_pk_fma_f16 v9, v58, v76, v9
	ds_load_b128 v[55:58], v46 offset:592
	s_wait_dscnt 0x2
	v_lshrrev_b32_e32 v96, 16, v62
	v_and_b32_e32 v62, 0xffff, v62
	v_lshrrev_b32_e32 v70, 16, v59
	v_and_b32_e32 v59, 0xffff, v59
	v_lshrrev_b32_e32 v74, 16, v60
	v_lshrrev_b32_e32 v76, 16, v61
	v_and_b32_e32 v60, 0xffff, v60
	v_and_b32_e32 v61, 0xffff, v61
	v_mul_u32_u24_e32 v62, 0x10001, v62
	v_mul_u32_u24_e32 v59, 0x10001, v59
	;; [unrolled: 1-line block ×8, first 2 shown]
	s_wait_dscnt 0x1
	v_pk_fma_f16 v75, v63, v62, v75
	v_pk_fma_f16 v68, v64, v62, v68
	;; [unrolled: 1-line block ×3, first 2 shown]
	s_wait_dscnt 0x0
	v_lshrrev_b32_e32 v62, 16, v55
	v_and_b32_e32 v55, 0xffff, v55
	v_pk_fma_f16 v82, v63, v70, v82
	v_pk_fma_f16 v84, v63, v60, v84
	;; [unrolled: 1-line block ×13, first 2 shown]
	v_lshrrev_b32_e32 v64, 16, v56
	v_lshrrev_b32_e32 v69, 16, v57
	v_and_b32_e32 v56, 0xffff, v56
	v_mul_u32_u24_e32 v71, 0x10001, v55
	v_and_b32_e32 v55, 0xffff, v57
	v_and_b32_e32 v57, 0xffff, v58
	v_lshrrev_b32_e32 v70, 16, v58
	v_mul_u32_u24_e32 v72, 0x10001, v56
	v_mul_u32_u24_e32 v62, 0x10001, v62
	;; [unrolled: 1-line block ×4, first 2 shown]
	ds_load_b128 v[55:58], v46 offset:608
	v_mul_u32_u24_e32 v64, 0x10001, v64
	v_mul_u32_u24_e32 v69, 0x10001, v69
	;; [unrolled: 1-line block ×3, first 2 shown]
	v_pk_fma_f16 v76, v65, v71, v78
	v_pk_fma_f16 v78, v65, v62, v82
	;; [unrolled: 1-line block ×14, first 2 shown]
	ds_load_2addr_b64 v[59:62], v49 offset0:192 offset1:224
	v_pk_fma_f16 v68, v66, v74, v68
	v_pk_fma_f16 v9, v66, v70, v9
	ds_load_b128 v[63:66], v46 offset:624
	s_wait_dscnt 0x2
	v_lshrrev_b32_e32 v69, 16, v55
	v_and_b32_e32 v55, 0xffff, v55
	v_lshrrev_b32_e32 v70, 16, v56
	v_lshrrev_b32_e32 v74, 16, v57
	;; [unrolled: 1-line block ×3, first 2 shown]
	v_and_b32_e32 v56, 0xffff, v56
	v_and_b32_e32 v57, 0xffff, v57
	;; [unrolled: 1-line block ×3, first 2 shown]
	v_mul_u32_u24_e32 v55, 0x10001, v55
	v_mul_u32_u24_e32 v69, 0x10001, v69
	;; [unrolled: 1-line block ×8, first 2 shown]
	s_wait_dscnt 0x1
	v_pk_fma_f16 v76, v59, v55, v76
	v_pk_fma_f16 v78, v59, v69, v78
	;; [unrolled: 1-line block ×11, first 2 shown]
	s_wait_dscnt 0x0
	v_lshrrev_b32_e32 v55, 16, v63
	v_and_b32_e32 v56, 0xffff, v63
	v_pk_fma_f16 v71, v60, v57, v73
	v_pk_fma_f16 v68, v60, v58, v68
	v_lshrrev_b32_e32 v57, 16, v64
	v_lshrrev_b32_e32 v58, 16, v65
	v_and_b32_e32 v63, 0xffff, v64
	v_mul_u32_u24_e32 v64, 0x10001, v56
	v_and_b32_e32 v56, 0xffff, v65
	v_mul_u32_u24_e32 v65, 0x10001, v55
	v_and_b32_e32 v55, 0xffff, v66
	v_pk_fma_f16 v70, v60, v70, v95
	v_pk_fma_f16 v67, v60, v74, v67
	;; [unrolled: 1-line block ×3, first 2 shown]
	v_lshrrev_b32_e32 v60, 16, v66
	v_mul_u32_u24_e32 v66, 0x10001, v57
	v_mul_u32_u24_e32 v72, 0x10001, v56
	;; [unrolled: 1-line block ×4, first 2 shown]
	ds_load_b128 v[55:58], v46 offset:640
	v_mul_u32_u24_e32 v63, 0x10001, v63
	v_mul_u32_u24_e32 v60, 0x10001, v60
	v_pk_fma_f16 v76, v61, v64, v76
	v_pk_fma_f16 v78, v61, v65, v78
	;; [unrolled: 1-line block ×14, first 2 shown]
	ds_load_2addr_b64 v[63:66], v53 offset1:32
	v_pk_fma_f16 v68, v62, v74, v68
	v_pk_fma_f16 v9, v62, v60, v9
	ds_load_b128 v[59:62], v46 offset:656
	s_wait_dscnt 0x2
	v_lshrrev_b32_e32 v72, 16, v55
	v_and_b32_e32 v55, 0xffff, v55
	v_lshrrev_b32_e32 v73, 16, v56
	v_lshrrev_b32_e32 v74, 16, v57
	;; [unrolled: 1-line block ×3, first 2 shown]
	v_and_b32_e32 v56, 0xffff, v56
	v_and_b32_e32 v57, 0xffff, v57
	;; [unrolled: 1-line block ×3, first 2 shown]
	v_mul_u32_u24_e32 v55, 0x10001, v55
	v_mul_u32_u24_e32 v72, 0x10001, v72
	;; [unrolled: 1-line block ×8, first 2 shown]
	s_wait_dscnt 0x1
	v_pk_fma_f16 v76, v63, v55, v76
	v_pk_fma_f16 v78, v63, v72, v78
	;; [unrolled: 1-line block ×10, first 2 shown]
	s_wait_dscnt 0x0
	v_lshrrev_b32_e32 v55, 16, v59
	v_and_b32_e32 v56, 0xffff, v59
	v_pk_fma_f16 v11, v64, v72, v11
	v_pk_fma_f16 v70, v64, v73, v70
	v_pk_fma_f16 v71, v64, v57, v71
	v_pk_fma_f16 v67, v64, v74, v67
	v_pk_fma_f16 v68, v64, v58, v68
	v_pk_fma_f16 v9, v64, v96, v9
	v_lshrrev_b32_e32 v57, 16, v60
	v_lshrrev_b32_e32 v58, 16, v61
	v_mul_u32_u24_e32 v64, 0x10001, v56
	v_and_b32_e32 v56, 0xffff, v61
	v_mul_u32_u24_e32 v61, 0x10001, v55
	v_and_b32_e32 v55, 0xffff, v62
	v_lshrrev_b32_e32 v59, 16, v62
	v_and_b32_e32 v60, 0xffff, v60
	v_mul_u32_u24_e32 v62, 0x10001, v57
	v_mul_u32_u24_e32 v72, 0x10001, v56
	;; [unrolled: 1-line block ×4, first 2 shown]
	ds_load_b128 v[55:58], v46 offset:672
	v_mul_u32_u24_e32 v60, 0x10001, v60
	v_mul_u32_u24_e32 v95, 0x10001, v59
	v_pk_fma_f16 v76, v65, v64, v76
	v_pk_fma_f16 v78, v65, v61, v78
	;; [unrolled: 1-line block ×14, first 2 shown]
	ds_load_2addr_b64 v[59:62], v53 offset0:64 offset1:96
	v_pk_fma_f16 v68, v66, v74, v68
	v_pk_fma_f16 v9, v66, v95, v9
	ds_load_b128 v[63:66], v46 offset:688
	s_wait_dscnt 0x2
	v_lshrrev_b32_e32 v72, 16, v55
	v_and_b32_e32 v55, 0xffff, v55
	v_lshrrev_b32_e32 v73, 16, v56
	v_lshrrev_b32_e32 v74, 16, v57
	v_lshrrev_b32_e32 v95, 16, v58
	v_and_b32_e32 v56, 0xffff, v56
	v_and_b32_e32 v57, 0xffff, v57
	;; [unrolled: 1-line block ×3, first 2 shown]
	v_mul_u32_u24_e32 v55, 0x10001, v55
	v_mul_u32_u24_e32 v72, 0x10001, v72
	;; [unrolled: 1-line block ×8, first 2 shown]
	s_wait_dscnt 0x1
	v_pk_fma_f16 v76, v59, v55, v76
	v_pk_fma_f16 v78, v59, v72, v78
	;; [unrolled: 1-line block ×10, first 2 shown]
	s_wait_dscnt 0x0
	v_lshrrev_b32_e32 v55, 16, v63
	v_and_b32_e32 v56, 0xffff, v63
	v_pk_fma_f16 v71, v60, v57, v71
	v_pk_fma_f16 v68, v60, v58, v68
	v_lshrrev_b32_e32 v57, 16, v64
	v_lshrrev_b32_e32 v58, 16, v65
	v_and_b32_e32 v63, 0xffff, v64
	v_mul_u32_u24_e32 v64, 0x10001, v56
	v_and_b32_e32 v56, 0xffff, v65
	v_mul_u32_u24_e32 v65, 0x10001, v55
	v_and_b32_e32 v55, 0xffff, v66
	v_pk_fma_f16 v11, v60, v72, v11
	v_pk_fma_f16 v70, v60, v73, v70
	;; [unrolled: 1-line block ×4, first 2 shown]
	v_lshrrev_b32_e32 v60, 16, v66
	v_mul_u32_u24_e32 v66, 0x10001, v57
	v_mul_u32_u24_e32 v72, 0x10001, v56
	;; [unrolled: 1-line block ×4, first 2 shown]
	ds_load_b128 v[55:58], v46 offset:704
	v_mul_u32_u24_e32 v63, 0x10001, v63
	v_mul_u32_u24_e32 v60, 0x10001, v60
	v_pk_fma_f16 v76, v61, v64, v76
	v_pk_fma_f16 v78, v61, v65, v78
	;; [unrolled: 1-line block ×14, first 2 shown]
	ds_load_2addr_b64 v[63:66], v53 offset0:128 offset1:160
	v_pk_fma_f16 v68, v62, v74, v68
	v_pk_fma_f16 v9, v62, v60, v9
	ds_load_b128 v[59:62], v46 offset:720
	s_wait_dscnt 0x2
	v_lshrrev_b32_e32 v72, 16, v55
	v_and_b32_e32 v55, 0xffff, v55
	v_lshrrev_b32_e32 v73, 16, v56
	v_lshrrev_b32_e32 v74, 16, v57
	;; [unrolled: 1-line block ×3, first 2 shown]
	v_and_b32_e32 v56, 0xffff, v56
	v_and_b32_e32 v57, 0xffff, v57
	;; [unrolled: 1-line block ×3, first 2 shown]
	v_mul_u32_u24_e32 v55, 0x10001, v55
	v_mul_u32_u24_e32 v72, 0x10001, v72
	;; [unrolled: 1-line block ×8, first 2 shown]
	s_wait_dscnt 0x1
	v_pk_fma_f16 v76, v63, v55, v76
	v_pk_fma_f16 v78, v63, v72, v78
	;; [unrolled: 1-line block ×10, first 2 shown]
	s_wait_dscnt 0x0
	v_lshrrev_b32_e32 v55, 16, v59
	v_and_b32_e32 v56, 0xffff, v59
	v_pk_fma_f16 v11, v64, v72, v11
	v_pk_fma_f16 v70, v64, v73, v70
	;; [unrolled: 1-line block ×6, first 2 shown]
	v_lshrrev_b32_e32 v57, 16, v60
	v_lshrrev_b32_e32 v58, 16, v61
	v_mul_u32_u24_e32 v64, 0x10001, v56
	v_and_b32_e32 v56, 0xffff, v61
	v_mul_u32_u24_e32 v61, 0x10001, v55
	v_and_b32_e32 v55, 0xffff, v62
	v_lshrrev_b32_e32 v59, 16, v62
	v_and_b32_e32 v60, 0xffff, v60
	v_mul_u32_u24_e32 v62, 0x10001, v57
	v_mul_u32_u24_e32 v72, 0x10001, v56
	;; [unrolled: 1-line block ×4, first 2 shown]
	ds_load_b128 v[55:58], v46 offset:736
	v_mul_u32_u24_e32 v60, 0x10001, v60
	v_mul_u32_u24_e32 v95, 0x10001, v59
	v_pk_fma_f16 v76, v65, v64, v76
	v_pk_fma_f16 v78, v65, v61, v78
	;; [unrolled: 1-line block ×14, first 2 shown]
	ds_load_2addr_b64 v[59:62], v53 offset0:192 offset1:224
	v_pk_fma_f16 v53, v66, v74, v68
	v_pk_fma_f16 v9, v66, v95, v9
	ds_load_b128 v[63:66], v46 offset:752
	s_wait_dscnt 0x2
	v_lshrrev_b32_e32 v68, 16, v55
	v_and_b32_e32 v55, 0xffff, v55
	v_lshrrev_b32_e32 v72, 16, v56
	v_lshrrev_b32_e32 v73, 16, v57
	;; [unrolled: 1-line block ×3, first 2 shown]
	v_and_b32_e32 v56, 0xffff, v56
	v_and_b32_e32 v57, 0xffff, v57
	;; [unrolled: 1-line block ×3, first 2 shown]
	v_mul_u32_u24_e32 v55, 0x10001, v55
	v_mul_u32_u24_e32 v68, 0x10001, v68
	;; [unrolled: 1-line block ×8, first 2 shown]
	s_wait_dscnt 0x1
	v_pk_fma_f16 v76, v59, v55, v76
	v_pk_fma_f16 v78, v59, v68, v78
	;; [unrolled: 1-line block ×11, first 2 shown]
	s_wait_dscnt 0x0
	v_lshrrev_b32_e32 v55, 16, v63
	v_and_b32_e32 v56, 0xffff, v63
	v_pk_fma_f16 v69, v60, v72, v70
	v_pk_fma_f16 v70, v60, v57, v71
	;; [unrolled: 1-line block ×3, first 2 shown]
	v_lshrrev_b32_e32 v57, 16, v64
	v_lshrrev_b32_e32 v58, 16, v65
	v_and_b32_e32 v63, 0xffff, v64
	v_mul_u32_u24_e32 v64, 0x10001, v56
	v_and_b32_e32 v56, 0xffff, v65
	v_mul_u32_u24_e32 v65, 0x10001, v55
	v_and_b32_e32 v55, 0xffff, v66
	v_pk_fma_f16 v67, v60, v73, v67
	v_pk_fma_f16 v9, v60, v74, v9
	v_lshrrev_b32_e32 v60, 16, v66
	v_mul_u32_u24_e32 v66, 0x10001, v57
	v_mul_u32_u24_e32 v71, 0x10001, v56
	;; [unrolled: 1-line block ×4, first 2 shown]
	ds_load_b128 v[55:58], v46 offset:768
	v_mul_u32_u24_e32 v63, 0x10001, v63
	v_mul_u32_u24_e32 v60, 0x10001, v60
	v_pk_fma_f16 v74, v61, v64, v76
	v_pk_fma_f16 v76, v61, v65, v78
	;; [unrolled: 1-line block ×14, first 2 shown]
	ds_load_2addr_b64 v[63:66], v54 offset1:32
	v_pk_fma_f16 v53, v62, v73, v53
	v_pk_fma_f16 v9, v62, v60, v9
	ds_load_b128 v[59:62], v46 offset:784
	s_wait_dscnt 0x2
	v_lshrrev_b32_e32 v71, 16, v55
	v_and_b32_e32 v55, 0xffff, v55
	v_lshrrev_b32_e32 v72, 16, v56
	v_lshrrev_b32_e32 v73, 16, v57
	;; [unrolled: 1-line block ×3, first 2 shown]
	v_and_b32_e32 v56, 0xffff, v56
	v_and_b32_e32 v57, 0xffff, v57
	;; [unrolled: 1-line block ×3, first 2 shown]
	v_mul_u32_u24_e32 v55, 0x10001, v55
	v_mul_u32_u24_e32 v71, 0x10001, v71
	;; [unrolled: 1-line block ×8, first 2 shown]
	s_wait_dscnt 0x1
	v_pk_fma_f16 v74, v63, v55, v74
	v_pk_fma_f16 v76, v63, v71, v76
	;; [unrolled: 1-line block ×10, first 2 shown]
	s_wait_dscnt 0x0
	v_lshrrev_b32_e32 v55, 16, v59
	v_and_b32_e32 v56, 0xffff, v59
	v_pk_fma_f16 v11, v64, v71, v11
	v_pk_fma_f16 v69, v64, v72, v69
	;; [unrolled: 1-line block ×6, first 2 shown]
	v_lshrrev_b32_e32 v57, 16, v60
	v_lshrrev_b32_e32 v58, 16, v61
	v_mul_u32_u24_e32 v64, 0x10001, v56
	v_and_b32_e32 v56, 0xffff, v61
	v_mul_u32_u24_e32 v61, 0x10001, v55
	v_and_b32_e32 v55, 0xffff, v62
	v_lshrrev_b32_e32 v59, 16, v62
	v_and_b32_e32 v60, 0xffff, v60
	v_mul_u32_u24_e32 v62, 0x10001, v57
	v_mul_u32_u24_e32 v71, 0x10001, v56
	;; [unrolled: 1-line block ×4, first 2 shown]
	ds_load_b128 v[55:58], v46 offset:800
	v_mul_u32_u24_e32 v60, 0x10001, v60
	v_mul_u32_u24_e32 v94, 0x10001, v59
	v_pk_fma_f16 v74, v65, v64, v74
	v_pk_fma_f16 v76, v65, v61, v76
	;; [unrolled: 1-line block ×14, first 2 shown]
	ds_load_2addr_b64 v[59:62], v54 offset0:64 offset1:96
	v_pk_fma_f16 v53, v66, v73, v53
	v_pk_fma_f16 v9, v66, v94, v9
	ds_load_b128 v[63:66], v46 offset:816
	s_wait_dscnt 0x2
	v_lshrrev_b32_e32 v71, 16, v55
	v_and_b32_e32 v55, 0xffff, v55
	v_lshrrev_b32_e32 v72, 16, v56
	v_lshrrev_b32_e32 v73, 16, v57
	v_lshrrev_b32_e32 v94, 16, v58
	v_and_b32_e32 v56, 0xffff, v56
	v_and_b32_e32 v57, 0xffff, v57
	;; [unrolled: 1-line block ×3, first 2 shown]
	v_mul_u32_u24_e32 v55, 0x10001, v55
	v_mul_u32_u24_e32 v71, 0x10001, v71
	v_mul_u32_u24_e32 v56, 0x10001, v56
	v_mul_u32_u24_e32 v72, 0x10001, v72
	v_mul_u32_u24_e32 v57, 0x10001, v57
	v_mul_u32_u24_e32 v73, 0x10001, v73
	v_mul_u32_u24_e32 v58, 0x10001, v58
	v_mul_u32_u24_e32 v94, 0x10001, v94
	s_wait_dscnt 0x1
	v_pk_fma_f16 v74, v59, v55, v74
	v_pk_fma_f16 v76, v59, v71, v76
	;; [unrolled: 1-line block ×10, first 2 shown]
	s_wait_dscnt 0x0
	v_lshrrev_b32_e32 v55, 16, v63
	v_and_b32_e32 v56, 0xffff, v63
	v_pk_fma_f16 v70, v60, v57, v70
	v_pk_fma_f16 v53, v60, v58, v53
	v_lshrrev_b32_e32 v57, 16, v64
	v_lshrrev_b32_e32 v58, 16, v65
	v_and_b32_e32 v63, 0xffff, v64
	v_mul_u32_u24_e32 v64, 0x10001, v56
	v_and_b32_e32 v56, 0xffff, v65
	v_mul_u32_u24_e32 v65, 0x10001, v55
	v_and_b32_e32 v55, 0xffff, v66
	v_pk_fma_f16 v11, v60, v71, v11
	v_pk_fma_f16 v69, v60, v72, v69
	;; [unrolled: 1-line block ×4, first 2 shown]
	v_lshrrev_b32_e32 v60, 16, v66
	v_mul_u32_u24_e32 v66, 0x10001, v57
	v_mul_u32_u24_e32 v71, 0x10001, v56
	v_mul_u32_u24_e32 v72, 0x10001, v58
	v_mul_u32_u24_e32 v73, 0x10001, v55
	ds_load_b128 v[55:58], v46 offset:832
	v_mul_u32_u24_e32 v63, 0x10001, v63
	v_mul_u32_u24_e32 v60, 0x10001, v60
	v_pk_fma_f16 v74, v61, v64, v74
	v_pk_fma_f16 v76, v61, v65, v76
	;; [unrolled: 1-line block ×14, first 2 shown]
	ds_load_2addr_b64 v[63:66], v54 offset0:128 offset1:160
	v_pk_fma_f16 v53, v62, v73, v53
	v_pk_fma_f16 v9, v62, v60, v9
	ds_load_b128 v[59:62], v46 offset:848
	s_wait_dscnt 0x2
	v_lshrrev_b32_e32 v71, 16, v55
	v_and_b32_e32 v55, 0xffff, v55
	v_lshrrev_b32_e32 v72, 16, v56
	v_lshrrev_b32_e32 v73, 16, v57
	;; [unrolled: 1-line block ×3, first 2 shown]
	v_and_b32_e32 v56, 0xffff, v56
	v_and_b32_e32 v57, 0xffff, v57
	;; [unrolled: 1-line block ×3, first 2 shown]
	v_mul_u32_u24_e32 v55, 0x10001, v55
	v_mul_u32_u24_e32 v71, 0x10001, v71
	;; [unrolled: 1-line block ×8, first 2 shown]
	s_wait_dscnt 0x1
	v_pk_fma_f16 v74, v63, v55, v74
	v_pk_fma_f16 v76, v63, v71, v76
	;; [unrolled: 1-line block ×10, first 2 shown]
	s_wait_dscnt 0x0
	v_lshrrev_b32_e32 v55, 16, v59
	v_and_b32_e32 v56, 0xffff, v59
	v_pk_fma_f16 v11, v64, v71, v11
	v_pk_fma_f16 v69, v64, v72, v69
	;; [unrolled: 1-line block ×6, first 2 shown]
	v_lshrrev_b32_e32 v57, 16, v60
	v_lshrrev_b32_e32 v58, 16, v61
	v_mul_u32_u24_e32 v64, 0x10001, v56
	v_and_b32_e32 v56, 0xffff, v61
	v_mul_u32_u24_e32 v61, 0x10001, v55
	v_and_b32_e32 v55, 0xffff, v62
	v_lshrrev_b32_e32 v59, 16, v62
	v_and_b32_e32 v60, 0xffff, v60
	v_mul_u32_u24_e32 v62, 0x10001, v57
	v_mul_u32_u24_e32 v71, 0x10001, v56
	;; [unrolled: 1-line block ×4, first 2 shown]
	ds_load_b128 v[55:58], v46 offset:864
	v_mul_u32_u24_e32 v60, 0x10001, v60
	v_mul_u32_u24_e32 v94, 0x10001, v59
	v_pk_fma_f16 v74, v65, v64, v74
	v_pk_fma_f16 v76, v65, v61, v76
	;; [unrolled: 1-line block ×14, first 2 shown]
	ds_load_2addr_b64 v[59:62], v54 offset0:192 offset1:224
	v_pk_fma_f16 v53, v66, v73, v53
	v_pk_fma_f16 v9, v66, v94, v9
	ds_load_b128 v[63:66], v46 offset:880
	s_wait_dscnt 0x2
	v_lshrrev_b32_e32 v54, 16, v55
	v_lshrrev_b32_e32 v72, 16, v57
	;; [unrolled: 1-line block ×3, first 2 shown]
	v_and_b32_e32 v57, 0xffff, v57
	v_and_b32_e32 v58, 0xffff, v58
	;; [unrolled: 1-line block ×3, first 2 shown]
	v_lshrrev_b32_e32 v71, 16, v56
	v_and_b32_e32 v56, 0xffff, v56
	v_mul_u32_u24_e32 v54, 0x10001, v54
	v_mul_u32_u24_e32 v57, 0x10001, v57
	;; [unrolled: 1-line block ×8, first 2 shown]
	s_wait_dscnt 0x1
	v_pk_fma_f16 v76, v59, v54, v76
	v_pk_fma_f16 v84, v59, v57, v84
	v_pk_fma_f16 v11, v60, v54, v11
	v_pk_fma_f16 v57, v60, v57, v70
	v_pk_fma_f16 v70, v60, v58, v53
	s_wait_dscnt 0x0
	v_lshrrev_b32_e32 v53, 16, v63
	v_and_b32_e32 v54, 0xffff, v63
	v_pk_fma_f16 v74, v59, v55, v74
	v_pk_fma_f16 v78, v59, v56, v78
	;; [unrolled: 1-line block ×11, first 2 shown]
	v_lshrrev_b32_e32 v55, 16, v64
	v_lshrrev_b32_e32 v56, 16, v65
	v_and_b32_e32 v60, 0xffff, v64
	v_mul_u32_u24_e32 v63, 0x10001, v54
	v_and_b32_e32 v54, 0xffff, v65
	v_mul_u32_u24_e32 v64, 0x10001, v53
	v_and_b32_e32 v53, 0xffff, v66
	v_lshrrev_b32_e32 v58, 16, v66
	v_mul_u32_u24_e32 v65, 0x10001, v55
	v_mul_u32_u24_e32 v66, 0x10001, v54
	v_mul_u32_u24_e32 v71, 0x10001, v56
	v_mul_u32_u24_e32 v72, 0x10001, v53
	ds_load_b128 v[53:56], v46 offset:896
	v_mul_u32_u24_e32 v60, 0x10001, v60
	v_mul_u32_u24_e32 v73, 0x10001, v58
	v_pk_fma_f16 v74, v61, v63, v74
	v_pk_fma_f16 v76, v61, v64, v76
	;; [unrolled: 1-line block ×14, first 2 shown]
	ds_load_2addr_b64 v[57:60], v8 offset1:32
	v_pk_fma_f16 v69, v62, v72, v70
	v_pk_fma_f16 v9, v62, v73, v9
	ds_load_b128 v[61:64], v46 offset:912
	s_wait_dscnt 0x2
	v_lshrrev_b32_e32 v70, 16, v53
	v_and_b32_e32 v53, 0xffff, v53
	v_lshrrev_b32_e32 v71, 16, v54
	v_lshrrev_b32_e32 v72, 16, v55
	;; [unrolled: 1-line block ×3, first 2 shown]
	v_and_b32_e32 v54, 0xffff, v54
	v_and_b32_e32 v55, 0xffff, v55
	;; [unrolled: 1-line block ×3, first 2 shown]
	v_mul_u32_u24_e32 v53, 0x10001, v53
	v_mul_u32_u24_e32 v70, 0x10001, v70
	;; [unrolled: 1-line block ×8, first 2 shown]
	s_wait_dscnt 0x1
	v_pk_fma_f16 v74, v57, v53, v74
	v_pk_fma_f16 v76, v57, v70, v76
	;; [unrolled: 1-line block ×10, first 2 shown]
	s_wait_dscnt 0x0
	v_lshrrev_b32_e32 v53, 16, v61
	v_and_b32_e32 v54, 0xffff, v61
	v_pk_fma_f16 v66, v58, v55, v66
	v_pk_fma_f16 v69, v58, v56, v69
	v_lshrrev_b32_e32 v55, 16, v62
	v_lshrrev_b32_e32 v56, 16, v63
	v_and_b32_e32 v61, 0xffff, v62
	v_mul_u32_u24_e32 v62, 0x10001, v54
	v_and_b32_e32 v54, 0xffff, v63
	v_mul_u32_u24_e32 v63, 0x10001, v53
	v_and_b32_e32 v53, 0xffff, v64
	v_pk_fma_f16 v11, v58, v70, v11
	v_pk_fma_f16 v65, v58, v71, v65
	;; [unrolled: 1-line block ×4, first 2 shown]
	v_lshrrev_b32_e32 v58, 16, v64
	v_mul_u32_u24_e32 v64, 0x10001, v55
	v_mul_u32_u24_e32 v70, 0x10001, v54
	;; [unrolled: 1-line block ×4, first 2 shown]
	ds_load_b128 v[53:56], v46 offset:928
	v_mul_u32_u24_e32 v61, 0x10001, v61
	v_mul_u32_u24_e32 v58, 0x10001, v58
	v_pk_fma_f16 v73, v59, v62, v74
	v_pk_fma_f16 v74, v59, v63, v76
	;; [unrolled: 1-line block ×14, first 2 shown]
	ds_load_2addr_b64 v[61:64], v8 offset0:64 offset1:96
	v_pk_fma_f16 v69, v60, v72, v69
	v_pk_fma_f16 v9, v60, v58, v9
	ds_load_b128 v[57:60], v46 offset:944
	s_wait_dscnt 0x2
	v_lshrrev_b32_e32 v70, 16, v53
	v_and_b32_e32 v53, 0xffff, v53
	v_lshrrev_b32_e32 v71, 16, v54
	v_lshrrev_b32_e32 v72, 16, v55
	;; [unrolled: 1-line block ×3, first 2 shown]
	v_and_b32_e32 v54, 0xffff, v54
	v_and_b32_e32 v55, 0xffff, v55
	;; [unrolled: 1-line block ×3, first 2 shown]
	v_mul_u32_u24_e32 v53, 0x10001, v53
	v_mul_u32_u24_e32 v70, 0x10001, v70
	;; [unrolled: 1-line block ×8, first 2 shown]
	s_wait_dscnt 0x1
	v_pk_fma_f16 v73, v61, v53, v73
	v_pk_fma_f16 v74, v61, v70, v74
	;; [unrolled: 1-line block ×10, first 2 shown]
	s_wait_dscnt 0x0
	v_lshrrev_b32_e32 v53, 16, v57
	v_and_b32_e32 v54, 0xffff, v57
	v_pk_fma_f16 v11, v62, v70, v11
	v_pk_fma_f16 v65, v62, v71, v65
	;; [unrolled: 1-line block ×6, first 2 shown]
	v_lshrrev_b32_e32 v55, 16, v58
	v_lshrrev_b32_e32 v56, 16, v59
	v_mul_u32_u24_e32 v62, 0x10001, v54
	v_and_b32_e32 v54, 0xffff, v59
	v_mul_u32_u24_e32 v59, 0x10001, v53
	v_and_b32_e32 v53, 0xffff, v60
	v_lshrrev_b32_e32 v57, 16, v60
	v_and_b32_e32 v58, 0xffff, v58
	v_mul_u32_u24_e32 v60, 0x10001, v55
	v_mul_u32_u24_e32 v70, 0x10001, v54
	;; [unrolled: 1-line block ×4, first 2 shown]
	ds_load_b128 v[53:56], v46 offset:960
	v_mul_u32_u24_e32 v58, 0x10001, v58
	v_mul_u32_u24_e32 v93, 0x10001, v57
	v_pk_fma_f16 v73, v63, v62, v73
	v_pk_fma_f16 v74, v63, v59, v74
	;; [unrolled: 1-line block ×14, first 2 shown]
	ds_load_2addr_b64 v[57:60], v8 offset0:128 offset1:160
	v_pk_fma_f16 v69, v64, v72, v69
	v_pk_fma_f16 v9, v64, v93, v9
	ds_load_b128 v[61:64], v46 offset:976
	s_wait_dscnt 0x2
	v_lshrrev_b32_e32 v70, 16, v53
	v_and_b32_e32 v53, 0xffff, v53
	v_lshrrev_b32_e32 v71, 16, v54
	v_lshrrev_b32_e32 v72, 16, v55
	;; [unrolled: 1-line block ×3, first 2 shown]
	v_and_b32_e32 v54, 0xffff, v54
	v_and_b32_e32 v55, 0xffff, v55
	;; [unrolled: 1-line block ×3, first 2 shown]
	v_mul_u32_u24_e32 v53, 0x10001, v53
	v_mul_u32_u24_e32 v70, 0x10001, v70
	v_mul_u32_u24_e32 v54, 0x10001, v54
	v_mul_u32_u24_e32 v71, 0x10001, v71
	v_mul_u32_u24_e32 v55, 0x10001, v55
	v_mul_u32_u24_e32 v72, 0x10001, v72
	v_mul_u32_u24_e32 v56, 0x10001, v56
	v_mul_u32_u24_e32 v93, 0x10001, v93
	s_wait_dscnt 0x1
	v_pk_fma_f16 v73, v57, v53, v73
	v_pk_fma_f16 v74, v57, v70, v74
	;; [unrolled: 1-line block ×9, first 2 shown]
	s_wait_dscnt 0x0
	v_and_b32_e32 v53, 0xffff, v61
	v_pk_fma_f16 v68, v58, v54, v68
	v_pk_fma_f16 v66, v58, v55, v66
	v_pk_fma_f16 v69, v58, v56, v69
	v_lshrrev_b32_e32 v54, 16, v62
	v_lshrrev_b32_e32 v55, 16, v63
	v_and_b32_e32 v56, 0xffff, v62
	v_mul_u32_u24_e32 v62, 0x10001, v53
	v_and_b32_e32 v53, 0xffff, v63
	v_pk_fma_f16 v11, v58, v70, v11
	v_pk_fma_f16 v65, v58, v71, v65
	;; [unrolled: 1-line block ×4, first 2 shown]
	v_lshrrev_b32_e32 v9, 16, v61
	v_lshrrev_b32_e32 v61, 16, v64
	v_and_b32_e32 v63, 0xffff, v64
	v_mul_u32_u24_e32 v64, 0x10001, v56
	v_mul_u32_u24_e32 v70, 0x10001, v54
	v_mul_u32_u24_e32 v71, 0x10001, v53
	v_mul_u32_u24_e32 v72, 0x10001, v55
	ds_load_b128 v[53:56], v46 offset:992
	v_mul_u32_u24_e32 v9, 0x10001, v9
	v_mul_u32_u24_e32 v63, 0x10001, v63
	v_mul_u32_u24_e32 v61, 0x10001, v61
	v_pk_fma_f16 v73, v59, v62, v73
	v_pk_fma_f16 v76, v59, v64, v76
	;; [unrolled: 1-line block ×14, first 2 shown]
	ds_load_2addr_b64 v[8:11], v8 offset0:192 offset1:224
	v_pk_fma_f16 v63, v60, v63, v69
	v_pk_fma_f16 v61, v60, v61, v58
	ds_load_b128 v[57:60], v46 offset:1008
	s_wait_dscnt 0x2
	v_lshrrev_b32_e32 v68, 16, v53
	v_and_b32_e32 v53, 0xffff, v53
	v_lshrrev_b32_e32 v69, 16, v54
	v_lshrrev_b32_e32 v70, 16, v55
	;; [unrolled: 1-line block ×3, first 2 shown]
	v_and_b32_e32 v54, 0xffff, v54
	v_and_b32_e32 v55, 0xffff, v55
	;; [unrolled: 1-line block ×3, first 2 shown]
	s_wait_loadcnt_dscnt 0x0
	s_barrier_signal -1
	s_barrier_wait -1
	global_inv scope:SCOPE_SE
	s_load_b32 s11, s[20:21], 0x4
	v_mul_u32_u24_e32 v53, 0x10001, v53
	v_mul_u32_u24_e32 v68, 0x10001, v68
	;; [unrolled: 1-line block ×8, first 2 shown]
	v_pk_fma_f16 v72, v8, v53, v73
	v_pk_fma_f16 v73, v8, v68, v74
	;; [unrolled: 1-line block ×10, first 2 shown]
	v_lshrrev_b32_e32 v54, 16, v57
	v_and_b32_e32 v55, 0xffff, v57
	v_pk_fma_f16 v53, v9, v53, v62
	v_pk_fma_f16 v62, v9, v68, v94
	;; [unrolled: 1-line block ×6, first 2 shown]
	v_lshrrev_b32_e32 v57, 16, v58
	v_and_b32_e32 v58, 0xffff, v58
	v_lshrrev_b32_e32 v61, 16, v59
	v_lshrrev_b32_e32 v63, 16, v60
	v_mul_u32_u24_e32 v66, 0x10001, v55
	v_mul_u32_u24_e32 v71, 0x10001, v54
	v_and_b32_e32 v54, 0xffff, v59
	v_and_b32_e32 v55, 0xffff, v60
	v_mul_u32_u24_e32 v58, 0x10001, v58
	v_mul_u32_u24_e32 v94, 0x10001, v57
	;; [unrolled: 1-line block ×6, first 2 shown]
	s_wait_kmcnt 0x0
	s_lshl_b32 s11, s11, 6
	v_pk_fma_f16 v67, v10, v66, v72
	v_pk_fma_f16 v65, v10, v71, v73
	;; [unrolled: 1-line block ×16, first 2 shown]
	s_wait_alu 0xfffe
	s_add_co_i32 s10, s11, s10
	s_wait_alu 0xfffe
	s_cmp_ge_i32 s10, s30
	s_cbranch_scc1 .LBB80_75
; %bb.74:                               ;   in Loop: Header=BB80_9 Depth=1
	v_dual_mov_b32 v82, v0 :: v_dual_mov_b32 v75, v3
	v_dual_mov_b32 v84, v1 :: v_dual_mov_b32 v73, v4
	;; [unrolled: 1-line block ×7, first 2 shown]
	v_mov_b32_e32 v10, v90
	v_mov_b32_e32 v8, v91
	s_branch .LBB80_9
.LBB80_75:
	v_mov_b32_e32 v8, v22
.LBB80_76:
	v_cmp_lt_i32_e32 vcc_lo, v83, v21
	s_cmp_lg_u64 s[12:13], 0
	s_cselect_b32 s3, -1, 0
	s_cmp_eq_u32 s4, 0
	s_wait_alu 0xfffd
	v_cndmask_b32_e32 v9, v8, v83, vcc_lo
	v_cmp_lt_i32_e32 vcc_lo, v81, v21
	s_cselect_b32 s5, -1, 0
	s_wait_alu 0xfffe
	s_and_b32 s3, s5, s3
	v_lshlrev_b32_e32 v9, 2, v9
	ds_bpermute_b32 v12, v9, v87
	s_wait_dscnt 0x0
	v_add_f32_e32 v12, v87, v12
	ds_bpermute_b32 v10, v9, v85
	ds_bpermute_b32 v14, v9, v89
	;; [unrolled: 1-line block ×5, first 2 shown]
	s_wait_alu 0xfffd
	v_cndmask_b32_e32 v17, v8, v81, vcc_lo
	ds_bpermute_b32 v15, v9, v90
	ds_bpermute_b32 v9, v9, v91
	v_cmp_lt_i32_e32 vcc_lo, v80, v21
	s_wait_alu 0xfffd
	v_cndmask_b32_e32 v42, v8, v80, vcc_lo
	v_cmp_lt_i32_e32 vcc_lo, v79, v21
	s_delay_alu instid0(VALU_DEP_2)
	v_lshlrev_b32_e32 v42, 2, v42
	s_wait_dscnt 0x6
	v_add_f32_e32 v10, v85, v10
	s_wait_dscnt 0x5
	v_dual_add_f32 v14, v89, v14 :: v_dual_lshlrev_b32 v17, 2, v17
	s_wait_dscnt 0x3
	v_dual_add_f32 v16, v92, v16 :: v_dual_add_f32 v11, v86, v11
	s_wait_dscnt 0x2
	v_add_f32_e32 v13, v88, v13
	ds_bpermute_b32 v18, v17, v10
	ds_bpermute_b32 v20, v17, v12
	s_wait_dscnt 0x3
	v_add_f32_e32 v15, v90, v15
	s_wait_dscnt 0x2
	v_add_f32_e32 v9, v91, v9
	ds_bpermute_b32 v19, v17, v11
	ds_bpermute_b32 v22, v17, v13
	ds_bpermute_b32 v23, v17, v14
	ds_bpermute_b32 v41, v17, v16
	s_wait_dscnt 0x5
	v_add_f32_e32 v10, v10, v18
	s_wait_dscnt 0x4
	v_add_f32_e32 v12, v12, v20
	ds_bpermute_b32 v40, v17, v15
	ds_bpermute_b32 v17, v17, v9
	s_wait_dscnt 0x5
	v_add_f32_e32 v11, v11, v19
	s_wait_dscnt 0x3
	v_dual_add_f32 v13, v13, v22 :: v_dual_add_f32 v14, v14, v23
	s_wait_dscnt 0x2
	v_add_f32_e32 v16, v16, v41
	ds_bpermute_b32 v19, v42, v12
	ds_bpermute_b32 v18, v42, v11
	;; [unrolled: 1-line block ×4, first 2 shown]
	s_wait_dscnt 0x5
	v_add_f32_e32 v15, v15, v40
	s_wait_dscnt 0x4
	v_add_f32_e32 v9, v9, v17
	ds_bpermute_b32 v17, v42, v10
	ds_bpermute_b32 v40, v42, v16
	;; [unrolled: 1-line block ×4, first 2 shown]
	s_wait_alu 0xfffd
	v_cndmask_b32_e32 v42, v8, v79, vcc_lo
	s_wait_dscnt 0x5
	v_dual_add_f32 v12, v12, v19 :: v_dual_add_f32 v13, v13, v20
	s_wait_dscnt 0x4
	v_add_f32_e32 v14, v14, v22
	v_cmp_lt_i32_e32 vcc_lo, v77, v21
	v_lshlrev_b32_e32 v42, 2, v42
	v_add_f32_e32 v11, v11, v18
	ds_bpermute_b32 v20, v42, v13
	ds_bpermute_b32 v19, v42, v12
	;; [unrolled: 1-line block ×3, first 2 shown]
	s_wait_alu 0xfffd
	v_cndmask_b32_e32 v8, v8, v77, vcc_lo
	s_wait_alu 0xfffe
	s_and_b32 vcc_lo, exec_lo, s3
	s_wait_dscnt 0x6
	v_add_f32_e32 v10, v10, v17
	s_wait_dscnt 0x4
	v_dual_add_f32 v16, v16, v40 :: v_dual_add_f32 v15, v15, v23
	s_wait_dscnt 0x3
	v_add_f32_e32 v9, v9, v41
	ds_bpermute_b32 v17, v42, v10
	ds_bpermute_b32 v22, v42, v14
	;; [unrolled: 1-line block ×5, first 2 shown]
	s_wait_dscnt 0x6
	v_dual_add_f32 v13, v13, v20 :: v_dual_add_f32 v12, v12, v19
	s_wait_dscnt 0x5
	v_dual_add_f32 v11, v11, v18 :: v_dual_lshlrev_b32 v8, 2, v8
	s_wait_dscnt 0x1
	v_dual_add_f32 v10, v10, v17 :: v_dual_add_f32 v15, v15, v23
	s_wait_dscnt 0x0
	v_add_f32_e32 v17, v9, v41
	ds_bpermute_b32 v18, v8, v11
	v_add_f32_e32 v16, v16, v40
	ds_bpermute_b32 v20, v8, v13
	;; [unrolled: 2-line block ×3, first 2 shown]
	ds_bpermute_b32 v19, v8, v12
	ds_bpermute_b32 v22, v8, v15
	;; [unrolled: 1-line block ×5, first 2 shown]
	s_wait_dscnt 0x5
	v_dual_add_f32 v8, v10, v9 :: v_dual_add_f32 v9, v11, v18
	s_wait_dscnt 0x4
	v_dual_add_f32 v10, v12, v19 :: v_dual_add_f32 v11, v13, v20
	;; [unrolled: 2-line block ×4, first 2 shown]
	s_wait_alu 0xfffe
	s_cbranch_vccz .LBB80_79
; %bb.77:
	s_ashr_i32 s3, s2, 31
	v_dual_mov_b32 v16, 0 :: v_dual_max_num_f32 v17, v1, v1
	s_wait_alu 0xfffe
	s_lshl_b64 s[6:7], s[2:3], 2
	v_dual_max_num_f32 v20, v4, v4 :: v_dual_max_num_f32 v21, v5, v5
	s_add_nc_u64 s[6:7], s[12:13], s[6:7]
	v_max_num_f32_e32 v19, v3, v3
	global_load_b64 v[40:41], v16, s[6:7]
	v_max_num_f32_e32 v16, v0, v0
	v_dual_max_num_f32 v18, v2, v2 :: v_dual_max_num_f32 v43, v7, v7
	s_wait_loadcnt 0x0
	v_dual_max_num_f32 v22, v40, v40 :: v_dual_max_num_f32 v23, v41, v41
	v_max_num_f32_e32 v42, v6, v6
	s_delay_alu instid0(VALU_DEP_2) | instskip(SKIP_2) | instid1(VALU_DEP_4)
	v_dual_max_num_f32 v16, v16, v22 :: v_dual_max_num_f32 v19, v19, v23
	v_dual_max_num_f32 v17, v17, v23 :: v_dual_max_num_f32 v18, v18, v22
	;; [unrolled: 1-line block ×4, first 2 shown]
	s_delay_alu instid0(VALU_DEP_4) | instskip(NEXT) | instid1(VALU_DEP_4)
	v_sub_f32_e32 v43, v40, v16
	v_dual_sub_f32 v42, v0, v16 :: v_dual_sub_f32 v45, v41, v17
	v_dual_sub_f32 v44, v1, v17 :: v_dual_sub_f32 v47, v40, v18
	;; [unrolled: 1-line block ×7, first 2 shown]
	v_dual_mov_b32 v0, v16 :: v_dual_mov_b32 v3, v19
	v_dual_sub_f32 v40, v40, v22 :: v_dual_mov_b32 v1, v17
	v_dual_mov_b32 v2, v18 :: v_dual_mov_b32 v5, v21
	v_dual_mov_b32 v4, v20 :: v_dual_mov_b32 v7, v23
	v_dual_mov_b32 v6, v22 :: v_dual_mul_f32 v17, 0x3fb8aa3b, v43
	v_dual_mul_f32 v16, 0x3fb8aa3b, v42 :: v_dual_mul_f32 v19, 0x3fb8aa3b, v45
	v_dual_mul_f32 v22, 0x3fb8aa3b, v48 :: v_dual_mul_f32 v73, 0x3fb8aa3b, v51
	;; [unrolled: 1-line block ×3, first 2 shown]
	s_delay_alu instid0(VALU_DEP_3)
	v_fma_f32 v80, 0x3fb8aa3b, v42, -v16
	v_rndne_f32_e32 v81, v16
	v_fma_f32 v82, 0x3fb8aa3b, v43, -v17
	v_rndne_f32_e32 v83, v17
	;; [unrolled: 2-line block ×3, first 2 shown]
	v_rndne_f32_e32 v99, v73
	s_delay_alu instid0(VALU_DEP_4) | instskip(NEXT) | instid1(VALU_DEP_3)
	v_dual_fmac_f32 v80, 0x32a5705f, v42 :: v_dual_sub_f32 v17, v17, v83
	v_dual_sub_f32 v16, v16, v81 :: v_dual_sub_f32 v19, v19, v87
	v_dual_mul_f32 v20, 0x3fb8aa3b, v46 :: v_dual_mul_f32 v23, 0x3fb8aa3b, v49
	v_fma_f32 v84, 0x3fb8aa3b, v44, -v18
	v_rndne_f32_e32 v85, v18
	v_fma_f32 v98, 0x3fb8aa3b, v51, -v73
	v_dual_fmac_f32 v86, 0x32a5705f, v45 :: v_dual_sub_f32 v73, v73, v99
	v_fmac_f32_e32 v82, 0x32a5705f, v43
	v_add_f32_e32 v16, v16, v80
	v_dual_mul_f32 v76, 0x3fb8aa3b, v70 :: v_dual_mul_f32 v77, 0x3fb8aa3b, v40
	v_rndne_f32_e32 v91, v21
	v_rndne_f32_e32 v95, v23
	v_fmac_f32_e32 v84, 0x32a5705f, v44
	v_dual_sub_f32 v18, v18, v85 :: v_dual_add_f32 v19, v19, v86
	v_dual_mul_f32 v78, 0x3fb8aa3b, v71 :: v_dual_add_f32 v17, v17, v82
	v_exp_f32_e32 v16, v16
	v_dual_mul_f32 v72, 0x3fb8aa3b, v50 :: v_dual_mul_f32 v75, 0x3fb8aa3b, v69
	v_fma_f32 v88, 0x3fb8aa3b, v46, -v20
	v_rndne_f32_e32 v89, v20
	v_fma_f32 v90, 0x3fb8aa3b, v47, -v21
	v_fma_f32 v94, 0x3fb8aa3b, v49, -v23
	;; [unrolled: 1-line block ×3, first 2 shown]
	v_rndne_f32_e32 v107, v77
	v_cvt_i32_f32_e32 v81, v81
	v_sub_f32_e32 v21, v21, v91
	v_dual_sub_f32 v23, v23, v95 :: v_dual_add_f32 v18, v18, v84
	v_exp_f32_e32 v17, v17
	v_rndne_f32_e32 v103, v75
	v_cvt_i32_f32_e32 v83, v83
	v_fmac_f32_e32 v88, 0x32a5705f, v46
	v_dual_sub_f32 v20, v20, v89 :: v_dual_sub_f32 v77, v77, v107
	v_fmac_f32_e32 v106, 0x32a5705f, v40
	v_fmac_f32_e32 v98, 0x32a5705f, v51
	v_exp_f32_e32 v18, v18
	v_ldexp_f32 v16, v16, v81
	v_cmp_ngt_f32_e32 vcc_lo, 0xc2ce8ed0, v42
	v_dual_mul_f32 v74, 0x3fb8aa3b, v52 :: v_dual_mul_f32 v79, 0x3fb8aa3b, v41
	v_fma_f32 v92, 0x3fb8aa3b, v48, -v22
	v_rndne_f32_e32 v93, v22
	v_fma_f32 v96, 0x3fb8aa3b, v50, -v72
	v_fma_f32 v102, 0x3fb8aa3b, v69, -v75
	v_cvt_i32_f32_e32 v85, v85
	v_dual_sub_f32 v75, v75, v103 :: v_dual_add_f32 v20, v20, v88
	v_dual_add_f32 v77, v77, v106 :: v_dual_fmac_f32 v94, 0x32a5705f, v49
	v_dual_add_f32 v73, v73, v98 :: v_dual_fmac_f32 v90, 0x32a5705f, v47
	v_exp_f32_e32 v19, v19
	v_ldexp_f32 v17, v17, v83
	s_wait_alu 0xfffd
	v_cndmask_b32_e32 v16, 0, v16, vcc_lo
	v_cmp_ngt_f32_e32 vcc_lo, 0xc2ce8ed0, v43
	v_rndne_f32_e32 v111, v79
	v_cvt_i32_f32_e32 v87, v87
	v_fmac_f32_e32 v92, 0x32a5705f, v48
	s_wait_alu 0xfffd
	v_dual_fmac_f32 v96, 0x32a5705f, v50 :: v_dual_cndmask_b32 v17, 0, v17
	v_dual_add_f32 v23, v23, v94 :: v_dual_sub_f32 v22, v22, v93
	v_add_f32_e32 v21, v21, v90
	v_exp_f32_e32 v20, v20
	v_ldexp_f32 v18, v18, v85
	v_cmp_ngt_f32_e32 vcc_lo, 0xc2ce8ed0, v44
	v_rndne_f32_e32 v101, v74
	v_fma_f32 v110, 0x3fb8aa3b, v41, -v79
	v_cvt_i32_f32_e32 v89, v89
	v_dual_sub_f32 v79, v79, v111 :: v_dual_add_f32 v22, v22, v92
	v_exp_f32_e32 v21, v21
	v_ldexp_f32 v19, v19, v87
	s_wait_alu 0xfffd
	v_cndmask_b32_e32 v18, 0, v18, vcc_lo
	v_cmp_ngt_f32_e32 vcc_lo, 0xc2ce8ed0, v45
	v_fma_f32 v100, 0x3fb8aa3b, v52, -v74
	v_cvt_i32_f32_e32 v91, v91
	v_sub_f32_e32 v74, v74, v101
	v_exp_f32_e32 v22, v22
	v_ldexp_f32 v20, v20, v89
	s_wait_alu 0xfffd
	v_cndmask_b32_e32 v19, 0, v19, vcc_lo
	v_cmp_ngt_f32_e32 vcc_lo, 0xc2ce8ed0, v46
	v_fma_f32 v104, 0x3fb8aa3b, v70, -v76
	v_cvt_i32_f32_e32 v93, v93
	v_exp_f32_e32 v23, v23
	v_ldexp_f32 v21, v21, v91
	s_wait_alu 0xfffd
	v_cndmask_b32_e32 v20, 0, v20, vcc_lo
	v_cmp_ngt_f32_e32 vcc_lo, 0xc2ce8ed0, v47
	v_cvt_i32_f32_e32 v95, v95
	v_fmac_f32_e32 v104, 0x32a5705f, v70
	v_ldexp_f32 v22, v22, v93
	v_rndne_f32_e32 v97, v72
	s_wait_alu 0xfffd
	v_cndmask_b32_e32 v21, 0, v21, vcc_lo
	v_cmp_ngt_f32_e32 vcc_lo, 0xc2ce8ed0, v48
	v_ldexp_f32 v23, v23, v95
	v_fmac_f32_e32 v110, 0x32a5705f, v41
	v_fmac_f32_e32 v100, 0x32a5705f, v52
	v_exp_f32_e32 v73, v73
	s_wait_alu 0xfffd
	v_cndmask_b32_e32 v22, 0, v22, vcc_lo
	v_cmp_ngt_f32_e32 vcc_lo, 0xc2ce8ed0, v49
	v_dual_fmac_f32 v102, 0x32a5705f, v69 :: v_dual_add_f32 v79, v79, v110
	v_add_f32_e32 v74, v74, v100
	v_cvt_i32_f32_e32 v99, v99
	s_wait_alu 0xfffd
	v_dual_cndmask_b32 v23, 0, v23 :: v_dual_sub_f32 v72, v72, v97
	v_add_f32_e32 v75, v75, v102
	v_cvt_i32_f32_e32 v97, v97
	v_exp_f32_e32 v74, v74
	v_cmp_ngt_f32_e32 vcc_lo, 0xc2ce8ed0, v50
	v_add_f32_e32 v72, v72, v96
	v_cvt_i32_f32_e32 v101, v101
	v_exp_f32_e32 v75, v75
	v_ldexp_f32 v73, v73, v99
	v_rndne_f32_e32 v105, v76
	v_exp_f32_e32 v72, v72
	v_cvt_i32_f32_e32 v103, v103
	v_exp_f32_e32 v77, v77
	v_ldexp_f32 v74, v74, v101
	v_exp_f32_e32 v79, v79
	v_fma_f32 v108, 0x3fb8aa3b, v71, -v78
	v_rndne_f32_e32 v109, v78
	v_ldexp_f32 v75, v75, v103
	v_cvt_i32_f32_e32 v107, v107
	v_cvt_i32_f32_e32 v111, v111
	v_ldexp_f32 v72, v72, v97
	s_delay_alu instid0(TRANS32_DEP_2) | instid1(VALU_DEP_3)
	v_ldexp_f32 v77, v77, v107
	s_delay_alu instid0(TRANS32_DEP_1) | instid1(VALU_DEP_3)
	v_ldexp_f32 v79, v79, v111
	s_wait_alu 0xfffd
	s_delay_alu instid0(VALU_DEP_3)
	v_cndmask_b32_e32 v72, 0, v72, vcc_lo
	v_cmp_ngt_f32_e32 vcc_lo, 0xc2ce8ed0, v51
	v_sub_f32_e32 v78, v78, v109
	v_cvt_i32_f32_e32 v109, v109
	s_wait_alu 0xfffd
	v_cndmask_b32_e32 v73, 0, v73, vcc_lo
	v_cmp_ngt_f32_e32 vcc_lo, 0xc2ce8ed0, v52
	s_wait_alu 0xfffd
	v_cndmask_b32_e32 v74, 0, v74, vcc_lo
	v_cmp_ngt_f32_e32 vcc_lo, 0xc2ce8ed0, v69
	v_sub_f32_e32 v76, v76, v105
	v_cvt_i32_f32_e32 v105, v105
	s_wait_alu 0xfffd
	s_delay_alu instid0(VALU_DEP_2) | instskip(SKIP_1) | instid1(VALU_DEP_2)
	v_dual_cndmask_b32 v75, 0, v75 :: v_dual_add_f32 v76, v76, v104
	v_cmp_ngt_f32_e32 vcc_lo, 0xc2ce8ed0, v70
	v_exp_f32_e32 v76, v76
	s_delay_alu instid0(TRANS32_DEP_1) | instskip(SKIP_1) | instid1(VALU_DEP_1)
	v_ldexp_f32 v76, v76, v105
	s_wait_alu 0xfffd
	v_cndmask_b32_e32 v76, 0, v76, vcc_lo
	v_cmp_ngt_f32_e32 vcc_lo, 0xc2ce8ed0, v40
	s_wait_alu 0xfffd
	v_dual_fmac_f32 v108, 0x32a5705f, v71 :: v_dual_cndmask_b32 v77, 0, v77
	s_delay_alu instid0(VALU_DEP_1) | instskip(SKIP_1) | instid1(VALU_DEP_2)
	v_add_f32_e32 v78, v78, v108
	v_cmp_ngt_f32_e32 vcc_lo, 0xc2ce8ed0, v71
	v_exp_f32_e32 v78, v78
	s_delay_alu instid0(TRANS32_DEP_1) | instskip(SKIP_1) | instid1(VALU_DEP_1)
	v_ldexp_f32 v78, v78, v109
	s_wait_alu 0xfffd
	v_cndmask_b32_e32 v78, 0, v78, vcc_lo
	v_cmp_ngt_f32_e32 vcc_lo, 0xc2ce8ed0, v41
	s_wait_alu 0xfffd
	v_cndmask_b32_e32 v79, 0, v79, vcc_lo
	v_cmp_nlt_f32_e32 vcc_lo, 0x42b17218, v42
	s_wait_alu 0xfffd
	v_cndmask_b32_e32 v42, 0x7f800000, v16, vcc_lo
	v_cmp_nlt_f32_e32 vcc_lo, 0x42b17218, v43
	;; [unrolled: 3-line block ×5, first 2 shown]
	s_wait_alu 0xfffd
	s_delay_alu instid0(VALU_DEP_2)
	v_dual_fmac_f32 v17, v9, v43 :: v_dual_cndmask_b32 v44, 0x7f800000, v20
	v_cmp_nlt_f32_e32 vcc_lo, 0x42b17218, v47
	v_cvt_f16_f32_e32 v9, v43
	s_wait_alu 0xfffd
	v_cndmask_b32_e32 v18, 0x7f800000, v21, vcc_lo
	v_cmp_nlt_f32_e32 vcc_lo, 0x42b17218, v48
	s_wait_alu 0xfffd
	s_delay_alu instid0(VALU_DEP_2)
	v_dual_fmac_f32 v18, v10, v44 :: v_dual_cndmask_b32 v45, 0x7f800000, v22
	v_cmp_nlt_f32_e32 vcc_lo, 0x42b17218, v49
	v_cvt_f16_f32_e32 v10, v44
	s_wait_alu 0xfffd
	v_cndmask_b32_e32 v19, 0x7f800000, v23, vcc_lo
	v_cmp_nlt_f32_e32 vcc_lo, 0x42b17218, v50
	;; [unrolled: 8-line block ×3, first 2 shown]
	s_delay_alu instid0(VALU_DEP_3) | instskip(NEXT) | instid1(VALU_DEP_3)
	v_and_b32_e32 v43, 0xffff, v11
	v_dual_mov_b32 v11, v19 :: v_dual_fmac_f32 v20, v12, v46
	s_wait_alu 0xfffd
	v_cndmask_b32_e32 v47, 0x7f800000, v74, vcc_lo
	v_cmp_nlt_f32_e32 vcc_lo, 0x42b17218, v69
	v_cvt_f16_f32_e32 v12, v46
	v_mul_u32_u24_e32 v43, 0x10001, v43
	s_wait_alu 0xfffd
	v_cndmask_b32_e32 v21, 0x7f800000, v75, vcc_lo
	v_cmp_nlt_f32_e32 vcc_lo, 0x42b17218, v70
	v_and_b32_e32 v44, 0xffff, v12
	v_mov_b32_e32 v12, v20
	v_pk_mul_f16 v61, v61, v43
	s_wait_alu 0xfffd
	v_dual_fmac_f32 v21, v13, v47 :: v_dual_cndmask_b32 v48, 0x7f800000, v76
	v_cmp_nlt_f32_e32 vcc_lo, 0x42b17218, v40
	v_cvt_f16_f32_e32 v13, v47
	v_mul_u32_u24_e32 v44, 0x10001, v44
	v_pk_mul_f16 v62, v62, v43
	s_wait_alu 0xfffd
	v_cndmask_b32_e32 v22, 0x7f800000, v77, vcc_lo
	v_cmp_nlt_f32_e32 vcc_lo, 0x42b17218, v71
	v_and_b32_e32 v45, 0xffff, v13
	v_mov_b32_e32 v13, v21
	v_pk_mul_f16 v59, v59, v44
	v_fmac_f32_e32 v22, v14, v48
	s_wait_alu 0xfffd
	v_cndmask_b32_e32 v40, 0x7f800000, v78, vcc_lo
	v_cmp_nlt_f32_e32 vcc_lo, 0x42b17218, v41
	v_cvt_f16_f32_e32 v14, v48
	v_and_b32_e32 v41, 0xffff, v9
	v_mul_u32_u24_e32 v45, 0x10001, v45
	v_mov_b32_e32 v9, v17
	s_wait_alu 0xfffd
	v_cndmask_b32_e32 v23, 0x7f800000, v79, vcc_lo
	v_and_b32_e32 v46, 0xffff, v14
	v_mul_u32_u24_e32 v41, 0x10001, v41
	v_mov_b32_e32 v14, v22
	v_pk_mul_f16 v60, v60, v44
	v_fmac_f32_e32 v23, v15, v40
	v_cvt_f16_f32_e32 v15, v40
	v_mul_u32_u24_e32 v46, 0x10001, v46
	v_pk_mul_f16 v65, v65, v41
	v_pk_mul_f16 v66, v66, v41
	;; [unrolled: 1-line block ×3, first 2 shown]
	v_and_b32_e32 v15, 0xffff, v15
	v_pk_mul_f16 v58, v58, v45
	v_pk_mul_f16 v55, v55, v46
	;; [unrolled: 1-line block ×3, first 2 shown]
	s_delay_alu instid0(VALU_DEP_4) | instskip(NEXT) | instid1(VALU_DEP_1)
	v_mul_u32_u24_e32 v15, 0x10001, v15
	v_pk_mul_f16 v54, v54, v15
	v_pk_mul_f16 v53, v53, v15
	v_dual_mov_b32 v15, v23 :: v_dual_fmac_f32 v16, v8, v42
	v_cvt_f16_f32_e32 v8, v42
	v_and_b32_e32 v42, 0xffff, v10
	v_mov_b32_e32 v10, v18
	s_delay_alu instid0(VALU_DEP_3) | instskip(NEXT) | instid1(VALU_DEP_3)
	v_and_b32_e32 v40, 0xffff, v8
	v_mul_u32_u24_e32 v42, 0x10001, v42
	v_mov_b32_e32 v8, v16
	s_delay_alu instid0(VALU_DEP_3) | instskip(NEXT) | instid1(VALU_DEP_3)
	v_mul_u32_u24_e32 v40, 0x10001, v40
	v_pk_mul_f16 v64, v64, v42
	v_pk_mul_f16 v63, v63, v42
	s_delay_alu instid0(VALU_DEP_3)
	v_pk_mul_f16 v67, v67, v40
	v_pk_mul_f16 v68, v68, v40
	s_mov_b32 s3, exec_lo
	v_cmpx_gt_i32_e64 s22, v25
	s_cbranch_execnz .LBB80_80
.LBB80_78:
	s_nop 0
	s_sendmsg sendmsg(MSG_DEALLOC_VGPRS)
	s_endpgm
.LBB80_79:
	s_delay_alu instid0(VALU_DEP_1)
	v_dual_mov_b32 v23, v15 :: v_dual_mov_b32 v22, v14
	v_dual_mov_b32 v21, v13 :: v_dual_mov_b32 v20, v12
	;; [unrolled: 1-line block ×4, first 2 shown]
	s_mov_b32 s3, exec_lo
	v_cmpx_gt_i32_e64 s22, v25
	s_cbranch_execz .LBB80_78
.LBB80_80:
	s_load_b32 s1, s[0:1], 0xd4
	v_mov_b32_e32 v40, 1.0
	s_wait_kmcnt 0x0
	s_cmp_lg_u32 s1, 1
	s_cselect_b32 s5, -1, 0
	s_cmp_eq_u32 s1, 1
	s_cselect_b32 s6, -1, 0
	s_wait_alu 0xfffe
	s_and_b32 vcc_lo, exec_lo, s5
	s_wait_alu 0xfffe
	s_cbranch_vccnz .LBB80_82
; %bb.81:
	v_div_scale_f32 v25, null, v8, v8, 1.0
	s_delay_alu instid0(VALU_DEP_1) | instskip(NEXT) | instid1(TRANS32_DEP_1)
	v_rcp_f32_e32 v40, v25
	v_fma_f32 v41, -v25, v40, 1.0
	s_delay_alu instid0(VALU_DEP_1) | instskip(SKIP_1) | instid1(VALU_DEP_1)
	v_fmac_f32_e32 v40, v41, v40
	v_div_scale_f32 v41, vcc_lo, 1.0, v8, 1.0
	v_mul_f32_e32 v42, v41, v40
	s_delay_alu instid0(VALU_DEP_1) | instskip(NEXT) | instid1(VALU_DEP_1)
	v_fma_f32 v43, -v25, v42, v41
	v_fmac_f32_e32 v42, v43, v40
	s_delay_alu instid0(VALU_DEP_1) | instskip(SKIP_1) | instid1(VALU_DEP_1)
	v_fma_f32 v25, -v25, v42, v41
	s_wait_alu 0xfffd
	v_div_fmas_f32 v25, v25, v40, v42
	s_delay_alu instid0(VALU_DEP_1)
	v_div_fixup_f32 v40, v25, v8, 1.0
.LBB80_82:
	s_mul_i32 s3, s28, s22
	v_cvt_f32_f16_e32 v43, v67
	s_wait_alu 0xfffe
	s_add_co_i32 s3, s3, s31
	v_cvt_f32_f16_e32 v44, v68
	s_wait_alu 0xfffe
	v_add_nc_u32_e32 v8, s3, v24
	v_mov_b32_e32 v42, 0
	v_cmp_eq_u32_e32 vcc_lo, 0, v39
	v_lshrrev_b32_e32 v39, 16, v68
	s_delay_alu instid0(VALU_DEP_4) | instskip(NEXT) | instid1(VALU_DEP_2)
	v_mul_lo_u32 v8, v8, s23
	v_cvt_f32_f16_e32 v39, v39
	s_delay_alu instid0(VALU_DEP_2) | instskip(NEXT) | instid1(VALU_DEP_1)
	v_add_nc_u32_e32 v24, s2, v8
	v_mad_co_u64_u32 v[24:25], null, s1, v24, s[4:5]
	v_lshrrev_b32_e32 v25, 16, v67
	s_and_b32 s5, vcc_lo, s5
	s_delay_alu instid0(VALU_DEP_1) | instskip(NEXT) | instid1(VALU_DEP_3)
	v_cvt_f32_f16_e32 v25, v25
	v_lshl_add_u32 v41, v24, 7, v36
	s_delay_alu instid0(VALU_DEP_1)
	v_lshlrev_b64_e32 v[45:46], 2, v[41:42]
	v_mul_f32_e32 v41, v40, v43
	v_mul_f32_e32 v43, v40, v44
	;; [unrolled: 1-line block ×4, first 2 shown]
	v_add_co_u32 v39, s0, s16, v45
	s_wait_alu 0xf1ff
	v_add_co_ci_u32_e64 v40, null, s17, v46, s0
	global_store_b128 v[39:40], v[41:44], off
	s_wait_alu 0xfffe
	s_and_saveexec_b32 s0, s5
	s_cbranch_execz .LBB80_84
; %bb.83:
	v_ashrrev_i32_e32 v25, 31, v24
	v_dual_mov_b32 v39, v0 :: v_dual_mov_b32 v40, v16
	s_delay_alu instid0(VALU_DEP_2) | instskip(NEXT) | instid1(VALU_DEP_1)
	v_lshlrev_b64_e32 v[24:25], 3, v[24:25]
	v_add_co_u32 v24, vcc_lo, s18, v24
	s_wait_alu 0xfffd
	s_delay_alu instid0(VALU_DEP_2)
	v_add_co_ci_u32_e64 v25, null, s19, v25, vcc_lo
	global_store_b64 v[24:25], v[39:40], off
.LBB80_84:
	s_wait_alu 0xfffe
	s_or_b32 exec_lo, exec_lo, s0
	v_cndmask_b32_e64 v24, 0, 1, s6
	v_mov_b32_e32 v0, 1.0
	s_and_not1_b32 vcc_lo, exec_lo, s6
	s_wait_alu 0xfffe
	s_cbranch_vccnz .LBB80_86
; %bb.85:
	v_div_scale_f32 v0, null, v9, v9, 1.0
	s_delay_alu instid0(VALU_DEP_1) | instskip(NEXT) | instid1(TRANS32_DEP_1)
	v_rcp_f32_e32 v16, v0
	v_fma_f32 v25, -v0, v16, 1.0
	s_delay_alu instid0(VALU_DEP_1) | instskip(SKIP_1) | instid1(VALU_DEP_1)
	v_fmac_f32_e32 v16, v25, v16
	v_div_scale_f32 v25, vcc_lo, 1.0, v9, 1.0
	v_mul_f32_e32 v39, v25, v16
	s_delay_alu instid0(VALU_DEP_1) | instskip(NEXT) | instid1(VALU_DEP_1)
	v_fma_f32 v40, -v0, v39, v25
	v_fmac_f32_e32 v39, v40, v16
	s_delay_alu instid0(VALU_DEP_1) | instskip(SKIP_1) | instid1(VALU_DEP_1)
	v_fma_f32 v0, -v0, v39, v25
	s_wait_alu 0xfffd
	v_div_fmas_f32 v0, v0, v16, v39
	s_delay_alu instid0(VALU_DEP_1)
	v_div_fixup_f32 v0, v0, v9, 1.0
.LBB80_86:
	s_add_co_i32 s0, s2, 1
	v_cvt_f32_f16_e32 v25, v65
	s_wait_alu 0xfffe
	v_add_nc_u32_e32 v8, s0, v8
	v_cvt_f32_f16_e32 v41, v66
	v_mov_b32_e32 v40, 0
	v_lshrrev_b32_e32 v16, 16, v66
	s_delay_alu instid0(VALU_DEP_4) | instskip(SKIP_2) | instid1(VALU_DEP_4)
	v_mad_co_u64_u32 v[8:9], null, s1, v8, s[4:5]
	v_lshrrev_b32_e32 v9, 16, v65
	v_mul_f32_e32 v41, v0, v41
	v_cvt_f32_f16_e32 v16, v16
	s_delay_alu instid0(VALU_DEP_3) | instskip(SKIP_1) | instid1(VALU_DEP_3)
	v_cvt_f32_f16_e32 v9, v9
	v_lshl_add_u32 v39, v8, 7, v36
	v_mul_f32_e32 v42, v0, v16
	s_delay_alu instid0(VALU_DEP_2) | instskip(SKIP_2) | instid1(VALU_DEP_3)
	v_lshlrev_b64_e32 v[43:44], 2, v[39:40]
	v_mul_f32_e32 v39, v0, v25
	v_mul_f32_e32 v40, v0, v9
	v_add_co_u32 v43, vcc_lo, s16, v43
	s_wait_alu 0xfffd
	s_delay_alu instid0(VALU_DEP_4)
	v_add_co_ci_u32_e64 v44, null, s17, v44, vcc_lo
	global_store_b128 v[43:44], v[39:42], off
	s_and_saveexec_b32 s6, s5
	s_cbranch_execz .LBB80_88
; %bb.87:
	v_ashrrev_i32_e32 v9, 31, v8
	v_mov_b32_e32 v16, v1
	s_delay_alu instid0(VALU_DEP_2) | instskip(NEXT) | instid1(VALU_DEP_1)
	v_lshlrev_b64_e32 v[8:9], 3, v[8:9]
	v_add_co_u32 v8, vcc_lo, s18, v8
	s_wait_alu 0xfffd
	s_delay_alu instid0(VALU_DEP_2)
	v_add_co_ci_u32_e64 v9, null, s19, v9, vcc_lo
	global_store_b64 v[8:9], v[16:17], off
.LBB80_88:
	s_wait_alu 0xfffe
	s_or_b32 exec_lo, exec_lo, s6
	v_cmp_gt_i32_e32 vcc_lo, s22, v35
	s_and_b32 exec_lo, exec_lo, vcc_lo
	s_cbranch_execz .LBB80_78
; %bb.89:
	v_cmp_ne_u32_e32 vcc_lo, 1, v24
	v_mov_b32_e32 v8, 1.0
	s_cbranch_vccnz .LBB80_91
; %bb.90:
	v_div_scale_f32 v0, null, v10, v10, 1.0
	s_delay_alu instid0(VALU_DEP_1) | instskip(NEXT) | instid1(TRANS32_DEP_1)
	v_rcp_f32_e32 v1, v0
	v_fma_f32 v8, -v0, v1, 1.0
	s_delay_alu instid0(VALU_DEP_1) | instskip(SKIP_1) | instid1(VALU_DEP_1)
	v_fmac_f32_e32 v1, v8, v1
	v_div_scale_f32 v8, vcc_lo, 1.0, v10, 1.0
	v_mul_f32_e32 v9, v8, v1
	s_delay_alu instid0(VALU_DEP_1) | instskip(NEXT) | instid1(VALU_DEP_1)
	v_fma_f32 v16, -v0, v9, v8
	v_fmac_f32_e32 v9, v16, v1
	s_delay_alu instid0(VALU_DEP_1) | instskip(SKIP_1) | instid1(VALU_DEP_1)
	v_fma_f32 v0, -v0, v9, v8
	s_wait_alu 0xfffd
	v_div_fmas_f32 v0, v0, v1, v9
	s_delay_alu instid0(VALU_DEP_1)
	v_div_fixup_f32 v8, v0, v10, 1.0
.LBB80_91:
	v_add_nc_u32_e32 v0, s3, v33
	v_cvt_f32_f16_e32 v17, v64
	v_mov_b32_e32 v10, 0
	v_lshrrev_b32_e32 v16, 16, v63
	v_cvt_f32_f16_e32 v25, v63
	v_mad_co_u64_u32 v[0:1], null, v0, s23, s[2:3]
	v_mul_f32_e32 v39, v8, v17
	s_delay_alu instid0(VALU_DEP_4) | instskip(NEXT) | instid1(VALU_DEP_4)
	v_cvt_f32_f16_e32 v16, v16
	v_mul_f32_e32 v41, v8, v25
	s_delay_alu instid0(VALU_DEP_2) | instskip(SKIP_2) | instid1(VALU_DEP_1)
	v_mul_f32_e32 v42, v8, v16
	v_mad_co_u64_u32 v[0:1], null, s1, v0, s[4:5]
	v_lshrrev_b32_e32 v1, 16, v64
	v_cvt_f32_f16_e32 v1, v1
	s_delay_alu instid0(VALU_DEP_3) | instskip(NEXT) | instid1(VALU_DEP_2)
	v_lshl_add_u32 v9, v0, 7, v36
	v_mul_f32_e32 v40, v8, v1
	s_delay_alu instid0(VALU_DEP_2) | instskip(NEXT) | instid1(VALU_DEP_1)
	v_lshlrev_b64_e32 v[9:10], 2, v[9:10]
	v_add_co_u32 v8, vcc_lo, s16, v9
	s_wait_alu 0xfffd
	s_delay_alu instid0(VALU_DEP_2)
	v_add_co_ci_u32_e64 v9, null, s17, v10, vcc_lo
	global_store_b128 v[8:9], v[39:42], off
	s_and_saveexec_b32 s6, s5
	s_cbranch_execz .LBB80_93
; %bb.92:
	v_ashrrev_i32_e32 v1, 31, v0
	v_mov_b32_e32 v17, v2
	s_delay_alu instid0(VALU_DEP_2) | instskip(NEXT) | instid1(VALU_DEP_1)
	v_lshlrev_b64_e32 v[0:1], 3, v[0:1]
	v_add_co_u32 v0, vcc_lo, s18, v0
	s_wait_alu 0xfffd
	s_delay_alu instid0(VALU_DEP_2)
	v_add_co_ci_u32_e64 v1, null, s19, v1, vcc_lo
	global_store_b64 v[0:1], v[17:18], off
.LBB80_93:
	s_wait_alu 0xfffe
	s_or_b32 exec_lo, exec_lo, s6
	v_cmp_gt_i32_e32 vcc_lo, s22, v38
	s_and_b32 exec_lo, exec_lo, vcc_lo
	s_cbranch_execz .LBB80_78
; %bb.94:
	v_cmp_ne_u32_e32 vcc_lo, 1, v24
	v_mov_b32_e32 v2, 1.0
	s_cbranch_vccnz .LBB80_96
; %bb.95:
	v_div_scale_f32 v0, null, v11, v11, 1.0
	s_delay_alu instid0(VALU_DEP_1) | instskip(NEXT) | instid1(TRANS32_DEP_1)
	v_rcp_f32_e32 v1, v0
	v_fma_f32 v2, -v0, v1, 1.0
	s_delay_alu instid0(VALU_DEP_1) | instskip(SKIP_1) | instid1(VALU_DEP_1)
	v_fmac_f32_e32 v1, v2, v1
	v_div_scale_f32 v2, vcc_lo, 1.0, v11, 1.0
	v_mul_f32_e32 v8, v2, v1
	s_delay_alu instid0(VALU_DEP_1) | instskip(NEXT) | instid1(VALU_DEP_1)
	v_fma_f32 v9, -v0, v8, v2
	v_fmac_f32_e32 v8, v9, v1
	s_delay_alu instid0(VALU_DEP_1) | instskip(SKIP_1) | instid1(VALU_DEP_1)
	v_fma_f32 v0, -v0, v8, v2
	s_wait_alu 0xfffd
	v_div_fmas_f32 v0, v0, v1, v8
	s_delay_alu instid0(VALU_DEP_1)
	v_div_fixup_f32 v2, v0, v11, 1.0
.LBB80_96:
	v_dual_mov_b32 v9, 0 :: v_dual_add_nc_u32 v0, s3, v37
	v_lshrrev_b32_e32 v10, 16, v62
	v_cvt_f32_f16_e32 v11, v61
	v_cvt_f32_f16_e32 v18, v62
	s_delay_alu instid0(VALU_DEP_4) | instskip(NEXT) | instid1(VALU_DEP_4)
	v_mad_co_u64_u32 v[0:1], null, v0, s23, s[0:1]
	v_cvt_f32_f16_e32 v25, v10
	s_delay_alu instid0(VALU_DEP_3) | instskip(NEXT) | instid1(VALU_DEP_3)
	v_mul_f32_e32 v10, v2, v18
	v_mad_co_u64_u32 v[0:1], null, s1, v0, s[4:5]
	v_lshrrev_b32_e32 v1, 16, v61
	s_delay_alu instid0(VALU_DEP_1) | instskip(NEXT) | instid1(VALU_DEP_3)
	v_cvt_f32_f16_e32 v1, v1
	v_lshl_add_u32 v8, v0, 7, v36
	s_delay_alu instid0(VALU_DEP_1) | instskip(NEXT) | instid1(VALU_DEP_3)
	v_lshlrev_b64_e32 v[16:17], 2, v[8:9]
	v_mul_f32_e32 v9, v2, v1
	v_mul_f32_e32 v8, v2, v11
	v_mul_f32_e32 v11, v2, v25
	s_delay_alu instid0(VALU_DEP_4)
	v_add_co_u32 v1, vcc_lo, s16, v16
	s_wait_alu 0xfffd
	v_add_co_ci_u32_e64 v2, null, s17, v17, vcc_lo
	global_store_b128 v[1:2], v[8:11], off
	s_and_saveexec_b32 s6, s5
	s_cbranch_execz .LBB80_98
; %bb.97:
	v_ashrrev_i32_e32 v1, 31, v0
	v_mov_b32_e32 v18, v3
	s_delay_alu instid0(VALU_DEP_2) | instskip(NEXT) | instid1(VALU_DEP_1)
	v_lshlrev_b64_e32 v[0:1], 3, v[0:1]
	v_add_co_u32 v0, vcc_lo, s18, v0
	s_wait_alu 0xfffd
	s_delay_alu instid0(VALU_DEP_2)
	v_add_co_ci_u32_e64 v1, null, s19, v1, vcc_lo
	global_store_b64 v[0:1], v[18:19], off
.LBB80_98:
	s_wait_alu 0xfffe
	s_or_b32 exec_lo, exec_lo, s6
	v_cmp_gt_i32_e32 vcc_lo, s22, v34
	s_and_b32 exec_lo, exec_lo, vcc_lo
	s_cbranch_execz .LBB80_78
; %bb.99:
	v_cmp_ne_u32_e32 vcc_lo, 1, v24
	v_mov_b32_e32 v2, 1.0
	s_cbranch_vccnz .LBB80_101
; %bb.100:
	v_div_scale_f32 v0, null, v12, v12, 1.0
	s_delay_alu instid0(VALU_DEP_1) | instskip(NEXT) | instid1(TRANS32_DEP_1)
	v_rcp_f32_e32 v1, v0
	v_fma_f32 v2, -v0, v1, 1.0
	s_delay_alu instid0(VALU_DEP_1) | instskip(SKIP_1) | instid1(VALU_DEP_1)
	v_fmac_f32_e32 v1, v2, v1
	v_div_scale_f32 v2, vcc_lo, 1.0, v12, 1.0
	v_mul_f32_e32 v3, v2, v1
	s_delay_alu instid0(VALU_DEP_1) | instskip(NEXT) | instid1(VALU_DEP_1)
	v_fma_f32 v8, -v0, v3, v2
	v_fmac_f32_e32 v3, v8, v1
	s_delay_alu instid0(VALU_DEP_1) | instskip(SKIP_1) | instid1(VALU_DEP_1)
	v_fma_f32 v0, -v0, v3, v2
	s_wait_alu 0xfffd
	v_div_fmas_f32 v0, v0, v1, v3
	s_delay_alu instid0(VALU_DEP_1)
	v_div_fixup_f32 v2, v0, v12, 1.0
.LBB80_101:
	v_dual_mov_b32 v9, 0 :: v_dual_add_nc_u32 v0, s3, v32
	v_lshrrev_b32_e32 v3, 16, v60
	v_cvt_f32_f16_e32 v10, v59
	v_cvt_f32_f16_e32 v11, v60
	s_delay_alu instid0(VALU_DEP_4) | instskip(NEXT) | instid1(VALU_DEP_4)
	v_mad_co_u64_u32 v[0:1], null, v0, s23, s[2:3]
	v_cvt_f32_f16_e32 v3, v3
	s_delay_alu instid0(VALU_DEP_2) | instskip(SKIP_1) | instid1(VALU_DEP_1)
	v_mad_co_u64_u32 v[0:1], null, s1, v0, s[4:5]
	v_lshrrev_b32_e32 v1, 16, v59
	v_cvt_f32_f16_e32 v1, v1
	s_delay_alu instid0(VALU_DEP_3) | instskip(NEXT) | instid1(VALU_DEP_1)
	v_lshl_add_u32 v8, v0, 7, v36
	v_lshlrev_b64_e32 v[16:17], 2, v[8:9]
	s_delay_alu instid0(VALU_DEP_3)
	v_mul_f32_e32 v9, v2, v1
	v_mul_f32_e32 v8, v2, v10
	;; [unrolled: 1-line block ×4, first 2 shown]
	v_add_co_u32 v1, vcc_lo, s16, v16
	s_wait_alu 0xfffd
	v_add_co_ci_u32_e64 v2, null, s17, v17, vcc_lo
	global_store_b128 v[1:2], v[8:11], off
	s_and_saveexec_b32 s6, s5
	s_cbranch_execz .LBB80_103
; %bb.102:
	v_ashrrev_i32_e32 v1, 31, v0
	v_mov_b32_e32 v19, v4
	s_delay_alu instid0(VALU_DEP_2) | instskip(NEXT) | instid1(VALU_DEP_1)
	v_lshlrev_b64_e32 v[0:1], 3, v[0:1]
	v_add_co_u32 v0, vcc_lo, s18, v0
	s_wait_alu 0xfffd
	s_delay_alu instid0(VALU_DEP_2)
	v_add_co_ci_u32_e64 v1, null, s19, v1, vcc_lo
	global_store_b64 v[0:1], v[19:20], off
.LBB80_103:
	s_wait_alu 0xfffe
	s_or_b32 exec_lo, exec_lo, s6
	v_cmp_gt_i32_e32 vcc_lo, s22, v31
	s_and_b32 exec_lo, exec_lo, vcc_lo
	s_cbranch_execz .LBB80_78
; %bb.104:
	v_cmp_ne_u32_e32 vcc_lo, 1, v24
	v_mov_b32_e32 v2, 1.0
	s_cbranch_vccnz .LBB80_106
; %bb.105:
	v_div_scale_f32 v0, null, v13, v13, 1.0
	s_delay_alu instid0(VALU_DEP_1) | instskip(NEXT) | instid1(TRANS32_DEP_1)
	v_rcp_f32_e32 v1, v0
	v_fma_f32 v2, -v0, v1, 1.0
	s_delay_alu instid0(VALU_DEP_1) | instskip(SKIP_1) | instid1(VALU_DEP_1)
	v_fmac_f32_e32 v1, v2, v1
	v_div_scale_f32 v2, vcc_lo, 1.0, v13, 1.0
	v_mul_f32_e32 v3, v2, v1
	s_delay_alu instid0(VALU_DEP_1) | instskip(NEXT) | instid1(VALU_DEP_1)
	v_fma_f32 v4, -v0, v3, v2
	v_fmac_f32_e32 v3, v4, v1
	s_delay_alu instid0(VALU_DEP_1) | instskip(SKIP_1) | instid1(VALU_DEP_1)
	v_fma_f32 v0, -v0, v3, v2
	s_wait_alu 0xfffd
	v_div_fmas_f32 v0, v0, v1, v3
	s_delay_alu instid0(VALU_DEP_1)
	v_div_fixup_f32 v2, v0, v13, 1.0
.LBB80_106:
	v_lshrrev_b32_e32 v8, 16, v58
	v_cvt_f32_f16_e32 v9, v57
	v_cvt_f32_f16_e32 v10, v58
	s_delay_alu instid0(VALU_DEP_3) | instskip(SKIP_1) | instid1(VALU_DEP_4)
	v_cvt_f32_f16_e32 v11, v8
	v_add_nc_u32_e32 v0, s3, v29
	v_mul_f32_e32 v8, v2, v9
	s_delay_alu instid0(VALU_DEP_4) | instskip(NEXT) | instid1(VALU_DEP_4)
	v_mul_f32_e32 v10, v2, v10
	v_mul_f32_e32 v11, v2, v11
	s_delay_alu instid0(VALU_DEP_4) | instskip(NEXT) | instid1(VALU_DEP_1)
	v_mad_co_u64_u32 v[0:1], null, v0, s23, s[0:1]
	v_mad_co_u64_u32 v[0:1], null, s1, v0, s[4:5]
	v_lshrrev_b32_e32 v1, 16, v57
	s_delay_alu instid0(VALU_DEP_1) | instskip(SKIP_1) | instid1(VALU_DEP_4)
	v_cvt_f32_f16_e32 v1, v1
	v_mov_b32_e32 v4, 0
	v_lshl_add_u32 v3, v0, 7, v36
	s_delay_alu instid0(VALU_DEP_3) | instskip(NEXT) | instid1(VALU_DEP_2)
	v_mul_f32_e32 v9, v2, v1
	v_lshlrev_b64_e32 v[3:4], 2, v[3:4]
	s_delay_alu instid0(VALU_DEP_1) | instskip(SKIP_1) | instid1(VALU_DEP_2)
	v_add_co_u32 v1, vcc_lo, s16, v3
	s_wait_alu 0xfffd
	v_add_co_ci_u32_e64 v2, null, s17, v4, vcc_lo
	global_store_b128 v[1:2], v[8:11], off
	s_and_saveexec_b32 s6, s5
	s_cbranch_execz .LBB80_108
; %bb.107:
	v_ashrrev_i32_e32 v1, 31, v0
	v_mov_b32_e32 v20, v5
	s_delay_alu instid0(VALU_DEP_2) | instskip(NEXT) | instid1(VALU_DEP_1)
	v_lshlrev_b64_e32 v[0:1], 3, v[0:1]
	v_add_co_u32 v0, vcc_lo, s18, v0
	s_wait_alu 0xfffd
	s_delay_alu instid0(VALU_DEP_2)
	v_add_co_ci_u32_e64 v1, null, s19, v1, vcc_lo
	global_store_b64 v[0:1], v[20:21], off
.LBB80_108:
	s_wait_alu 0xfffe
	s_or_b32 exec_lo, exec_lo, s6
	v_cmp_gt_i32_e32 vcc_lo, s22, v30
	s_and_b32 exec_lo, exec_lo, vcc_lo
	s_cbranch_execz .LBB80_78
; %bb.109:
	v_cmp_ne_u32_e32 vcc_lo, 1, v24
	v_mov_b32_e32 v2, 1.0
	s_cbranch_vccnz .LBB80_111
; %bb.110:
	v_div_scale_f32 v0, null, v14, v14, 1.0
	s_delay_alu instid0(VALU_DEP_1) | instskip(NEXT) | instid1(TRANS32_DEP_1)
	v_rcp_f32_e32 v1, v0
	v_fma_f32 v2, -v0, v1, 1.0
	s_delay_alu instid0(VALU_DEP_1) | instskip(SKIP_1) | instid1(VALU_DEP_1)
	v_fmac_f32_e32 v1, v2, v1
	v_div_scale_f32 v2, vcc_lo, 1.0, v14, 1.0
	v_mul_f32_e32 v3, v2, v1
	s_delay_alu instid0(VALU_DEP_1) | instskip(NEXT) | instid1(VALU_DEP_1)
	v_fma_f32 v4, -v0, v3, v2
	v_fmac_f32_e32 v3, v4, v1
	s_delay_alu instid0(VALU_DEP_1) | instskip(SKIP_1) | instid1(VALU_DEP_1)
	v_fma_f32 v0, -v0, v3, v2
	s_wait_alu 0xfffd
	v_div_fmas_f32 v0, v0, v1, v3
	s_delay_alu instid0(VALU_DEP_1)
	v_div_fixup_f32 v2, v0, v14, 1.0
.LBB80_111:
	v_add_nc_u32_e32 v0, s3, v26
	v_lshrrev_b32_e32 v5, 16, v56
	v_cvt_f32_f16_e32 v9, v56
	v_cvt_f32_f16_e32 v8, v55
	s_delay_alu instid0(VALU_DEP_4) | instskip(NEXT) | instid1(VALU_DEP_4)
	v_mad_co_u64_u32 v[0:1], null, v0, s23, s[2:3]
	v_cvt_f32_f16_e32 v5, v5
	v_mov_b32_e32 v4, 0
	v_mul_f32_e32 v10, v2, v9
	v_mul_f32_e32 v8, v2, v8
	s_delay_alu instid0(VALU_DEP_4) | instskip(SKIP_2) | instid1(VALU_DEP_1)
	v_mul_f32_e32 v11, v2, v5
	v_mad_co_u64_u32 v[0:1], null, s1, v0, s[4:5]
	v_lshrrev_b32_e32 v1, 16, v55
	v_cvt_f32_f16_e32 v1, v1
	s_delay_alu instid0(VALU_DEP_3) | instskip(NEXT) | instid1(VALU_DEP_2)
	v_lshl_add_u32 v3, v0, 7, v36
	v_mul_f32_e32 v9, v2, v1
	s_delay_alu instid0(VALU_DEP_2) | instskip(NEXT) | instid1(VALU_DEP_1)
	v_lshlrev_b64_e32 v[3:4], 2, v[3:4]
	v_add_co_u32 v1, vcc_lo, s16, v3
	s_wait_alu 0xfffd
	s_delay_alu instid0(VALU_DEP_2)
	v_add_co_ci_u32_e64 v2, null, s17, v4, vcc_lo
	global_store_b128 v[1:2], v[8:11], off
	s_and_saveexec_b32 s2, s5
	s_cbranch_execz .LBB80_113
; %bb.112:
	v_ashrrev_i32_e32 v1, 31, v0
	v_mov_b32_e32 v21, v6
	s_delay_alu instid0(VALU_DEP_2) | instskip(NEXT) | instid1(VALU_DEP_1)
	v_lshlrev_b64_e32 v[0:1], 3, v[0:1]
	v_add_co_u32 v0, vcc_lo, s18, v0
	s_wait_alu 0xfffd
	s_delay_alu instid0(VALU_DEP_2)
	v_add_co_ci_u32_e64 v1, null, s19, v1, vcc_lo
	global_store_b64 v[0:1], v[21:22], off
.LBB80_113:
	s_wait_alu 0xfffe
	s_or_b32 exec_lo, exec_lo, s2
	v_cmp_gt_i32_e32 vcc_lo, s22, v28
	s_and_b32 exec_lo, exec_lo, vcc_lo
	s_cbranch_execz .LBB80_78
; %bb.114:
	v_cmp_ne_u32_e32 vcc_lo, 1, v24
	v_mov_b32_e32 v2, 1.0
	s_cbranch_vccnz .LBB80_116
; %bb.115:
	v_div_scale_f32 v0, null, v15, v15, 1.0
	s_delay_alu instid0(VALU_DEP_1) | instskip(NEXT) | instid1(TRANS32_DEP_1)
	v_rcp_f32_e32 v1, v0
	v_fma_f32 v2, -v0, v1, 1.0
	s_delay_alu instid0(VALU_DEP_1) | instskip(SKIP_1) | instid1(VALU_DEP_1)
	v_fmac_f32_e32 v1, v2, v1
	v_div_scale_f32 v2, vcc_lo, 1.0, v15, 1.0
	v_mul_f32_e32 v3, v2, v1
	s_delay_alu instid0(VALU_DEP_1) | instskip(NEXT) | instid1(VALU_DEP_1)
	v_fma_f32 v4, -v0, v3, v2
	v_fmac_f32_e32 v3, v4, v1
	s_delay_alu instid0(VALU_DEP_1) | instskip(SKIP_1) | instid1(VALU_DEP_1)
	v_fma_f32 v0, -v0, v3, v2
	s_wait_alu 0xfffd
	v_div_fmas_f32 v0, v0, v1, v3
	s_delay_alu instid0(VALU_DEP_1)
	v_div_fixup_f32 v2, v0, v15, 1.0
.LBB80_116:
	v_cvt_f32_f16_e32 v6, v54
	v_add_nc_u32_e32 v0, s3, v27
	v_lshrrev_b32_e32 v5, 16, v53
	v_cvt_f32_f16_e32 v10, v53
	v_mov_b32_e32 v4, 0
	s_delay_alu instid0(VALU_DEP_4) | instskip(NEXT) | instid1(VALU_DEP_4)
	v_mad_co_u64_u32 v[0:1], null, v0, s23, s[0:1]
	v_cvt_f32_f16_e32 v11, v5
	s_delay_alu instid0(VALU_DEP_4) | instskip(NEXT) | instid1(VALU_DEP_3)
	v_mul_f32_e32 v5, v2, v10
	v_mad_co_u64_u32 v[0:1], null, s1, v0, s[4:5]
	v_lshrrev_b32_e32 v1, 16, v54
	s_delay_alu instid0(VALU_DEP_1) | instskip(NEXT) | instid1(VALU_DEP_3)
	v_cvt_f32_f16_e32 v1, v1
	v_lshl_add_u32 v3, v0, 7, v36
	s_delay_alu instid0(VALU_DEP_1) | instskip(NEXT) | instid1(VALU_DEP_3)
	v_lshlrev_b64_e32 v[8:9], 2, v[3:4]
	v_mul_f32_e32 v4, v2, v1
	v_mul_f32_e32 v3, v2, v6
	;; [unrolled: 1-line block ×3, first 2 shown]
	s_delay_alu instid0(VALU_DEP_4)
	v_add_co_u32 v1, vcc_lo, s16, v8
	s_wait_alu 0xfffd
	v_add_co_ci_u32_e64 v2, null, s17, v9, vcc_lo
	global_store_b128 v[1:2], v[3:6], off
	s_and_b32 exec_lo, exec_lo, s5
	s_cbranch_execz .LBB80_78
; %bb.117:
	v_ashrrev_i32_e32 v1, 31, v0
	v_mov_b32_e32 v22, v7
	s_delay_alu instid0(VALU_DEP_2) | instskip(NEXT) | instid1(VALU_DEP_1)
	v_lshlrev_b64_e32 v[0:1], 3, v[0:1]
	v_add_co_u32 v0, vcc_lo, s18, v0
	s_wait_alu 0xfffd
	s_delay_alu instid0(VALU_DEP_2)
	v_add_co_ci_u32_e64 v1, null, s19, v1, vcc_lo
	global_store_b64 v[0:1], v[22:23], off
	s_nop 0
	s_sendmsg sendmsg(MSG_DEALLOC_VGPRS)
	s_endpgm
	.section	.rodata,"a",@progbits
	.p2align	6, 0x0
	.amdhsa_kernel _ZL15flash_attn_tileILi128ELi128ELi32ELi2ELb1EEvPKcS1_S1_S1_S1_PKiPfP15HIP_vector_typeIfLj2EEffffjfiS5_IjLj3EEiiiiiiiiiiiliiliiiiil
		.amdhsa_group_segment_fixed_size 33792
		.amdhsa_private_segment_fixed_size 0
		.amdhsa_kernarg_size 464
		.amdhsa_user_sgpr_count 2
		.amdhsa_user_sgpr_dispatch_ptr 0
		.amdhsa_user_sgpr_queue_ptr 0
		.amdhsa_user_sgpr_kernarg_segment_ptr 1
		.amdhsa_user_sgpr_dispatch_id 0
		.amdhsa_user_sgpr_private_segment_size 0
		.amdhsa_wavefront_size32 1
		.amdhsa_uses_dynamic_stack 0
		.amdhsa_enable_private_segment 0
		.amdhsa_system_sgpr_workgroup_id_x 1
		.amdhsa_system_sgpr_workgroup_id_y 1
		.amdhsa_system_sgpr_workgroup_id_z 1
		.amdhsa_system_sgpr_workgroup_info 0
		.amdhsa_system_vgpr_workitem_id 1
		.amdhsa_next_free_vgpr 217
		.amdhsa_next_free_sgpr 48
		.amdhsa_reserve_vcc 1
		.amdhsa_float_round_mode_32 0
		.amdhsa_float_round_mode_16_64 0
		.amdhsa_float_denorm_mode_32 3
		.amdhsa_float_denorm_mode_16_64 3
		.amdhsa_fp16_overflow 0
		.amdhsa_workgroup_processor_mode 1
		.amdhsa_memory_ordered 1
		.amdhsa_forward_progress 1
		.amdhsa_inst_pref_size 255
		.amdhsa_round_robin_scheduling 0
		.amdhsa_exception_fp_ieee_invalid_op 0
		.amdhsa_exception_fp_denorm_src 0
		.amdhsa_exception_fp_ieee_div_zero 0
		.amdhsa_exception_fp_ieee_overflow 0
		.amdhsa_exception_fp_ieee_underflow 0
		.amdhsa_exception_fp_ieee_inexact 0
		.amdhsa_exception_int_div_zero 0
	.end_amdhsa_kernel
	.section	.text._ZL15flash_attn_tileILi128ELi128ELi32ELi2ELb1EEvPKcS1_S1_S1_S1_PKiPfP15HIP_vector_typeIfLj2EEffffjfiS5_IjLj3EEiiiiiiiiiiiliiliiiiil,"axG",@progbits,_ZL15flash_attn_tileILi128ELi128ELi32ELi2ELb1EEvPKcS1_S1_S1_S1_PKiPfP15HIP_vector_typeIfLj2EEffffjfiS5_IjLj3EEiiiiiiiiiiiliiliiiiil,comdat
.Lfunc_end80:
	.size	_ZL15flash_attn_tileILi128ELi128ELi32ELi2ELb1EEvPKcS1_S1_S1_S1_PKiPfP15HIP_vector_typeIfLj2EEffffjfiS5_IjLj3EEiiiiiiiiiiiliiliiiiil, .Lfunc_end80-_ZL15flash_attn_tileILi128ELi128ELi32ELi2ELb1EEvPKcS1_S1_S1_S1_PKiPfP15HIP_vector_typeIfLj2EEffffjfiS5_IjLj3EEiiiiiiiiiiiliiliiiiil
                                        ; -- End function
	.set _ZL15flash_attn_tileILi128ELi128ELi32ELi2ELb1EEvPKcS1_S1_S1_S1_PKiPfP15HIP_vector_typeIfLj2EEffffjfiS5_IjLj3EEiiiiiiiiiiiliiliiiiil.num_vgpr, 161
	.set _ZL15flash_attn_tileILi128ELi128ELi32ELi2ELb1EEvPKcS1_S1_S1_S1_PKiPfP15HIP_vector_typeIfLj2EEffffjfiS5_IjLj3EEiiiiiiiiiiiliiliiiiil.num_agpr, 0
	.set _ZL15flash_attn_tileILi128ELi128ELi32ELi2ELb1EEvPKcS1_S1_S1_S1_PKiPfP15HIP_vector_typeIfLj2EEffffjfiS5_IjLj3EEiiiiiiiiiiiliiliiiiil.numbered_sgpr, 48
	.set _ZL15flash_attn_tileILi128ELi128ELi32ELi2ELb1EEvPKcS1_S1_S1_S1_PKiPfP15HIP_vector_typeIfLj2EEffffjfiS5_IjLj3EEiiiiiiiiiiiliiliiiiil.num_named_barrier, 0
	.set _ZL15flash_attn_tileILi128ELi128ELi32ELi2ELb1EEvPKcS1_S1_S1_S1_PKiPfP15HIP_vector_typeIfLj2EEffffjfiS5_IjLj3EEiiiiiiiiiiiliiliiiiil.private_seg_size, 0
	.set _ZL15flash_attn_tileILi128ELi128ELi32ELi2ELb1EEvPKcS1_S1_S1_S1_PKiPfP15HIP_vector_typeIfLj2EEffffjfiS5_IjLj3EEiiiiiiiiiiiliiliiiiil.uses_vcc, 1
	.set _ZL15flash_attn_tileILi128ELi128ELi32ELi2ELb1EEvPKcS1_S1_S1_S1_PKiPfP15HIP_vector_typeIfLj2EEffffjfiS5_IjLj3EEiiiiiiiiiiiliiliiiiil.uses_flat_scratch, 0
	.set _ZL15flash_attn_tileILi128ELi128ELi32ELi2ELb1EEvPKcS1_S1_S1_S1_PKiPfP15HIP_vector_typeIfLj2EEffffjfiS5_IjLj3EEiiiiiiiiiiiliiliiiiil.has_dyn_sized_stack, 0
	.set _ZL15flash_attn_tileILi128ELi128ELi32ELi2ELb1EEvPKcS1_S1_S1_S1_PKiPfP15HIP_vector_typeIfLj2EEffffjfiS5_IjLj3EEiiiiiiiiiiiliiliiiiil.has_recursion, 0
	.set _ZL15flash_attn_tileILi128ELi128ELi32ELi2ELb1EEvPKcS1_S1_S1_S1_PKiPfP15HIP_vector_typeIfLj2EEffffjfiS5_IjLj3EEiiiiiiiiiiiliiliiiiil.has_indirect_call, 0
	.section	.AMDGPU.csdata,"",@progbits
; Kernel info:
; codeLenInByte = 36948
; TotalNumSgprs: 50
; NumVgprs: 161
; ScratchSize: 0
; MemoryBound: 0
; FloatMode: 240
; IeeeMode: 1
; LDSByteSize: 33792 bytes/workgroup (compile time only)
; SGPRBlocks: 0
; VGPRBlocks: 27
; NumSGPRsForWavesPerEU: 50
; NumVGPRsForWavesPerEU: 217
; Occupancy: 6
; WaveLimiterHint : 1
; COMPUTE_PGM_RSRC2:SCRATCH_EN: 0
; COMPUTE_PGM_RSRC2:USER_SGPR: 2
; COMPUTE_PGM_RSRC2:TRAP_HANDLER: 0
; COMPUTE_PGM_RSRC2:TGID_X_EN: 1
; COMPUTE_PGM_RSRC2:TGID_Y_EN: 1
; COMPUTE_PGM_RSRC2:TGID_Z_EN: 1
; COMPUTE_PGM_RSRC2:TIDIG_COMP_CNT: 1
	.section	.text._ZL15flash_attn_tileILi128ELi128ELi16ELi2ELb1EEvPKcS1_S1_S1_S1_PKiPfP15HIP_vector_typeIfLj2EEffffjfiS5_IjLj3EEiiiiiiiiiiiliiliiiiil,"axG",@progbits,_ZL15flash_attn_tileILi128ELi128ELi16ELi2ELb1EEvPKcS1_S1_S1_S1_PKiPfP15HIP_vector_typeIfLj2EEffffjfiS5_IjLj3EEiiiiiiiiiiiliiliiiiil,comdat
	.globl	_ZL15flash_attn_tileILi128ELi128ELi16ELi2ELb1EEvPKcS1_S1_S1_S1_PKiPfP15HIP_vector_typeIfLj2EEffffjfiS5_IjLj3EEiiiiiiiiiiiliiliiiiil ; -- Begin function _ZL15flash_attn_tileILi128ELi128ELi16ELi2ELb1EEvPKcS1_S1_S1_S1_PKiPfP15HIP_vector_typeIfLj2EEffffjfiS5_IjLj3EEiiiiiiiiiiiliiliiiiil
	.p2align	8
	.type	_ZL15flash_attn_tileILi128ELi128ELi16ELi2ELb1EEvPKcS1_S1_S1_S1_PKiPfP15HIP_vector_typeIfLj2EEffffjfiS5_IjLj3EEiiiiiiiiiiiliiliiiiil,@function
_ZL15flash_attn_tileILi128ELi128ELi16ELi2ELb1EEvPKcS1_S1_S1_S1_PKiPfP15HIP_vector_typeIfLj2EEffffjfiS5_IjLj3EEiiiiiiiiiiiliiliiiiil: ; @_ZL15flash_attn_tileILi128ELi128ELi16ELi2ELb1EEvPKcS1_S1_S1_S1_PKiPfP15HIP_vector_typeIfLj2EEffffjfiS5_IjLj3EEiiiiiiiiiiiliiliiiiil
; %bb.0:
	s_clause 0x1
	s_load_b128 s[20:23], s[0:1], 0x5c
	s_load_b64 s[30:31], s[0:1], 0x80
	s_lshr_b32 s5, ttmp7, 16
	s_load_b64 s[38:39], s[0:1], 0xb8
	s_mov_b32 s37, 0
	s_mov_b64 s[34:35], 0
	s_wait_kmcnt 0x0
	s_lshr_b32 s2, s23, 31
	s_delay_alu instid0(SALU_CYCLE_1) | instskip(NEXT) | instid1(SALU_CYCLE_1)
	s_add_co_i32 s2, s23, s2
	s_ashr_i32 s2, s2, 1
	s_delay_alu instid0(SALU_CYCLE_1) | instskip(SKIP_1) | instid1(SALU_CYCLE_2)
	s_cvt_f32_u32 s3, s2
	s_sub_co_i32 s4, 0, s2
	v_rcp_iflag_f32_e32 v1, s3
	s_delay_alu instid0(TRANS32_DEP_1) | instskip(SKIP_2) | instid1(SALU_CYCLE_2)
	v_readfirstlane_b32 s3, v1
	s_mul_f32 s3, s3, 0x4f7ffffe
	s_wait_alu 0xfffe
	s_cvt_u32_f32 s3, s3
	s_wait_alu 0xfffe
	s_delay_alu instid0(SALU_CYCLE_2) | instskip(NEXT) | instid1(SALU_CYCLE_1)
	s_mul_i32 s4, s4, s3
	s_mul_hi_u32 s4, s3, s4
	s_delay_alu instid0(SALU_CYCLE_1)
	s_add_co_i32 s3, s3, s4
	s_wait_alu 0xfffe
	s_mul_hi_u32 s3, s5, s3
	s_wait_alu 0xfffe
	s_mul_i32 s4, s3, s2
	s_add_co_i32 s6, s3, 1
	s_sub_co_i32 s4, s5, s4
	s_delay_alu instid0(SALU_CYCLE_1)
	s_sub_co_i32 s7, s4, s2
	s_cmp_ge_u32 s4, s2
	s_cselect_b32 s3, s6, s3
	s_cselect_b32 s4, s7, s4
	s_wait_alu 0xfffe
	s_add_co_i32 s6, s3, 1
	s_cmp_ge_u32 s4, s2
	s_cselect_b32 s28, s6, s3
	s_abs_i32 s3, s31
	s_abs_i32 s7, s23
	s_wait_alu 0xfffe
	s_cvt_f32_u32 s2, s3
	s_sub_co_i32 s4, 0, s3
	s_lshl_b32 s5, s5, 1
	s_mul_i32 s6, s28, s23
	s_wait_alu 0xfffe
	v_rcp_iflag_f32_e32 v1, s2
	s_delay_alu instid0(TRANS32_DEP_1) | instskip(SKIP_2) | instid1(SALU_CYCLE_2)
	v_readfirstlane_b32 s2, v1
	s_mul_f32 s2, s2, 0x4f7ffffe
	s_wait_alu 0xfffe
	s_cvt_u32_f32 s2, s2
	s_wait_alu 0xfffe
	s_delay_alu instid0(SALU_CYCLE_2) | instskip(NEXT) | instid1(SALU_CYCLE_1)
	s_mul_i32 s4, s4, s2
	s_mul_hi_u32 s4, s2, s4
	s_delay_alu instid0(SALU_CYCLE_1)
	s_add_co_i32 s4, s2, s4
	s_sub_co_i32 s2, s5, s6
	s_mul_hi_u32 s4, s7, s4
	s_xor_b32 s5, s23, s31
	s_mul_i32 s6, s4, s3
	s_ashr_i32 s24, s5, 31
	s_sub_co_i32 s5, s7, s6
	s_add_co_i32 s6, s4, 1
	s_sub_co_i32 s7, s5, s3
	s_cmp_ge_u32 s5, s3
	s_cselect_b32 s4, s6, s4
	s_cselect_b32 s5, s7, s5
	s_add_co_i32 s6, s4, 1
	s_cmp_ge_u32 s5, s3
	s_cselect_b32 s3, s6, s4
	s_load_b512 s[4:19], s[0:1], 0x0
	s_xor_b32 s3, s3, s24
	s_wait_alu 0xfffe
	s_sub_co_i32 s40, s3, s24
	s_delay_alu instid0(SALU_CYCLE_1) | instskip(NEXT) | instid1(SALU_CYCLE_1)
	s_abs_i32 s33, s40
	s_cvt_f32_u32 s3, s33
	s_wait_alu 0xfffe
	s_delay_alu instid0(SALU_CYCLE_2) | instskip(SKIP_2) | instid1(TRANS32_DEP_1)
	v_rcp_iflag_f32_e32 v1, s3
	s_wait_kmcnt 0x0
	s_cmp_eq_u64 s[10:11], 0
	v_readfirstlane_b32 s3, v1
	s_cbranch_scc1 .LBB81_2
; %bb.1:
	s_abs_i32 s26, s38
	s_delay_alu instid0(SALU_CYCLE_1) | instskip(NEXT) | instid1(SALU_CYCLE_3)
	s_cvt_f32_u32 s24, s26
	v_rcp_iflag_f32_e32 v1, s24
	s_delay_alu instid0(TRANS32_DEP_1) | instskip(SKIP_2) | instid1(SALU_CYCLE_2)
	v_readfirstlane_b32 s24, v1
	s_mul_f32 s24, s24, 0x4f7ffffe
	s_wait_alu 0xfffe
	s_cvt_u32_f32 s27, s24
	s_sub_co_i32 s24, 0, s26
	s_wait_alu 0xfffe
	s_delay_alu instid0(SALU_CYCLE_1) | instskip(SKIP_4) | instid1(SALU_CYCLE_1)
	s_mul_i32 s24, s24, s27
	s_wait_alu 0xfffe
	s_mul_hi_u32 s29, s27, s24
	s_load_b64 s[24:25], s[0:1], 0xc8
	s_add_co_i32 s27, s27, s29
	s_mul_hi_u32 s27, s28, s27
	s_delay_alu instid0(SALU_CYCLE_1) | instskip(NEXT) | instid1(SALU_CYCLE_1)
	s_mul_i32 s27, s27, s26
	s_sub_co_i32 s27, s28, s27
	s_delay_alu instid0(SALU_CYCLE_1) | instskip(SKIP_2) | instid1(SALU_CYCLE_1)
	s_sub_co_i32 s29, s27, s26
	s_cmp_ge_u32 s27, s26
	s_cselect_b32 s27, s29, s27
	s_sub_co_i32 s29, s27, s26
	s_cmp_ge_u32 s27, s26
	s_cselect_b32 s26, s29, s27
	s_delay_alu instid0(SALU_CYCLE_1)
	s_ashr_i32 s27, s26, 31
	s_wait_kmcnt 0x0
	s_mul_u64 s[24:25], s[24:25], s[26:27]
	s_wait_alu 0xfffe
	s_add_nc_u64 s[34:35], s[10:11], s[24:25]
.LBB81_2:
	v_bfe_u32 v19, v0, 10, 10
	s_lshl_b32 s31, ttmp9, 4
	s_load_b96 s[24:26], s[0:1], 0x70
	v_and_b32_e32 v31, 0x3ff, v0
	s_delay_alu instid0(VALU_DEP_2) | instskip(SKIP_1) | instid1(VALU_DEP_2)
	v_lshlrev_b32_e32 v28, 1, v19
	v_lshlrev_b32_e32 v1, 2, v19
	v_add_nc_u32_e32 v30, s31, v28
	s_delay_alu instid0(VALU_DEP_2) | instskip(SKIP_1) | instid1(VALU_DEP_3)
	v_or_b32_e32 v20, 2, v1
	v_or_b32_e32 v21, 3, v1
	v_mul_hi_u32 v2, v30, s20
	s_delay_alu instid0(VALU_DEP_3) | instskip(NEXT) | instid1(VALU_DEP_3)
	v_lshrrev_b32_e32 v26, 1, v20
	v_lshrrev_b32_e32 v24, 1, v21
	s_delay_alu instid0(VALU_DEP_2) | instskip(NEXT) | instid1(VALU_DEP_2)
	v_add_nc_u32_e32 v27, s31, v26
	v_add_nc_u32_e32 v25, s31, v24
	;; [unrolled: 1-line block ×3, first 2 shown]
	s_wait_kmcnt 0x0
	s_ashr_i32 s11, s24, 31
	s_mov_b32 s10, s24
	v_mul_hi_u32 v3, v27, s20
	v_mul_hi_u32 v4, v25, s20
	v_lshrrev_b32_e32 v2, s21, v2
	s_lshr_b64 s[42:43], s[10:11], 2
	s_lshr_b32 s24, s11, 2
	s_mul_i32 s10, s28, s26
	s_mul_i32 s26, s2, s25
	v_mul_lo_u32 v2, v2, s22
	v_add_nc_u32_e32 v3, v27, v3
	v_add_nc_u32_e32 v4, v25, v4
	s_ashr_i32 s11, s10, 31
	s_ashr_i32 s27, s26, 31
	s_add_nc_u64 s[4:5], s[4:5], s[10:11]
	v_lshrrev_b32_e32 v3, s21, v3
	v_lshrrev_b32_e32 v4, s21, v4
	v_sub_nc_u32_e32 v2, v30, v2
	s_ashr_i32 s43, s25, 31
	s_add_nc_u64 s[4:5], s[4:5], s[26:27]
	v_mul_lo_u32 v5, v3, s22
	v_mul_lo_u32 v6, v4, s22
	v_mad_co_u64_u32 v[3:4], null, s42, v2, 0
	s_delay_alu instid0(VALU_DEP_3) | instskip(NEXT) | instid1(VALU_DEP_3)
	v_sub_nc_u32_e32 v11, v27, v5
	v_sub_nc_u32_e32 v12, v25, v6
	s_delay_alu instid0(VALU_DEP_3) | instskip(NEXT) | instid1(VALU_DEP_3)
	v_mov_b32_e32 v0, v4
	v_mad_co_u64_u32 v[5:6], null, s42, v11, 0
	s_delay_alu instid0(VALU_DEP_3) | instskip(SKIP_1) | instid1(VALU_DEP_3)
	v_mad_co_u64_u32 v[7:8], null, s42, v12, 0
	s_wait_alu 0xfffe
	v_mad_co_u64_u32 v[9:10], null, s24, v2, v[0:1]
	s_and_b32 s42, s25, -4
	s_cmp_eq_u64 s[14:15], 0
	v_mov_b32_e32 v0, v6
	s_wait_alu 0xfffe
	s_add_nc_u64 s[10:11], s[4:5], s[42:43]
	v_mov_b32_e32 v6, v8
	v_mov_b32_e32 v4, v9
	v_mad_co_u64_u32 v[8:9], null, s24, v11, v[0:1]
	s_delay_alu instid0(VALU_DEP_3) | instskip(NEXT) | instid1(VALU_DEP_3)
	v_mad_co_u64_u32 v[9:10], null, s24, v12, v[6:7]
	v_lshlrev_b64_e32 v[3:4], 2, v[3:4]
	s_delay_alu instid0(VALU_DEP_3) | instskip(SKIP_4) | instid1(VALU_DEP_1)
	v_mov_b32_e32 v6, v8
	v_lshlrev_b32_e32 v0, 4, v31
	v_lshlrev_b32_e32 v32, 3, v31
	v_mov_b32_e32 v8, v9
	v_add_co_u32 v9, vcc_lo, s4, v3
	v_add_co_ci_u32_e64 v10, null, s5, v4, vcc_lo
	v_add_co_u32 v13, vcc_lo, s10, v3
	s_wait_alu 0xfffd
	v_add_co_ci_u32_e64 v14, null, s11, v4, vcc_lo
	v_add_co_u32 v3, vcc_lo, v9, v0
	v_lshlrev_b64_e32 v[11:12], 2, v[5:6]
	s_wait_alu 0xfffd
	v_add_co_ci_u32_e64 v4, null, 0, v10, vcc_lo
	v_add_co_u32 v9, vcc_lo, v13, v0
	s_wait_alu 0xfffd
	v_add_co_ci_u32_e64 v10, null, 0, v14, vcc_lo
	v_lshlrev_b64_e32 v[13:14], 2, v[7:8]
	v_add_co_u32 v11, vcc_lo, s4, v11
	s_clause 0x1
	global_load_b128 v[3:6], v[3:4], off
	global_load_b128 v[7:10], v[9:10], off
	s_wait_alu 0xfffd
	v_add_co_ci_u32_e64 v12, null, s5, v12, vcc_lo
	v_add_co_u32 v13, vcc_lo, s10, v13
	s_wait_alu 0xfffd
	v_add_co_ci_u32_e64 v14, null, s11, v14, vcc_lo
	v_add_co_u32 v11, vcc_lo, v11, v0
	;; [unrolled: 3-line block ×3, first 2 shown]
	s_wait_alu 0xfffd
	v_add_co_ci_u32_e64 v16, null, 0, v14, vcc_lo
	s_clause 0x1
	global_load_b128 v[11:14], v[11:12], off
	global_load_b128 v[15:18], v[15:16], off
	s_load_b32 s4, s[0:1], 0x40
	v_lshlrev_b32_e32 v0, 10, v19
	v_add_nc_u32_e32 v19, 0x6800, v32
	s_delay_alu instid0(VALU_DEP_1)
	v_add_nc_u32_e32 v22, v19, v0
	v_lshl_add_u32 v20, v20, 8, v19
	v_lshl_add_u32 v19, v21, 8, v19
	s_wait_loadcnt 0x3
	s_wait_kmcnt 0x0
	v_fma_mixlo_f16 v3, s4, v3, 0
	v_fma_mixlo_f16 v4, s4, v4, 0
	;; [unrolled: 1-line block ×4, first 2 shown]
	s_wait_loadcnt 0x2
	v_fma_mixlo_f16 v7, s4, v7, 0
	v_fma_mixlo_f16 v8, s4, v8, 0
	;; [unrolled: 1-line block ×4, first 2 shown]
	v_lshlrev_b32_e32 v4, 16, v4
	v_and_b32_e32 v3, 0xffff, v3
	v_lshlrev_b32_e32 v6, 16, v6
	v_and_b32_e32 v5, 0xffff, v5
	;; [unrolled: 2-line block ×4, first 2 shown]
	v_or_b32_e32 v3, v4, v3
	v_or3_b32 v4, v6, v5, 0
	v_or_b32_e32 v5, v8, v7
	s_wait_loadcnt 0x1
	v_fma_mixlo_f16 v7, s4, v11, 0
	v_fma_mixlo_f16 v8, s4, v12, 0
	s_wait_loadcnt 0x0
	v_fma_mixlo_f16 v11, s4, v15, 0
	v_fma_mixlo_f16 v12, s4, v16, 0
	v_or3_b32 v6, v10, v9, 0
	v_fma_mixlo_f16 v9, s4, v13, 0
	v_fma_mixlo_f16 v10, s4, v14, 0
	v_lshlrev_b32_e32 v8, 16, v8
	v_and_b32_e32 v7, 0xffff, v7
	v_fma_mixlo_f16 v13, s4, v17, 0
	v_fma_mixlo_f16 v14, s4, v18, 0
	v_lshlrev_b32_e32 v12, 16, v12
	v_and_b32_e32 v11, 0xffff, v11
	v_lshlrev_b32_e32 v10, 16, v10
	v_and_b32_e32 v9, 0xffff, v9
	v_or_b32_e32 v7, v8, v7
	v_lshlrev_b32_e32 v14, 16, v14
	v_and_b32_e32 v13, 0xffff, v13
	v_or_b32_e32 v11, v12, v11
	v_or3_b32 v3, 0, 0, v3
	v_or3_b32 v5, 0, 0, v5
	v_or3_b32 v8, v10, v9, 0
	v_or3_b32 v7, 0, 0, v7
	v_or3_b32 v10, v14, v13, 0
	v_or3_b32 v9, 0, 0, v11
	ds_store_2addr_b64 v22, v[3:4], v[5:6] offset1:32
	ds_store_b64 v20, v[7:8]
	ds_store_b64 v19, v[9:10]
	s_wait_dscnt 0x0
	s_barrier_signal -1
	s_barrier_wait -1
	global_inv scope:SCOPE_SE
	s_cbranch_scc1 .LBB81_4
; %bb.3:
	s_load_b32 s4, s[0:1], 0xd0
	s_mov_b32 s5, 0
	s_wait_kmcnt 0x0
	s_mul_i32 s4, s4, s28
	s_wait_alu 0xfffe
	s_add_co_i32 s4, s4, ttmp9
	s_wait_alu 0xfffe
	s_lshl_b64 s[4:5], s[4:5], 2
	s_wait_alu 0xfffe
	s_add_nc_u64 s[4:5], s[14:15], s[4:5]
	s_load_b32 s30, s[4:5], 0x0
.LBB81_4:
	s_and_b32 s4, ttmp7, 0xffff
	v_mbcnt_lo_u32_b32 v33, -1, 0
	s_wait_alu 0xfffe
	s_lshl_b32 s10, s4, 7
	s_wait_kmcnt 0x0
	s_wait_alu 0xfffe
	s_cmp_lt_i32 s10, s30
	s_cbranch_scc1 .LBB81_7
; %bb.5:
	v_mbcnt_lo_u32_b32 v4, -1, 0
	v_mov_b32_e32 v34, 32
	s_delay_alu instid0(VALU_DEP_2)
	v_xor_b32_e32 v66, 16, v4
	v_xor_b32_e32 v23, 8, v4
	;; [unrolled: 1-line block ×5, first 2 shown]
	v_lshlrev_b32_e32 v29, 2, v31
	s_mov_b32 s29, 0
	s_cbranch_execz .LBB81_8
; %bb.6:
	v_dual_mov_b32 v56, 0 :: v_dual_mov_b32 v69, 0
	v_dual_mov_b32 v3, 0xfeffffff :: v_dual_mov_b32 v2, 0xfeffffff
	;; [unrolled: 1-line block ×8, first 2 shown]
	s_branch .LBB81_76
.LBB81_7:
                                        ; implicit-def: $vgpr4
                                        ; implicit-def: $vgpr34
                                        ; implicit-def: $vgpr66
                                        ; implicit-def: $vgpr23
                                        ; implicit-def: $vgpr22
                                        ; implicit-def: $vgpr21
                                        ; implicit-def: $vgpr20
	v_lshlrev_b32_e32 v29, 2, v31
	s_mov_b32 s29, 0
.LBB81_8:
	s_mul_f32 s3, s3, 0x4f7ffffe
	s_clause 0x1
	s_load_b128 s[24:27], s[0:1], 0x98
	s_load_b64 s[42:43], s[0:1], 0x8c
	s_sub_co_i32 s11, 0, s33
	s_abs_i32 s36, s2
	s_cvt_u32_f32 s5, s3
	s_load_b32 s3, s[0:1], 0x54
	s_mov_b32 s15, s37
	s_ashr_i32 s38, s2, 31
	s_mul_i32 s11, s11, s5
	v_lshrrev_b32_e32 v3, 3, v31
	s_wait_alu 0xfffe
	s_mul_hi_u32 s11, s5, s11
	v_dual_mov_b32 v65, 0xfeffffff :: v_dual_and_b32 v12, 28, v29
	s_wait_alu 0xfffe
	s_add_co_i32 s14, s5, s11
	s_ashr_i32 s5, s40, 31
	s_load_b64 s[40:41], s[0:1], 0xa8
	s_mul_u64 s[14:15], s[36:37], s[14:15]
	s_ashr_i32 s11, s39, 1
	s_mul_i32 s37, s15, s33
	s_xor_b32 s5, s38, s5
	s_sub_co_i32 s36, s36, s37
	s_add_co_i32 s38, s15, 1
	s_wait_kmcnt 0x0
	s_ashr_i32 s14, s26, 2
	s_ashr_i32 s26, s42, 2
	s_sub_co_i32 s37, s36, s33
	s_cmp_ge_u32 s36, s33
	v_dual_mov_b32 v50, 0 :: v_dual_add_nc_u32 v1, v3, v1
	s_cselect_b32 s15, s38, s15
	s_cselect_b32 s36, s37, s36
	s_add_co_i32 s37, s15, 1
	v_dual_mov_b32 v51, 0 :: v_dual_lshlrev_b32 v4, 2, v12
	s_cmp_ge_u32 s36, s33
	v_mul_lo_u32 v3, s26, v1
	s_cselect_b32 s15, s37, s15
	v_add3_u32 v5, s31, v28, 1
	s_wait_alu 0xfffe
	s_xor_b32 s15, s15, s5
	v_mad_u32_u24 v35, 0x90, v1, v4
	v_lshrrev_b32_e32 v1, 4, v31
	s_mul_u64 s[24:25], s[24:25], s[28:29]
	s_mul_u64 s[36:37], s[40:41], s[28:29]
	s_sub_co_i32 s5, s15, s5
	s_wait_alu 0xfffe
	s_add_nc_u64 s[6:7], s[6:7], s[24:25]
	s_mul_i32 s24, s5, s43
	s_add_nc_u64 s[8:9], s[8:9], s[36:37]
	s_mul_i32 s36, s5, s27
	s_lshl_b32 s5, s26, 5
	v_mul_hi_u32 v7, s20, v5
	v_dual_mov_b32 v52, 0 :: v_dual_add_nc_u32 v13, v1, v28
	s_wait_alu 0xfffe
	v_dual_mov_b32 v53, 0 :: v_dual_add_nc_u32 v6, s5, v3
	v_dual_mov_b32 v61, 0xfeffffff :: v_dual_and_b32 v20, 60, v29
	s_delay_alu instid0(VALU_DEP_3) | instskip(NEXT) | instid1(VALU_DEP_3)
	v_mul_lo_u32 v1, s14, v13
	v_dual_mov_b32 v57, 0 :: v_dual_add_nc_u32 v8, s5, v6
	v_dual_mov_b32 v34, 32 :: v_dual_add_nc_u32 v9, v5, v7
	s_delay_alu instid0(VALU_DEP_4) | instskip(NEXT) | instid1(VALU_DEP_3)
	v_lshlrev_b32_e32 v16, 2, v20
	v_dual_mov_b32 v63, 0xfeffffff :: v_dual_add_nc_u32 v10, s5, v8
	s_lshl_b32 s5, s14, 4
	s_delay_alu instid0(VALU_DEP_3)
	v_lshrrev_b32_e32 v11, s21, v9
	s_wait_alu 0xfffe
	v_add_nc_u32_e32 v14, s5, v1
	v_lshl_or_b32 v42, v13, 8, v16
	v_ashrrev_i32_e32 v4, 31, v3
	v_ashrrev_i32_e32 v7, 31, v6
	v_mul_lo_u32 v15, v11, s22
	v_add_nc_u32_e32 v16, s5, v14
	v_ashrrev_i32_e32 v9, 31, v8
	v_ashrrev_i32_e32 v11, 31, v10
	v_mul_lo_u32 v41, v2, s11
	v_ashrrev_i32_e32 v2, 31, v1
	v_add_nc_u32_e32 v18, s5, v16
	v_ashrrev_i32_e32 v17, 31, v16
	v_sub_nc_u32_e32 v5, v5, v15
	v_ashrrev_i32_e32 v15, 31, v14
	v_lshlrev_b32_e32 v48, 2, v12
	v_ashrrev_i32_e32 v19, 31, v18
	v_lshlrev_b64_e32 v[6:7], 2, v[6:7]
	v_mul_lo_u32 v43, v5, s11
	v_lshlrev_b64_e32 v[4:5], 2, v[3:4]
	v_lshlrev_b64_e32 v[8:9], 2, v[8:9]
	;; [unrolled: 1-line block ×7, first 2 shown]
	v_dual_mov_b32 v55, 0 :: v_dual_add_nc_u32 v36, 0x1200, v35
	v_dual_mov_b32 v54, 0 :: v_dual_add_nc_u32 v37, 0x2400, v35
	;; [unrolled: 1-line block ×4, first 2 shown]
	v_mul_u32_u24_e32 v40, 0x90, v31
	v_add_nc_u32_e32 v44, 0x4800, v0
	v_dual_mov_b32 v64, 0 :: v_dual_add_nc_u32 v45, 0x1000, v42
	v_add_nc_u32_e32 v46, 0x2000, v42
	v_dual_mov_b32 v62, 0 :: v_dual_add_nc_u32 v47, 0x3000, v42
	v_dual_mov_b32 v60, 0xfeffffff :: v_dual_lshlrev_b32 v49, 2, v20
	v_mov_b32_e32 v58, 0
	s_ashr_i32 s25, s24, 31
	s_ashr_i32 s37, s36, 31
	s_wait_alu 0xfffe
	s_add_nc_u64 s[6:7], s[6:7], s[24:25]
	s_add_nc_u64 s[8:9], s[8:9], s[36:37]
	s_ashr_i32 s27, s26, 31
	s_ashr_i32 s15, s14, 31
	s_add_nc_u64 s[20:21], s[0:1], 0xd0
	s_mov_b32 s5, 0xbbbac73d
.LBB81_9:                               ; =>This Inner Loop Header: Depth=1
	s_ashr_i32 s11, s10, 31
	v_dual_mov_b32 v66, 0 :: v_dual_mov_b32 v75, 0
	s_wait_alu 0xfffe
	s_mul_u64 s[24:25], s[10:11], s[26:27]
	v_mov_b32_e32 v71, 0
	s_wait_alu 0xfffe
	s_lshl_b64 s[24:25], s[24:25], 2
	v_mov_b32_e32 v73, 0
	s_wait_alu 0xfffe
	s_add_nc_u64 s[24:25], s[6:7], s[24:25]
	v_mov_b32_e32 v72, 0
	s_wait_alu 0xfffe
	v_add_co_u32 v0, vcc_lo, s24, v4
	s_wait_alu 0xfffd
	v_add_co_ci_u32_e64 v1, null, s25, v5, vcc_lo
	v_add_co_u32 v2, vcc_lo, s24, v6
	s_wait_alu 0xfffd
	v_add_co_ci_u32_e64 v3, null, s25, v7, vcc_lo
	;; [unrolled: 3-line block ×8, first 2 shown]
	s_clause 0x3
	global_load_b128 v[67:70], v[0:1], off
	global_load_b128 v[76:79], v[2:3], off
	;; [unrolled: 1-line block ×4, first 2 shown]
	s_wait_loadcnt 0x3
	ds_store_b128 v35, v[67:70]
	s_wait_loadcnt 0x2
	ds_store_b128 v36, v[76:79]
	;; [unrolled: 2-line block ×4, first 2 shown]
	s_wait_dscnt 0x0
	s_barrier_signal -1
	s_barrier_wait -1
	global_inv scope:SCOPE_SE
	ds_load_b128 v[82:85], v40
	ds_load_b128 v[86:89], v39
	ds_load_b128 v[90:93], v39 offset:256
	ds_load_b128 v[94:97], v39 offset:512
	;; [unrolled: 1-line block ×6, first 2 shown]
	s_wait_dscnt 0x6
	;;#ASMSTART
	v_dot2_f32_f16 v66, v82, v86, v66
	;;#ASMEND
	;;#ASMSTART
	v_dot2_f32_f16 v66, v83, v87, v66
	;;#ASMEND
	;; [unrolled: 3-line block ×4, first 2 shown]
	s_wait_dscnt 0x5
	;;#ASMSTART
	v_dot2_f32_f16 v75, v82, v90, v75
	;;#ASMEND
	;;#ASMSTART
	v_dot2_f32_f16 v75, v83, v91, v75
	;;#ASMEND
	;; [unrolled: 3-line block ×3, first 2 shown]
	v_mov_b32_e32 v76, 0
	;;#ASMSTART
	v_dot2_f32_f16 v75, v85, v93, v75
	;;#ASMEND
	s_wait_dscnt 0x4
	;;#ASMSTART
	v_dot2_f32_f16 v71, v82, v94, v71
	;;#ASMEND
	;;#ASMSTART
	v_dot2_f32_f16 v71, v83, v95, v71
	;;#ASMEND
	v_mov_b32_e32 v67, 0
	;;#ASMSTART
	v_dot2_f32_f16 v71, v84, v96, v71
	;;#ASMEND
	;;#ASMSTART
	v_dot2_f32_f16 v71, v85, v97, v71
	;;#ASMEND
	s_wait_dscnt 0x3
	;;#ASMSTART
	v_dot2_f32_f16 v67, v82, v98, v67
	;;#ASMEND
	;;#ASMSTART
	v_dot2_f32_f16 v67, v83, v99, v67
	;;#ASMEND
	v_dual_mov_b32 v79, 0 :: v_dual_mov_b32 v68, 0
	;;#ASMSTART
	v_dot2_f32_f16 v67, v84, v100, v67
	;;#ASMEND
	;;#ASMSTART
	v_dot2_f32_f16 v67, v85, v101, v67
	;;#ASMEND
	s_wait_dscnt 0x2
	;;#ASMSTART
	v_dot2_f32_f16 v79, v102, v86, v79
	;;#ASMEND
	;;#ASMSTART
	v_dot2_f32_f16 v79, v103, v87, v79
	;;#ASMEND
	;; [unrolled: 3-line block ×14, first 2 shown]
	v_dual_mov_b32 v80, 0 :: v_dual_mov_b32 v77, 0
	;;#ASMSTART
	v_dot2_f32_f16 v68, v104, v100, v68
	;;#ASMEND
	;;#ASMSTART
	v_dot2_f32_f16 v68, v105, v101, v68
	;;#ASMEND
	s_wait_dscnt 0x1
	;;#ASMSTART
	v_dot2_f32_f16 v80, v106, v86, v80
	;;#ASMEND
	;;#ASMSTART
	v_dot2_f32_f16 v80, v107, v87, v80
	;;#ASMEND
	;; [unrolled: 3-line block ×7, first 2 shown]
	v_mov_b32_e32 v78, 0
	;;#ASMSTART
	v_dot2_f32_f16 v77, v109, v93, v77
	;;#ASMEND
	;;#ASMSTART
	v_dot2_f32_f16 v73, v106, v94, v73
	;;#ASMEND
	;; [unrolled: 3-line block ×3, first 2 shown]
	v_dual_mov_b32 v69, 0 :: v_dual_mov_b32 v74, 0
	;;#ASMSTART
	v_dot2_f32_f16 v73, v108, v96, v73
	;;#ASMEND
	;;#ASMSTART
	v_dot2_f32_f16 v73, v109, v97, v73
	;;#ASMEND
	;; [unrolled: 3-line block ×4, first 2 shown]
	v_dual_mov_b32 v81, 0 :: v_dual_mov_b32 v70, 0
	;;#ASMSTART
	v_dot2_f32_f16 v69, v108, v100, v69
	;;#ASMEND
	;;#ASMSTART
	v_dot2_f32_f16 v69, v109, v101, v69
	;;#ASMEND
	s_wait_dscnt 0x0
	;;#ASMSTART
	v_dot2_f32_f16 v81, v110, v86, v81
	;;#ASMEND
	;;#ASMSTART
	v_dot2_f32_f16 v81, v111, v87, v81
	;;#ASMEND
	;;#ASMSTART
	v_dot2_f32_f16 v81, v112, v88, v81
	;;#ASMEND
	;;#ASMSTART
	v_dot2_f32_f16 v81, v113, v89, v81
	;;#ASMEND
	;;#ASMSTART
	v_dot2_f32_f16 v78, v110, v90, v78
	;;#ASMEND
	;;#ASMSTART
	v_dot2_f32_f16 v78, v111, v91, v78
	;;#ASMEND
	;;#ASMSTART
	v_dot2_f32_f16 v78, v112, v92, v78
	;;#ASMEND
	;;#ASMSTART
	v_dot2_f32_f16 v78, v113, v93, v78
	;;#ASMEND
	;;#ASMSTART
	v_dot2_f32_f16 v74, v110, v94, v74
	;;#ASMEND
	;;#ASMSTART
	v_dot2_f32_f16 v74, v111, v95, v74
	;;#ASMEND
	;;#ASMSTART
	v_dot2_f32_f16 v74, v112, v96, v74
	;;#ASMEND
	;;#ASMSTART
	v_dot2_f32_f16 v74, v113, v97, v74
	;;#ASMEND
	;;#ASMSTART
	v_dot2_f32_f16 v70, v110, v98, v70
	;;#ASMEND
	;;#ASMSTART
	v_dot2_f32_f16 v70, v111, v99, v70
	;;#ASMEND
	;;#ASMSTART
	v_dot2_f32_f16 v70, v112, v100, v70
	;;#ASMEND
	;;#ASMSTART
	v_dot2_f32_f16 v70, v113, v101, v70
	;;#ASMEND
	ds_load_b128 v[82:85], v40 offset:16
	ds_load_b128 v[86:89], v39 offset:16
	;; [unrolled: 1-line block ×8, first 2 shown]
	s_wait_dscnt 0x6
	;;#ASMSTART
	v_dot2_f32_f16 v66, v82, v86, v66
	;;#ASMEND
	;;#ASMSTART
	v_dot2_f32_f16 v66, v83, v87, v66
	;;#ASMEND
	;;#ASMSTART
	v_dot2_f32_f16 v66, v84, v88, v66
	;;#ASMEND
	;;#ASMSTART
	v_dot2_f32_f16 v66, v85, v89, v66
	;;#ASMEND
	s_wait_dscnt 0x5
	;;#ASMSTART
	v_dot2_f32_f16 v75, v82, v90, v75
	;;#ASMEND
	;;#ASMSTART
	v_dot2_f32_f16 v75, v83, v91, v75
	;;#ASMEND
	;;#ASMSTART
	v_dot2_f32_f16 v75, v84, v92, v75
	;;#ASMEND
	;;#ASMSTART
	v_dot2_f32_f16 v75, v85, v93, v75
	;;#ASMEND
	;; [unrolled: 13-line block ×5, first 2 shown]
	;;#ASMSTART
	v_dot2_f32_f16 v76, v102, v90, v76
	;;#ASMEND
	;;#ASMSTART
	v_dot2_f32_f16 v76, v103, v91, v76
	;;#ASMEND
	;; [unrolled: 3-line block ×12, first 2 shown]
	s_wait_dscnt 0x1
	;;#ASMSTART
	v_dot2_f32_f16 v80, v106, v86, v80
	;;#ASMEND
	;;#ASMSTART
	v_dot2_f32_f16 v80, v107, v87, v80
	;;#ASMEND
	;; [unrolled: 3-line block ×16, first 2 shown]
	s_wait_dscnt 0x0
	;;#ASMSTART
	v_dot2_f32_f16 v81, v110, v86, v81
	;;#ASMEND
	;;#ASMSTART
	v_dot2_f32_f16 v81, v111, v87, v81
	;;#ASMEND
	;; [unrolled: 3-line block ×16, first 2 shown]
	ds_load_b128 v[82:85], v40 offset:32
	ds_load_b128 v[86:89], v39 offset:32
	;; [unrolled: 1-line block ×8, first 2 shown]
	s_wait_dscnt 0x6
	;;#ASMSTART
	v_dot2_f32_f16 v66, v82, v86, v66
	;;#ASMEND
	;;#ASMSTART
	v_dot2_f32_f16 v66, v83, v87, v66
	;;#ASMEND
	;;#ASMSTART
	v_dot2_f32_f16 v66, v84, v88, v66
	;;#ASMEND
	;;#ASMSTART
	v_dot2_f32_f16 v66, v85, v89, v66
	;;#ASMEND
	s_wait_dscnt 0x5
	;;#ASMSTART
	v_dot2_f32_f16 v75, v82, v90, v75
	;;#ASMEND
	;;#ASMSTART
	v_dot2_f32_f16 v75, v83, v91, v75
	;;#ASMEND
	;;#ASMSTART
	v_dot2_f32_f16 v75, v84, v92, v75
	;;#ASMEND
	;;#ASMSTART
	v_dot2_f32_f16 v75, v85, v93, v75
	;;#ASMEND
	;; [unrolled: 13-line block ×5, first 2 shown]
	;;#ASMSTART
	v_dot2_f32_f16 v76, v102, v90, v76
	;;#ASMEND
	;;#ASMSTART
	v_dot2_f32_f16 v76, v103, v91, v76
	;;#ASMEND
	;; [unrolled: 3-line block ×12, first 2 shown]
	s_wait_dscnt 0x1
	;;#ASMSTART
	v_dot2_f32_f16 v80, v106, v86, v80
	;;#ASMEND
	;;#ASMSTART
	v_dot2_f32_f16 v80, v107, v87, v80
	;;#ASMEND
	;; [unrolled: 3-line block ×16, first 2 shown]
	s_wait_dscnt 0x0
	;;#ASMSTART
	v_dot2_f32_f16 v81, v110, v86, v81
	;;#ASMEND
	;;#ASMSTART
	v_dot2_f32_f16 v81, v111, v87, v81
	;;#ASMEND
	;;#ASMSTART
	v_dot2_f32_f16 v81, v112, v88, v81
	;;#ASMEND
	;;#ASMSTART
	v_dot2_f32_f16 v81, v113, v89, v81
	;;#ASMEND
	;;#ASMSTART
	v_dot2_f32_f16 v78, v110, v90, v78
	;;#ASMEND
	;;#ASMSTART
	v_dot2_f32_f16 v78, v111, v91, v78
	;;#ASMEND
	;;#ASMSTART
	v_dot2_f32_f16 v78, v112, v92, v78
	;;#ASMEND
	;;#ASMSTART
	v_dot2_f32_f16 v78, v113, v93, v78
	;;#ASMEND
	;;#ASMSTART
	v_dot2_f32_f16 v74, v110, v94, v74
	;;#ASMEND
	;;#ASMSTART
	v_dot2_f32_f16 v74, v111, v95, v74
	;;#ASMEND
	;;#ASMSTART
	v_dot2_f32_f16 v74, v112, v96, v74
	;;#ASMEND
	;;#ASMSTART
	v_dot2_f32_f16 v74, v113, v97, v74
	;;#ASMEND
	;;#ASMSTART
	v_dot2_f32_f16 v70, v110, v98, v70
	;;#ASMEND
	;;#ASMSTART
	v_dot2_f32_f16 v70, v111, v99, v70
	;;#ASMEND
	;;#ASMSTART
	v_dot2_f32_f16 v70, v112, v100, v70
	;;#ASMEND
	;;#ASMSTART
	v_dot2_f32_f16 v70, v113, v101, v70
	;;#ASMEND
	ds_load_b128 v[82:85], v40 offset:48
	ds_load_b128 v[86:89], v39 offset:48
	;; [unrolled: 1-line block ×8, first 2 shown]
	s_wait_dscnt 0x6
	;;#ASMSTART
	v_dot2_f32_f16 v66, v82, v86, v66
	;;#ASMEND
	;;#ASMSTART
	v_dot2_f32_f16 v66, v83, v87, v66
	;;#ASMEND
	;;#ASMSTART
	v_dot2_f32_f16 v66, v84, v88, v66
	;;#ASMEND
	;;#ASMSTART
	v_dot2_f32_f16 v66, v85, v89, v66
	;;#ASMEND
	s_wait_dscnt 0x5
	;;#ASMSTART
	v_dot2_f32_f16 v75, v82, v90, v75
	;;#ASMEND
	;;#ASMSTART
	v_dot2_f32_f16 v75, v83, v91, v75
	;;#ASMEND
	;;#ASMSTART
	v_dot2_f32_f16 v75, v84, v92, v75
	;;#ASMEND
	;;#ASMSTART
	v_dot2_f32_f16 v75, v85, v93, v75
	;;#ASMEND
	;; [unrolled: 13-line block ×5, first 2 shown]
	;;#ASMSTART
	v_dot2_f32_f16 v76, v102, v90, v76
	;;#ASMEND
	;;#ASMSTART
	v_dot2_f32_f16 v76, v103, v91, v76
	;;#ASMEND
	;; [unrolled: 3-line block ×12, first 2 shown]
	s_wait_dscnt 0x1
	;;#ASMSTART
	v_dot2_f32_f16 v80, v106, v86, v80
	;;#ASMEND
	;;#ASMSTART
	v_dot2_f32_f16 v80, v107, v87, v80
	;;#ASMEND
	;; [unrolled: 3-line block ×16, first 2 shown]
	s_wait_dscnt 0x0
	;;#ASMSTART
	v_dot2_f32_f16 v81, v110, v86, v81
	;;#ASMEND
	;;#ASMSTART
	v_dot2_f32_f16 v81, v111, v87, v81
	;;#ASMEND
	;; [unrolled: 3-line block ×16, first 2 shown]
	ds_load_b128 v[82:85], v40 offset:64
	ds_load_b128 v[86:89], v39 offset:64
	;; [unrolled: 1-line block ×8, first 2 shown]
	s_wait_dscnt 0x6
	;;#ASMSTART
	v_dot2_f32_f16 v66, v82, v86, v66
	;;#ASMEND
	;;#ASMSTART
	v_dot2_f32_f16 v66, v83, v87, v66
	;;#ASMEND
	;;#ASMSTART
	v_dot2_f32_f16 v66, v84, v88, v66
	;;#ASMEND
	;;#ASMSTART
	v_dot2_f32_f16 v66, v85, v89, v66
	;;#ASMEND
	s_wait_dscnt 0x5
	;;#ASMSTART
	v_dot2_f32_f16 v75, v82, v90, v75
	;;#ASMEND
	;;#ASMSTART
	v_dot2_f32_f16 v75, v83, v91, v75
	;;#ASMEND
	;;#ASMSTART
	v_dot2_f32_f16 v75, v84, v92, v75
	;;#ASMEND
	;;#ASMSTART
	v_dot2_f32_f16 v75, v85, v93, v75
	;;#ASMEND
	s_wait_dscnt 0x4
	;;#ASMSTART
	v_dot2_f32_f16 v71, v82, v94, v71
	;;#ASMEND
	;;#ASMSTART
	v_dot2_f32_f16 v71, v83, v95, v71
	;;#ASMEND
	;;#ASMSTART
	v_dot2_f32_f16 v71, v84, v96, v71
	;;#ASMEND
	;;#ASMSTART
	v_dot2_f32_f16 v71, v85, v97, v71
	;;#ASMEND
	s_wait_dscnt 0x3
	;;#ASMSTART
	v_dot2_f32_f16 v67, v82, v98, v67
	;;#ASMEND
	;;#ASMSTART
	v_dot2_f32_f16 v67, v83, v99, v67
	;;#ASMEND
	;;#ASMSTART
	v_dot2_f32_f16 v67, v84, v100, v67
	;;#ASMEND
	;;#ASMSTART
	v_dot2_f32_f16 v67, v85, v101, v67
	;;#ASMEND
	s_wait_dscnt 0x2
	;;#ASMSTART
	v_dot2_f32_f16 v79, v102, v86, v79
	;;#ASMEND
	;;#ASMSTART
	v_dot2_f32_f16 v79, v103, v87, v79
	;;#ASMEND
	;;#ASMSTART
	v_dot2_f32_f16 v79, v104, v88, v79
	;;#ASMEND
	;;#ASMSTART
	v_dot2_f32_f16 v79, v105, v89, v79
	;;#ASMEND
	;;#ASMSTART
	v_dot2_f32_f16 v76, v102, v90, v76
	;;#ASMEND
	;;#ASMSTART
	v_dot2_f32_f16 v76, v103, v91, v76
	;;#ASMEND
	;; [unrolled: 3-line block ×12, first 2 shown]
	s_wait_dscnt 0x1
	;;#ASMSTART
	v_dot2_f32_f16 v80, v106, v86, v80
	;;#ASMEND
	;;#ASMSTART
	v_dot2_f32_f16 v80, v107, v87, v80
	;;#ASMEND
	;; [unrolled: 3-line block ×16, first 2 shown]
	s_wait_dscnt 0x0
	;;#ASMSTART
	v_dot2_f32_f16 v81, v110, v86, v81
	;;#ASMEND
	;;#ASMSTART
	v_dot2_f32_f16 v81, v111, v87, v81
	;;#ASMEND
	;;#ASMSTART
	v_dot2_f32_f16 v81, v112, v88, v81
	;;#ASMEND
	;;#ASMSTART
	v_dot2_f32_f16 v81, v113, v89, v81
	;;#ASMEND
	;;#ASMSTART
	v_dot2_f32_f16 v78, v110, v90, v78
	;;#ASMEND
	;;#ASMSTART
	v_dot2_f32_f16 v78, v111, v91, v78
	;;#ASMEND
	;;#ASMSTART
	v_dot2_f32_f16 v78, v112, v92, v78
	;;#ASMEND
	;;#ASMSTART
	v_dot2_f32_f16 v78, v113, v93, v78
	;;#ASMEND
	;;#ASMSTART
	v_dot2_f32_f16 v74, v110, v94, v74
	;;#ASMEND
	;;#ASMSTART
	v_dot2_f32_f16 v74, v111, v95, v74
	;;#ASMEND
	;;#ASMSTART
	v_dot2_f32_f16 v74, v112, v96, v74
	;;#ASMEND
	;;#ASMSTART
	v_dot2_f32_f16 v74, v113, v97, v74
	;;#ASMEND
	;;#ASMSTART
	v_dot2_f32_f16 v70, v110, v98, v70
	;;#ASMEND
	;;#ASMSTART
	v_dot2_f32_f16 v70, v111, v99, v70
	;;#ASMEND
	;;#ASMSTART
	v_dot2_f32_f16 v70, v112, v100, v70
	;;#ASMEND
	;;#ASMSTART
	v_dot2_f32_f16 v70, v113, v101, v70
	;;#ASMEND
	ds_load_b128 v[82:85], v40 offset:80
	ds_load_b128 v[86:89], v39 offset:80
	;; [unrolled: 1-line block ×8, first 2 shown]
	s_wait_dscnt 0x6
	;;#ASMSTART
	v_dot2_f32_f16 v66, v82, v86, v66
	;;#ASMEND
	;;#ASMSTART
	v_dot2_f32_f16 v66, v83, v87, v66
	;;#ASMEND
	;;#ASMSTART
	v_dot2_f32_f16 v66, v84, v88, v66
	;;#ASMEND
	;;#ASMSTART
	v_dot2_f32_f16 v66, v85, v89, v66
	;;#ASMEND
	s_wait_dscnt 0x5
	;;#ASMSTART
	v_dot2_f32_f16 v75, v82, v90, v75
	;;#ASMEND
	;;#ASMSTART
	v_dot2_f32_f16 v75, v83, v91, v75
	;;#ASMEND
	;;#ASMSTART
	v_dot2_f32_f16 v75, v84, v92, v75
	;;#ASMEND
	;;#ASMSTART
	v_dot2_f32_f16 v75, v85, v93, v75
	;;#ASMEND
	;; [unrolled: 13-line block ×5, first 2 shown]
	;;#ASMSTART
	v_dot2_f32_f16 v76, v102, v90, v76
	;;#ASMEND
	;;#ASMSTART
	v_dot2_f32_f16 v76, v103, v91, v76
	;;#ASMEND
	;; [unrolled: 3-line block ×12, first 2 shown]
	s_wait_dscnt 0x1
	;;#ASMSTART
	v_dot2_f32_f16 v80, v106, v86, v80
	;;#ASMEND
	;;#ASMSTART
	v_dot2_f32_f16 v80, v107, v87, v80
	;;#ASMEND
	;; [unrolled: 3-line block ×16, first 2 shown]
	s_wait_dscnt 0x0
	;;#ASMSTART
	v_dot2_f32_f16 v81, v110, v86, v81
	;;#ASMEND
	;;#ASMSTART
	v_dot2_f32_f16 v81, v111, v87, v81
	;;#ASMEND
	;; [unrolled: 3-line block ×16, first 2 shown]
	ds_load_b128 v[82:85], v40 offset:96
	ds_load_b128 v[86:89], v39 offset:96
	;; [unrolled: 1-line block ×8, first 2 shown]
	s_wait_dscnt 0x6
	;;#ASMSTART
	v_dot2_f32_f16 v66, v82, v86, v66
	;;#ASMEND
	;;#ASMSTART
	v_dot2_f32_f16 v66, v83, v87, v66
	;;#ASMEND
	;;#ASMSTART
	v_dot2_f32_f16 v66, v84, v88, v66
	;;#ASMEND
	;;#ASMSTART
	v_dot2_f32_f16 v66, v85, v89, v66
	;;#ASMEND
	s_wait_dscnt 0x5
	;;#ASMSTART
	v_dot2_f32_f16 v75, v82, v90, v75
	;;#ASMEND
	;;#ASMSTART
	v_dot2_f32_f16 v75, v83, v91, v75
	;;#ASMEND
	;;#ASMSTART
	v_dot2_f32_f16 v75, v84, v92, v75
	;;#ASMEND
	;;#ASMSTART
	v_dot2_f32_f16 v75, v85, v93, v75
	;;#ASMEND
	;; [unrolled: 13-line block ×5, first 2 shown]
	;;#ASMSTART
	v_dot2_f32_f16 v76, v102, v90, v76
	;;#ASMEND
	;;#ASMSTART
	v_dot2_f32_f16 v76, v103, v91, v76
	;;#ASMEND
	;; [unrolled: 3-line block ×12, first 2 shown]
	s_wait_dscnt 0x1
	;;#ASMSTART
	v_dot2_f32_f16 v80, v106, v86, v80
	;;#ASMEND
	;;#ASMSTART
	v_dot2_f32_f16 v80, v107, v87, v80
	;;#ASMEND
	;; [unrolled: 3-line block ×16, first 2 shown]
	s_wait_dscnt 0x0
	;;#ASMSTART
	v_dot2_f32_f16 v81, v110, v86, v81
	;;#ASMEND
	;;#ASMSTART
	v_dot2_f32_f16 v81, v111, v87, v81
	;;#ASMEND
	;; [unrolled: 3-line block ×16, first 2 shown]
	ds_load_b128 v[82:85], v40 offset:112
	ds_load_b128 v[86:89], v39 offset:112
	;; [unrolled: 1-line block ×8, first 2 shown]
	s_wait_dscnt 0x6
	;;#ASMSTART
	v_dot2_f32_f16 v66, v82, v86, v66
	;;#ASMEND
	;;#ASMSTART
	v_dot2_f32_f16 v66, v83, v87, v66
	;;#ASMEND
	;;#ASMSTART
	v_dot2_f32_f16 v66, v84, v88, v66
	;;#ASMEND
	;;#ASMSTART
	v_dot2_f32_f16 v66, v85, v89, v66
	;;#ASMEND
	s_wait_dscnt 0x5
	;;#ASMSTART
	v_dot2_f32_f16 v75, v82, v90, v75
	;;#ASMEND
	;;#ASMSTART
	v_dot2_f32_f16 v75, v83, v91, v75
	;;#ASMEND
	;;#ASMSTART
	v_dot2_f32_f16 v75, v84, v92, v75
	;;#ASMEND
	;;#ASMSTART
	v_dot2_f32_f16 v75, v85, v93, v75
	;;#ASMEND
	s_wait_dscnt 0x4
	;;#ASMSTART
	v_dot2_f32_f16 v71, v82, v94, v71
	;;#ASMEND
	;;#ASMSTART
	v_dot2_f32_f16 v71, v83, v95, v71
	;;#ASMEND
	;;#ASMSTART
	v_dot2_f32_f16 v71, v84, v96, v71
	;;#ASMEND
	;;#ASMSTART
	v_dot2_f32_f16 v71, v85, v97, v71
	;;#ASMEND
	s_wait_dscnt 0x3
	;;#ASMSTART
	v_dot2_f32_f16 v67, v82, v98, v67
	;;#ASMEND
	;;#ASMSTART
	v_dot2_f32_f16 v67, v83, v99, v67
	;;#ASMEND
	;;#ASMSTART
	v_dot2_f32_f16 v67, v84, v100, v67
	;;#ASMEND
	;;#ASMSTART
	v_dot2_f32_f16 v67, v85, v101, v67
	;;#ASMEND
	s_wait_dscnt 0x2
	;;#ASMSTART
	v_dot2_f32_f16 v79, v102, v86, v79
	;;#ASMEND
	;;#ASMSTART
	v_dot2_f32_f16 v79, v103, v87, v79
	;;#ASMEND
	;;#ASMSTART
	v_dot2_f32_f16 v79, v104, v88, v79
	;;#ASMEND
	;;#ASMSTART
	v_dot2_f32_f16 v79, v105, v89, v79
	;;#ASMEND
	;;#ASMSTART
	v_dot2_f32_f16 v76, v102, v90, v76
	;;#ASMEND
	;;#ASMSTART
	v_dot2_f32_f16 v76, v103, v91, v76
	;;#ASMEND
	;; [unrolled: 3-line block ×12, first 2 shown]
	s_wait_dscnt 0x1
	;;#ASMSTART
	v_dot2_f32_f16 v80, v106, v86, v80
	;;#ASMEND
	;;#ASMSTART
	v_dot2_f32_f16 v80, v107, v87, v80
	;;#ASMEND
	;; [unrolled: 3-line block ×16, first 2 shown]
	s_wait_dscnt 0x0
	;;#ASMSTART
	v_dot2_f32_f16 v81, v110, v86, v81
	;;#ASMEND
	;;#ASMSTART
	v_dot2_f32_f16 v81, v111, v87, v81
	;;#ASMEND
	;; [unrolled: 3-line block ×16, first 2 shown]
	s_wait_loadcnt 0x0
	s_barrier_signal -1
	s_barrier_wait -1
	global_inv scope:SCOPE_SE
	s_clause 0x3
	global_load_b128 v[82:85], v[0:1], off offset:128
	global_load_b128 v[0:3], v[2:3], off offset:128
	;; [unrolled: 1-line block ×4, first 2 shown]
	s_wait_loadcnt 0x3
	ds_store_b128 v35, v[82:85]
	s_wait_loadcnt 0x2
	ds_store_b128 v36, v[0:3]
	;; [unrolled: 2-line block ×4, first 2 shown]
	s_wait_dscnt 0x0
	s_barrier_signal -1
	s_barrier_wait -1
	global_inv scope:SCOPE_SE
	ds_load_b128 v[0:3], v40
	ds_load_b128 v[20:23], v39 offset:128
	ds_load_b128 v[82:85], v39 offset:384
	;; [unrolled: 1-line block ×7, first 2 shown]
	s_wait_dscnt 0x6
	;;#ASMSTART
	v_dot2_f32_f16 v66, v0, v20, v66
	;;#ASMEND
	;;#ASMSTART
	v_dot2_f32_f16 v66, v1, v21, v66
	;;#ASMEND
	;;#ASMSTART
	v_dot2_f32_f16 v66, v2, v22, v66
	;;#ASMEND
	;;#ASMSTART
	v_dot2_f32_f16 v66, v3, v23, v66
	;;#ASMEND
	s_wait_dscnt 0x5
	;;#ASMSTART
	v_dot2_f32_f16 v75, v0, v82, v75
	;;#ASMEND
	;;#ASMSTART
	v_dot2_f32_f16 v75, v1, v83, v75
	;;#ASMEND
	;;#ASMSTART
	v_dot2_f32_f16 v75, v2, v84, v75
	;;#ASMEND
	;;#ASMSTART
	v_dot2_f32_f16 v75, v3, v85, v75
	;;#ASMEND
	;; [unrolled: 13-line block ×5, first 2 shown]
	;;#ASMSTART
	v_dot2_f32_f16 v76, v94, v82, v76
	;;#ASMEND
	;;#ASMSTART
	v_dot2_f32_f16 v76, v95, v83, v76
	;;#ASMEND
	;; [unrolled: 3-line block ×12, first 2 shown]
	s_wait_dscnt 0x1
	;;#ASMSTART
	v_dot2_f32_f16 v80, v98, v20, v80
	;;#ASMEND
	;;#ASMSTART
	v_dot2_f32_f16 v80, v99, v21, v80
	;;#ASMEND
	;; [unrolled: 3-line block ×16, first 2 shown]
	s_wait_dscnt 0x0
	;;#ASMSTART
	v_dot2_f32_f16 v81, v102, v20, v81
	;;#ASMEND
	;;#ASMSTART
	v_dot2_f32_f16 v81, v103, v21, v81
	;;#ASMEND
	;; [unrolled: 3-line block ×16, first 2 shown]
	ds_load_b128 v[0:3], v40 offset:16
	ds_load_b128 v[20:23], v39 offset:144
	;; [unrolled: 1-line block ×8, first 2 shown]
	s_wait_dscnt 0x6
	;;#ASMSTART
	v_dot2_f32_f16 v66, v0, v20, v66
	;;#ASMEND
	;;#ASMSTART
	v_dot2_f32_f16 v66, v1, v21, v66
	;;#ASMEND
	;;#ASMSTART
	v_dot2_f32_f16 v66, v2, v22, v66
	;;#ASMEND
	;;#ASMSTART
	v_dot2_f32_f16 v66, v3, v23, v66
	;;#ASMEND
	s_wait_dscnt 0x5
	;;#ASMSTART
	v_dot2_f32_f16 v75, v0, v82, v75
	;;#ASMEND
	;;#ASMSTART
	v_dot2_f32_f16 v75, v1, v83, v75
	;;#ASMEND
	;;#ASMSTART
	v_dot2_f32_f16 v75, v2, v84, v75
	;;#ASMEND
	;;#ASMSTART
	v_dot2_f32_f16 v75, v3, v85, v75
	;;#ASMEND
	;; [unrolled: 13-line block ×5, first 2 shown]
	;;#ASMSTART
	v_dot2_f32_f16 v76, v94, v82, v76
	;;#ASMEND
	;;#ASMSTART
	v_dot2_f32_f16 v76, v95, v83, v76
	;;#ASMEND
	;; [unrolled: 3-line block ×12, first 2 shown]
	s_wait_dscnt 0x1
	;;#ASMSTART
	v_dot2_f32_f16 v80, v98, v20, v80
	;;#ASMEND
	;;#ASMSTART
	v_dot2_f32_f16 v80, v99, v21, v80
	;;#ASMEND
	;;#ASMSTART
	v_dot2_f32_f16 v80, v100, v22, v80
	;;#ASMEND
	;;#ASMSTART
	v_dot2_f32_f16 v80, v101, v23, v80
	;;#ASMEND
	;;#ASMSTART
	v_dot2_f32_f16 v77, v98, v82, v77
	;;#ASMEND
	;;#ASMSTART
	v_dot2_f32_f16 v77, v99, v83, v77
	;;#ASMEND
	;;#ASMSTART
	v_dot2_f32_f16 v77, v100, v84, v77
	;;#ASMEND
	;;#ASMSTART
	v_dot2_f32_f16 v77, v101, v85, v77
	;;#ASMEND
	;;#ASMSTART
	v_dot2_f32_f16 v73, v98, v86, v73
	;;#ASMEND
	;;#ASMSTART
	v_dot2_f32_f16 v73, v99, v87, v73
	;;#ASMEND
	;;#ASMSTART
	v_dot2_f32_f16 v73, v100, v88, v73
	;;#ASMEND
	;;#ASMSTART
	v_dot2_f32_f16 v73, v101, v89, v73
	;;#ASMEND
	;;#ASMSTART
	v_dot2_f32_f16 v69, v98, v90, v69
	;;#ASMEND
	;;#ASMSTART
	v_dot2_f32_f16 v69, v99, v91, v69
	;;#ASMEND
	;;#ASMSTART
	v_dot2_f32_f16 v69, v100, v92, v69
	;;#ASMEND
	;;#ASMSTART
	v_dot2_f32_f16 v69, v101, v93, v69
	;;#ASMEND
	s_wait_dscnt 0x0
	;;#ASMSTART
	v_dot2_f32_f16 v81, v102, v20, v81
	;;#ASMEND
	;;#ASMSTART
	v_dot2_f32_f16 v81, v103, v21, v81
	;;#ASMEND
	;; [unrolled: 3-line block ×16, first 2 shown]
	ds_load_b128 v[0:3], v40 offset:32
	ds_load_b128 v[20:23], v39 offset:160
	;; [unrolled: 1-line block ×8, first 2 shown]
	s_wait_dscnt 0x6
	;;#ASMSTART
	v_dot2_f32_f16 v66, v0, v20, v66
	;;#ASMEND
	;;#ASMSTART
	v_dot2_f32_f16 v66, v1, v21, v66
	;;#ASMEND
	;;#ASMSTART
	v_dot2_f32_f16 v66, v2, v22, v66
	;;#ASMEND
	;;#ASMSTART
	v_dot2_f32_f16 v66, v3, v23, v66
	;;#ASMEND
	s_wait_dscnt 0x5
	;;#ASMSTART
	v_dot2_f32_f16 v75, v0, v82, v75
	;;#ASMEND
	;;#ASMSTART
	v_dot2_f32_f16 v75, v1, v83, v75
	;;#ASMEND
	;;#ASMSTART
	v_dot2_f32_f16 v75, v2, v84, v75
	;;#ASMEND
	;;#ASMSTART
	v_dot2_f32_f16 v75, v3, v85, v75
	;;#ASMEND
	;; [unrolled: 13-line block ×5, first 2 shown]
	;;#ASMSTART
	v_dot2_f32_f16 v76, v94, v82, v76
	;;#ASMEND
	;;#ASMSTART
	v_dot2_f32_f16 v76, v95, v83, v76
	;;#ASMEND
	;; [unrolled: 3-line block ×12, first 2 shown]
	s_wait_dscnt 0x1
	;;#ASMSTART
	v_dot2_f32_f16 v80, v98, v20, v80
	;;#ASMEND
	;;#ASMSTART
	v_dot2_f32_f16 v80, v99, v21, v80
	;;#ASMEND
	;; [unrolled: 3-line block ×16, first 2 shown]
	s_wait_dscnt 0x0
	;;#ASMSTART
	v_dot2_f32_f16 v81, v102, v20, v81
	;;#ASMEND
	;;#ASMSTART
	v_dot2_f32_f16 v81, v103, v21, v81
	;;#ASMEND
	;; [unrolled: 3-line block ×16, first 2 shown]
	ds_load_b128 v[0:3], v40 offset:48
	ds_load_b128 v[20:23], v39 offset:176
	;; [unrolled: 1-line block ×8, first 2 shown]
	s_wait_dscnt 0x6
	;;#ASMSTART
	v_dot2_f32_f16 v66, v0, v20, v66
	;;#ASMEND
	;;#ASMSTART
	v_dot2_f32_f16 v66, v1, v21, v66
	;;#ASMEND
	;;#ASMSTART
	v_dot2_f32_f16 v66, v2, v22, v66
	;;#ASMEND
	;;#ASMSTART
	v_dot2_f32_f16 v66, v3, v23, v66
	;;#ASMEND
	s_wait_dscnt 0x5
	;;#ASMSTART
	v_dot2_f32_f16 v75, v0, v82, v75
	;;#ASMEND
	;;#ASMSTART
	v_dot2_f32_f16 v75, v1, v83, v75
	;;#ASMEND
	;;#ASMSTART
	v_dot2_f32_f16 v75, v2, v84, v75
	;;#ASMEND
	;;#ASMSTART
	v_dot2_f32_f16 v75, v3, v85, v75
	;;#ASMEND
	;; [unrolled: 13-line block ×5, first 2 shown]
	;;#ASMSTART
	v_dot2_f32_f16 v76, v94, v82, v76
	;;#ASMEND
	;;#ASMSTART
	v_dot2_f32_f16 v76, v95, v83, v76
	;;#ASMEND
	;; [unrolled: 3-line block ×12, first 2 shown]
	s_wait_dscnt 0x1
	;;#ASMSTART
	v_dot2_f32_f16 v80, v98, v20, v80
	;;#ASMEND
	;;#ASMSTART
	v_dot2_f32_f16 v80, v99, v21, v80
	;;#ASMEND
	;; [unrolled: 3-line block ×16, first 2 shown]
	s_wait_dscnt 0x0
	;;#ASMSTART
	v_dot2_f32_f16 v81, v102, v20, v81
	;;#ASMEND
	;;#ASMSTART
	v_dot2_f32_f16 v81, v103, v21, v81
	;;#ASMEND
	;; [unrolled: 3-line block ×16, first 2 shown]
	ds_load_b128 v[0:3], v40 offset:64
	ds_load_b128 v[20:23], v39 offset:192
	;; [unrolled: 1-line block ×8, first 2 shown]
	s_wait_dscnt 0x6
	;;#ASMSTART
	v_dot2_f32_f16 v66, v0, v20, v66
	;;#ASMEND
	;;#ASMSTART
	v_dot2_f32_f16 v66, v1, v21, v66
	;;#ASMEND
	;;#ASMSTART
	v_dot2_f32_f16 v66, v2, v22, v66
	;;#ASMEND
	;;#ASMSTART
	v_dot2_f32_f16 v66, v3, v23, v66
	;;#ASMEND
	s_wait_dscnt 0x5
	;;#ASMSTART
	v_dot2_f32_f16 v75, v0, v82, v75
	;;#ASMEND
	;;#ASMSTART
	v_dot2_f32_f16 v75, v1, v83, v75
	;;#ASMEND
	;;#ASMSTART
	v_dot2_f32_f16 v75, v2, v84, v75
	;;#ASMEND
	;;#ASMSTART
	v_dot2_f32_f16 v75, v3, v85, v75
	;;#ASMEND
	s_wait_dscnt 0x4
	;;#ASMSTART
	v_dot2_f32_f16 v71, v0, v86, v71
	;;#ASMEND
	;;#ASMSTART
	v_dot2_f32_f16 v71, v1, v87, v71
	;;#ASMEND
	;;#ASMSTART
	v_dot2_f32_f16 v71, v2, v88, v71
	;;#ASMEND
	;;#ASMSTART
	v_dot2_f32_f16 v71, v3, v89, v71
	;;#ASMEND
	s_wait_dscnt 0x3
	;;#ASMSTART
	v_dot2_f32_f16 v67, v0, v90, v67
	;;#ASMEND
	;;#ASMSTART
	v_dot2_f32_f16 v67, v1, v91, v67
	;;#ASMEND
	;;#ASMSTART
	v_dot2_f32_f16 v67, v2, v92, v67
	;;#ASMEND
	;;#ASMSTART
	v_dot2_f32_f16 v67, v3, v93, v67
	;;#ASMEND
	s_wait_dscnt 0x2
	;;#ASMSTART
	v_dot2_f32_f16 v79, v94, v20, v79
	;;#ASMEND
	;;#ASMSTART
	v_dot2_f32_f16 v79, v95, v21, v79
	;;#ASMEND
	;;#ASMSTART
	v_dot2_f32_f16 v79, v96, v22, v79
	;;#ASMEND
	;;#ASMSTART
	v_dot2_f32_f16 v79, v97, v23, v79
	;;#ASMEND
	;;#ASMSTART
	v_dot2_f32_f16 v76, v94, v82, v76
	;;#ASMEND
	;;#ASMSTART
	v_dot2_f32_f16 v76, v95, v83, v76
	;;#ASMEND
	;; [unrolled: 3-line block ×12, first 2 shown]
	s_wait_dscnt 0x1
	;;#ASMSTART
	v_dot2_f32_f16 v80, v98, v20, v80
	;;#ASMEND
	;;#ASMSTART
	v_dot2_f32_f16 v80, v99, v21, v80
	;;#ASMEND
	;; [unrolled: 3-line block ×16, first 2 shown]
	s_wait_dscnt 0x0
	;;#ASMSTART
	v_dot2_f32_f16 v81, v102, v20, v81
	;;#ASMEND
	;;#ASMSTART
	v_dot2_f32_f16 v81, v103, v21, v81
	;;#ASMEND
	;; [unrolled: 3-line block ×16, first 2 shown]
	ds_load_b128 v[0:3], v40 offset:80
	ds_load_b128 v[20:23], v39 offset:208
	ds_load_b128 v[82:85], v39 offset:464
	ds_load_b128 v[86:89], v39 offset:720
	ds_load_b128 v[90:93], v39 offset:976
	ds_load_b128 v[94:97], v40 offset:4688
	ds_load_b128 v[98:101], v40 offset:9296
	ds_load_b128 v[102:105], v40 offset:13904
	s_wait_dscnt 0x6
	;;#ASMSTART
	v_dot2_f32_f16 v66, v0, v20, v66
	;;#ASMEND
	;;#ASMSTART
	v_dot2_f32_f16 v66, v1, v21, v66
	;;#ASMEND
	;;#ASMSTART
	v_dot2_f32_f16 v66, v2, v22, v66
	;;#ASMEND
	;;#ASMSTART
	v_dot2_f32_f16 v66, v3, v23, v66
	;;#ASMEND
	s_wait_dscnt 0x5
	;;#ASMSTART
	v_dot2_f32_f16 v75, v0, v82, v75
	;;#ASMEND
	;;#ASMSTART
	v_dot2_f32_f16 v75, v1, v83, v75
	;;#ASMEND
	;;#ASMSTART
	v_dot2_f32_f16 v75, v2, v84, v75
	;;#ASMEND
	;;#ASMSTART
	v_dot2_f32_f16 v75, v3, v85, v75
	;;#ASMEND
	;; [unrolled: 13-line block ×5, first 2 shown]
	;;#ASMSTART
	v_dot2_f32_f16 v76, v94, v82, v76
	;;#ASMEND
	;;#ASMSTART
	v_dot2_f32_f16 v76, v95, v83, v76
	;;#ASMEND
	;; [unrolled: 3-line block ×12, first 2 shown]
	s_wait_dscnt 0x1
	;;#ASMSTART
	v_dot2_f32_f16 v80, v98, v20, v80
	;;#ASMEND
	;;#ASMSTART
	v_dot2_f32_f16 v80, v99, v21, v80
	;;#ASMEND
	;; [unrolled: 3-line block ×16, first 2 shown]
	s_wait_dscnt 0x0
	;;#ASMSTART
	v_dot2_f32_f16 v81, v102, v20, v81
	;;#ASMEND
	;;#ASMSTART
	v_dot2_f32_f16 v81, v103, v21, v81
	;;#ASMEND
	;; [unrolled: 3-line block ×16, first 2 shown]
	ds_load_b128 v[0:3], v40 offset:96
	ds_load_b128 v[20:23], v39 offset:224
	;; [unrolled: 1-line block ×8, first 2 shown]
	s_wait_dscnt 0x6
	;;#ASMSTART
	v_dot2_f32_f16 v66, v0, v20, v66
	;;#ASMEND
	;;#ASMSTART
	v_dot2_f32_f16 v66, v1, v21, v66
	;;#ASMEND
	;;#ASMSTART
	v_dot2_f32_f16 v66, v2, v22, v66
	;;#ASMEND
	;;#ASMSTART
	v_dot2_f32_f16 v66, v3, v23, v66
	;;#ASMEND
	s_wait_dscnt 0x5
	;;#ASMSTART
	v_dot2_f32_f16 v75, v0, v82, v75
	;;#ASMEND
	;;#ASMSTART
	v_dot2_f32_f16 v75, v1, v83, v75
	;;#ASMEND
	;;#ASMSTART
	v_dot2_f32_f16 v75, v2, v84, v75
	;;#ASMEND
	;;#ASMSTART
	v_dot2_f32_f16 v75, v3, v85, v75
	;;#ASMEND
	;; [unrolled: 13-line block ×5, first 2 shown]
	;;#ASMSTART
	v_dot2_f32_f16 v76, v94, v82, v76
	;;#ASMEND
	;;#ASMSTART
	v_dot2_f32_f16 v76, v95, v83, v76
	;;#ASMEND
	;; [unrolled: 3-line block ×12, first 2 shown]
	s_wait_dscnt 0x1
	;;#ASMSTART
	v_dot2_f32_f16 v80, v98, v20, v80
	;;#ASMEND
	;;#ASMSTART
	v_dot2_f32_f16 v80, v99, v21, v80
	;;#ASMEND
	;; [unrolled: 3-line block ×16, first 2 shown]
	s_wait_dscnt 0x0
	;;#ASMSTART
	v_dot2_f32_f16 v81, v102, v20, v81
	;;#ASMEND
	;;#ASMSTART
	v_dot2_f32_f16 v81, v103, v21, v81
	;;#ASMEND
	;; [unrolled: 3-line block ×16, first 2 shown]
	ds_load_b128 v[0:3], v40 offset:112
	ds_load_b128 v[20:23], v39 offset:240
	;; [unrolled: 1-line block ×8, first 2 shown]
	s_wait_dscnt 0x6
	;;#ASMSTART
	v_dot2_f32_f16 v66, v0, v20, v66
	;;#ASMEND
	;;#ASMSTART
	v_dot2_f32_f16 v66, v1, v21, v66
	;;#ASMEND
	;;#ASMSTART
	v_dot2_f32_f16 v66, v2, v22, v66
	;;#ASMEND
	;;#ASMSTART
	v_dot2_f32_f16 v66, v3, v23, v66
	;;#ASMEND
	s_wait_dscnt 0x5
	;;#ASMSTART
	v_dot2_f32_f16 v75, v0, v82, v75
	;;#ASMEND
	;;#ASMSTART
	v_dot2_f32_f16 v75, v1, v83, v75
	;;#ASMEND
	;;#ASMSTART
	v_dot2_f32_f16 v75, v2, v84, v75
	;;#ASMEND
	;;#ASMSTART
	v_dot2_f32_f16 v75, v3, v85, v75
	;;#ASMEND
	;; [unrolled: 13-line block ×5, first 2 shown]
	;;#ASMSTART
	v_dot2_f32_f16 v76, v94, v82, v76
	;;#ASMEND
	;;#ASMSTART
	v_dot2_f32_f16 v76, v95, v83, v76
	;;#ASMEND
	;; [unrolled: 3-line block ×12, first 2 shown]
	s_wait_dscnt 0x1
	;;#ASMSTART
	v_dot2_f32_f16 v80, v98, v20, v80
	;;#ASMEND
	;;#ASMSTART
	v_dot2_f32_f16 v80, v99, v21, v80
	;;#ASMEND
	;; [unrolled: 3-line block ×16, first 2 shown]
	s_wait_dscnt 0x0
	;;#ASMSTART
	v_dot2_f32_f16 v81, v102, v20, v81
	;;#ASMEND
	;;#ASMSTART
	v_dot2_f32_f16 v81, v103, v21, v81
	;;#ASMEND
	;; [unrolled: 3-line block ×9, first 2 shown]
	v_cmp_ngt_f32_e64 s24, 0x3f200000, |v66|
	;;#ASMSTART
	v_dot2_f32_f16 v74, v103, v87, v74
	;;#ASMEND
	;;#ASMSTART
	v_dot2_f32_f16 v74, v104, v88, v74
	;;#ASMEND
	;; [unrolled: 3-line block ×7, first 2 shown]
                                        ; implicit-def: $vgpr2
	s_and_saveexec_b32 s25, s24
	s_wait_alu 0xfffe
	s_xor_b32 s24, exec_lo, s25
	s_cbranch_execz .LBB81_11
; %bb.10:                               ;   in Loop: Header=BB81_9 Depth=1
	v_add_f32_e64 v0, |v66|, |v66|
	s_delay_alu instid0(VALU_DEP_1) | instskip(SKIP_1) | instid1(VALU_DEP_2)
	v_mul_f32_e32 v1, 0x3fb8aa3b, v0
	v_cmp_ngt_f32_e32 vcc_lo, 0xc2ce8ed0, v0
	v_rndne_f32_e32 v2, v1
	v_fma_f32 v3, 0x3fb8aa3b, v0, -v1
	s_delay_alu instid0(VALU_DEP_2) | instskip(NEXT) | instid1(VALU_DEP_2)
	v_sub_f32_e32 v1, v1, v2
	v_fmac_f32_e32 v3, 0x32a5705f, v0
	v_cvt_i32_f32_e32 v2, v2
	s_delay_alu instid0(VALU_DEP_2) | instskip(NEXT) | instid1(VALU_DEP_1)
	v_add_f32_e32 v1, v1, v3
	v_exp_f32_e32 v1, v1
	s_delay_alu instid0(TRANS32_DEP_1) | instskip(SKIP_1) | instid1(VALU_DEP_1)
	v_ldexp_f32 v1, v1, v2
	s_wait_alu 0xfffd
	v_cndmask_b32_e32 v1, 0, v1, vcc_lo
	v_cmp_nlt_f32_e32 vcc_lo, 0x42b17218, v0
	s_wait_alu 0xfffd
	s_delay_alu instid0(VALU_DEP_2) | instskip(NEXT) | instid1(VALU_DEP_1)
	v_cndmask_b32_e32 v0, 0x7f800000, v1, vcc_lo
	v_add_f32_e32 v0, 1.0, v0
	s_delay_alu instid0(VALU_DEP_1) | instskip(NEXT) | instid1(TRANS32_DEP_1)
	v_rcp_f32_e32 v0, v0
	v_fma_f32 v2, v0, -2.0, 1.0
.LBB81_11:                              ;   in Loop: Header=BB81_9 Depth=1
	s_wait_alu 0xfffe
	s_and_not1_saveexec_b32 s24, s24
	s_cbranch_execz .LBB81_13
; %bb.12:                               ;   in Loop: Header=BB81_9 Depth=1
	v_mul_f32_e32 v0, v66, v66
	s_delay_alu instid0(VALU_DEP_1) | instskip(NEXT) | instid1(VALU_DEP_1)
	v_fmaak_f32 v1, s5, v0, 0x3ca908c9
	v_fmaak_f32 v1, v0, v1, 0xbd5c1c4e
	s_delay_alu instid0(VALU_DEP_1) | instskip(NEXT) | instid1(VALU_DEP_1)
	v_fmaak_f32 v1, v0, v1, 0x3e088382
	v_fmaak_f32 v1, v0, v1, 0xbeaaaa99
	s_delay_alu instid0(VALU_DEP_1) | instskip(NEXT) | instid1(VALU_DEP_1)
	v_mul_f32_e64 v1, |v66|, v1
	v_fma_f32 v2, v0, v1, |v66|
.LBB81_13:                              ;   in Loop: Header=BB81_9 Depth=1
	s_wait_alu 0xfffe
	s_or_b32 exec_lo, exec_lo, s24
	v_add_nc_u32_e32 v90, s10, v31
	v_cmp_ngt_f32_e64 s24, 0x3f200000, |v79|
                                        ; implicit-def: $vgpr3
	s_delay_alu instid0(VALU_DEP_2) | instskip(NEXT) | instid1(VALU_DEP_1)
	v_add_nc_u32_e32 v0, v90, v41
	v_ashrrev_i32_e32 v1, 31, v0
	s_delay_alu instid0(VALU_DEP_1) | instskip(NEXT) | instid1(VALU_DEP_1)
	v_lshlrev_b64_e32 v[0:1], 1, v[0:1]
	v_add_co_u32 v0, vcc_lo, s34, v0
	s_wait_alu 0xfffd
	s_delay_alu instid0(VALU_DEP_2)
	v_add_co_ci_u32_e64 v1, null, s35, v1, vcc_lo
	global_load_u16 v86, v[0:1], off
	s_and_saveexec_b32 s25, s24
	s_wait_alu 0xfffe
	s_xor_b32 s24, exec_lo, s25
	s_cbranch_execz .LBB81_15
; %bb.14:                               ;   in Loop: Header=BB81_9 Depth=1
	v_add_f32_e64 v3, |v79|, |v79|
	s_delay_alu instid0(VALU_DEP_1) | instskip(SKIP_1) | instid1(VALU_DEP_2)
	v_mul_f32_e32 v20, 0x3fb8aa3b, v3
	v_cmp_ngt_f32_e32 vcc_lo, 0xc2ce8ed0, v3
	v_rndne_f32_e32 v21, v20
	v_fma_f32 v22, 0x3fb8aa3b, v3, -v20
	s_delay_alu instid0(VALU_DEP_2) | instskip(NEXT) | instid1(VALU_DEP_2)
	v_sub_f32_e32 v20, v20, v21
	v_fmac_f32_e32 v22, 0x32a5705f, v3
	v_cvt_i32_f32_e32 v21, v21
	s_delay_alu instid0(VALU_DEP_2) | instskip(NEXT) | instid1(VALU_DEP_1)
	v_add_f32_e32 v20, v20, v22
	v_exp_f32_e32 v20, v20
	s_delay_alu instid0(TRANS32_DEP_1) | instskip(SKIP_1) | instid1(VALU_DEP_1)
	v_ldexp_f32 v20, v20, v21
	s_wait_alu 0xfffd
	v_cndmask_b32_e32 v20, 0, v20, vcc_lo
	v_cmp_nlt_f32_e32 vcc_lo, 0x42b17218, v3
	s_wait_alu 0xfffd
	s_delay_alu instid0(VALU_DEP_2) | instskip(NEXT) | instid1(VALU_DEP_1)
	v_cndmask_b32_e32 v3, 0x7f800000, v20, vcc_lo
	v_add_f32_e32 v3, 1.0, v3
	s_delay_alu instid0(VALU_DEP_1) | instskip(NEXT) | instid1(TRANS32_DEP_1)
	v_rcp_f32_e32 v3, v3
	v_fma_f32 v3, v3, -2.0, 1.0
.LBB81_15:                              ;   in Loop: Header=BB81_9 Depth=1
	s_wait_alu 0xfffe
	s_and_not1_saveexec_b32 s24, s24
	s_cbranch_execz .LBB81_17
; %bb.16:                               ;   in Loop: Header=BB81_9 Depth=1
	v_mul_f32_e32 v3, v79, v79
	s_delay_alu instid0(VALU_DEP_1) | instskip(NEXT) | instid1(VALU_DEP_1)
	v_fmaak_f32 v20, s5, v3, 0x3ca908c9
	v_fmaak_f32 v20, v3, v20, 0xbd5c1c4e
	s_delay_alu instid0(VALU_DEP_1) | instskip(NEXT) | instid1(VALU_DEP_1)
	v_fmaak_f32 v20, v3, v20, 0x3e088382
	v_fmaak_f32 v20, v3, v20, 0xbeaaaa99
	s_delay_alu instid0(VALU_DEP_1) | instskip(NEXT) | instid1(VALU_DEP_1)
	v_mul_f32_e64 v20, |v79|, v20
	v_fma_f32 v3, v3, v20, |v79|
.LBB81_17:                              ;   in Loop: Header=BB81_9 Depth=1
	s_wait_alu 0xfffe
	s_or_b32 exec_lo, exec_lo, s24
	global_load_u16 v87, v[0:1], off offset:64
	v_cmp_ngt_f32_e64 s24, 0x3f200000, |v80|
                                        ; implicit-def: $vgpr20
	s_and_saveexec_b32 s25, s24
	s_wait_alu 0xfffe
	s_xor_b32 s24, exec_lo, s25
	s_cbranch_execz .LBB81_19
; %bb.18:                               ;   in Loop: Header=BB81_9 Depth=1
	v_add_f32_e64 v20, |v80|, |v80|
	s_delay_alu instid0(VALU_DEP_1) | instskip(SKIP_1) | instid1(VALU_DEP_2)
	v_mul_f32_e32 v21, 0x3fb8aa3b, v20
	v_cmp_ngt_f32_e32 vcc_lo, 0xc2ce8ed0, v20
	v_rndne_f32_e32 v22, v21
	v_fma_f32 v23, 0x3fb8aa3b, v20, -v21
	s_delay_alu instid0(VALU_DEP_2) | instskip(NEXT) | instid1(VALU_DEP_2)
	v_sub_f32_e32 v21, v21, v22
	v_fmac_f32_e32 v23, 0x32a5705f, v20
	v_cvt_i32_f32_e32 v22, v22
	s_delay_alu instid0(VALU_DEP_2) | instskip(NEXT) | instid1(VALU_DEP_1)
	v_add_f32_e32 v21, v21, v23
	v_exp_f32_e32 v21, v21
	s_delay_alu instid0(TRANS32_DEP_1) | instskip(SKIP_1) | instid1(VALU_DEP_1)
	v_ldexp_f32 v21, v21, v22
	s_wait_alu 0xfffd
	v_cndmask_b32_e32 v21, 0, v21, vcc_lo
	v_cmp_nlt_f32_e32 vcc_lo, 0x42b17218, v20
	s_wait_alu 0xfffd
	s_delay_alu instid0(VALU_DEP_2) | instskip(NEXT) | instid1(VALU_DEP_1)
	v_cndmask_b32_e32 v20, 0x7f800000, v21, vcc_lo
	v_add_f32_e32 v20, 1.0, v20
	s_delay_alu instid0(VALU_DEP_1) | instskip(NEXT) | instid1(TRANS32_DEP_1)
	v_rcp_f32_e32 v20, v20
	v_fma_f32 v20, v20, -2.0, 1.0
.LBB81_19:                              ;   in Loop: Header=BB81_9 Depth=1
	s_wait_alu 0xfffe
	s_and_not1_saveexec_b32 s24, s24
	s_cbranch_execz .LBB81_21
; %bb.20:                               ;   in Loop: Header=BB81_9 Depth=1
	v_mul_f32_e32 v20, v80, v80
	s_delay_alu instid0(VALU_DEP_1) | instskip(NEXT) | instid1(VALU_DEP_1)
	v_fmaak_f32 v21, s5, v20, 0x3ca908c9
	v_fmaak_f32 v21, v20, v21, 0xbd5c1c4e
	s_delay_alu instid0(VALU_DEP_1) | instskip(NEXT) | instid1(VALU_DEP_1)
	v_fmaak_f32 v21, v20, v21, 0x3e088382
	v_fmaak_f32 v21, v20, v21, 0xbeaaaa99
	s_delay_alu instid0(VALU_DEP_1) | instskip(NEXT) | instid1(VALU_DEP_1)
	v_mul_f32_e64 v21, |v80|, v21
	v_fma_f32 v20, v20, v21, |v80|
.LBB81_21:                              ;   in Loop: Header=BB81_9 Depth=1
	s_wait_alu 0xfffe
	s_or_b32 exec_lo, exec_lo, s24
	global_load_u16 v91, v[0:1], off offset:128
	v_cmp_ngt_f32_e64 s24, 0x3f200000, |v81|
                                        ; implicit-def: $vgpr21
	s_and_saveexec_b32 s25, s24
	s_wait_alu 0xfffe
	s_xor_b32 s24, exec_lo, s25
	s_cbranch_execz .LBB81_23
; %bb.22:                               ;   in Loop: Header=BB81_9 Depth=1
	v_add_f32_e64 v21, |v81|, |v81|
	s_delay_alu instid0(VALU_DEP_1) | instskip(SKIP_1) | instid1(VALU_DEP_2)
	v_mul_f32_e32 v22, 0x3fb8aa3b, v21
	v_cmp_ngt_f32_e32 vcc_lo, 0xc2ce8ed0, v21
	v_rndne_f32_e32 v23, v22
	v_fma_f32 v82, 0x3fb8aa3b, v21, -v22
	s_delay_alu instid0(VALU_DEP_2) | instskip(NEXT) | instid1(VALU_DEP_2)
	v_sub_f32_e32 v22, v22, v23
	v_fmac_f32_e32 v82, 0x32a5705f, v21
	v_cvt_i32_f32_e32 v23, v23
	s_delay_alu instid0(VALU_DEP_2) | instskip(NEXT) | instid1(VALU_DEP_1)
	v_add_f32_e32 v22, v22, v82
	v_exp_f32_e32 v22, v22
	s_delay_alu instid0(TRANS32_DEP_1) | instskip(SKIP_1) | instid1(VALU_DEP_1)
	v_ldexp_f32 v22, v22, v23
	s_wait_alu 0xfffd
	v_cndmask_b32_e32 v22, 0, v22, vcc_lo
	v_cmp_nlt_f32_e32 vcc_lo, 0x42b17218, v21
	s_wait_alu 0xfffd
	s_delay_alu instid0(VALU_DEP_2) | instskip(NEXT) | instid1(VALU_DEP_1)
	v_cndmask_b32_e32 v21, 0x7f800000, v22, vcc_lo
	v_add_f32_e32 v21, 1.0, v21
	s_delay_alu instid0(VALU_DEP_1) | instskip(NEXT) | instid1(TRANS32_DEP_1)
	v_rcp_f32_e32 v21, v21
	v_fma_f32 v21, v21, -2.0, 1.0
.LBB81_23:                              ;   in Loop: Header=BB81_9 Depth=1
	s_wait_alu 0xfffe
	s_and_not1_saveexec_b32 s24, s24
	s_cbranch_execz .LBB81_25
; %bb.24:                               ;   in Loop: Header=BB81_9 Depth=1
	v_mul_f32_e32 v21, v81, v81
	s_delay_alu instid0(VALU_DEP_1) | instskip(NEXT) | instid1(VALU_DEP_1)
	v_fmaak_f32 v22, s5, v21, 0x3ca908c9
	v_fmaak_f32 v22, v21, v22, 0xbd5c1c4e
	s_delay_alu instid0(VALU_DEP_1) | instskip(NEXT) | instid1(VALU_DEP_1)
	v_fmaak_f32 v22, v21, v22, 0x3e088382
	v_fmaak_f32 v22, v21, v22, 0xbeaaaa99
	s_delay_alu instid0(VALU_DEP_1) | instskip(NEXT) | instid1(VALU_DEP_1)
	v_mul_f32_e64 v22, |v81|, v22
	v_fma_f32 v21, v21, v22, |v81|
.LBB81_25:                              ;   in Loop: Header=BB81_9 Depth=1
	s_wait_alu 0xfffe
	s_or_b32 exec_lo, exec_lo, s24
	global_load_u16 v0, v[0:1], off offset:192
	v_bfi_b32 v1, 0x7fffffff, v2, v66
	v_bfi_b32 v2, 0x7fffffff, v3, v79
	;; [unrolled: 1-line block ×3, first 2 shown]
	v_xor_b32_e32 v66, 16, v33
	v_xor_b32_e32 v23, 8, v33
	s_wait_loadcnt 0x3
	v_fma_mix_f32 v82, s3, v1, v86 op_sel_hi:[0,0,1]
	s_wait_loadcnt 0x2
	v_fma_mix_f32 v83, s3, v2, v87 op_sel_hi:[0,0,1]
	v_bfi_b32 v1, 0x7fffffff, v20, v80
	v_cmp_gt_i32_e32 vcc_lo, 32, v66
	v_xor_b32_e32 v22, 4, v33
	v_xor_b32_e32 v21, 2, v33
	v_add_f32_e32 v20, 0x40051340, v83
	s_wait_loadcnt 0x1
	v_fma_mix_f32 v80, s3, v1, v91 op_sel_hi:[0,0,1]
	v_add_f32_e32 v2, 0x40051340, v82
	v_cmp_ngt_f32_e64 s24, 0x3f200000, |v75|
	s_wait_loadcnt 0x0
	v_fma_mix_f32 v81, s3, v3, v0 op_sel_hi:[0,0,1]
	v_add_f32_e32 v3, 0x40051340, v80
	v_max3_num_f32 v1, v65, v2, v20
	s_wait_alu 0xfffd
	v_cndmask_b32_e32 v2, v33, v66, vcc_lo
	v_cmp_gt_i32_e32 vcc_lo, 32, v23
	v_add_f32_e32 v20, 0x40051340, v81
	s_delay_alu instid0(VALU_DEP_3) | instskip(NEXT) | instid1(VALU_DEP_2)
	v_lshlrev_b32_e32 v2, 2, v2
	v_max3_num_f32 v1, v1, v3, v20
	s_wait_alu 0xfffd
	v_cndmask_b32_e32 v20, v33, v23, vcc_lo
	v_cmp_gt_i32_e32 vcc_lo, 32, v22
	ds_bpermute_b32 v3, v2, v1
	s_wait_alu 0xfffd
	v_dual_cndmask_b32 v20, v33, v22 :: v_dual_lshlrev_b32 v85, 2, v20
	v_cmp_gt_i32_e32 vcc_lo, 32, v21
	s_wait_dscnt 0x0
	v_max_num_f32_e32 v3, v3, v3
	s_delay_alu instid0(VALU_DEP_1) | instskip(SKIP_3) | instid1(VALU_DEP_1)
	v_max_num_f32_e32 v1, v1, v3
	ds_bpermute_b32 v3, v85, v1
	s_wait_dscnt 0x0
	v_dual_max_num_f32 v3, v3, v3 :: v_dual_lshlrev_b32 v84, 2, v20
	v_max_num_f32_e32 v1, v1, v3
	ds_bpermute_b32 v3, v84, v1
	s_wait_dscnt 0x0
	s_wait_alu 0xfffd
	v_dual_cndmask_b32 v20, v33, v21 :: v_dual_max_num_f32 v3, v3, v3
	s_delay_alu instid0(VALU_DEP_1) | instskip(NEXT) | instid1(VALU_DEP_2)
	v_max_num_f32_e32 v1, v1, v3
	v_lshlrev_b32_e32 v79, 2, v20
	v_xor_b32_e32 v20, 1, v33
	ds_bpermute_b32 v3, v79, v1
	v_cmp_gt_i32_e32 vcc_lo, 32, v20
	s_wait_dscnt 0x0
	s_wait_alu 0xfffd
	v_dual_cndmask_b32 v88, v33, v20 :: v_dual_max_num_f32 v89, v3, v3
	s_delay_alu instid0(VALU_DEP_1)
	v_dual_max_num_f32 v88, v1, v89 :: v_dual_lshlrev_b32 v3, 2, v88
                                        ; implicit-def: $vgpr1
	ds_bpermute_b32 v89, v3, v88
	s_and_saveexec_b32 s25, s24
	s_wait_alu 0xfffe
	s_xor_b32 s24, exec_lo, s25
	s_cbranch_execz .LBB81_27
; %bb.26:                               ;   in Loop: Header=BB81_9 Depth=1
	v_add_f32_e64 v1, |v75|, |v75|
	s_delay_alu instid0(VALU_DEP_1) | instskip(SKIP_1) | instid1(VALU_DEP_2)
	v_mul_f32_e32 v92, 0x3fb8aa3b, v1
	v_cmp_ngt_f32_e32 vcc_lo, 0xc2ce8ed0, v1
	v_rndne_f32_e32 v93, v92
	v_fma_f32 v94, 0x3fb8aa3b, v1, -v92
	s_delay_alu instid0(VALU_DEP_2) | instskip(NEXT) | instid1(VALU_DEP_2)
	v_sub_f32_e32 v92, v92, v93
	v_fmac_f32_e32 v94, 0x32a5705f, v1
	v_cvt_i32_f32_e32 v93, v93
	s_delay_alu instid0(VALU_DEP_2) | instskip(NEXT) | instid1(VALU_DEP_1)
	v_add_f32_e32 v92, v92, v94
	v_exp_f32_e32 v92, v92
	s_delay_alu instid0(TRANS32_DEP_1) | instskip(SKIP_1) | instid1(VALU_DEP_1)
	v_ldexp_f32 v92, v92, v93
	s_wait_alu 0xfffd
	v_cndmask_b32_e32 v92, 0, v92, vcc_lo
	v_cmp_nlt_f32_e32 vcc_lo, 0x42b17218, v1
	s_wait_alu 0xfffd
	s_delay_alu instid0(VALU_DEP_2) | instskip(NEXT) | instid1(VALU_DEP_1)
	v_cndmask_b32_e32 v1, 0x7f800000, v92, vcc_lo
	v_add_f32_e32 v1, 1.0, v1
	s_delay_alu instid0(VALU_DEP_1) | instskip(NEXT) | instid1(TRANS32_DEP_1)
	v_rcp_f32_e32 v1, v1
	v_fma_f32 v1, v1, -2.0, 1.0
.LBB81_27:                              ;   in Loop: Header=BB81_9 Depth=1
	s_wait_alu 0xfffe
	s_and_not1_saveexec_b32 s24, s24
	s_cbranch_execz .LBB81_29
; %bb.28:                               ;   in Loop: Header=BB81_9 Depth=1
	v_mul_f32_e32 v1, v75, v75
	s_delay_alu instid0(VALU_DEP_1) | instskip(NEXT) | instid1(VALU_DEP_1)
	v_fmaak_f32 v92, s5, v1, 0x3ca908c9
	v_fmaak_f32 v92, v1, v92, 0xbd5c1c4e
	s_delay_alu instid0(VALU_DEP_1) | instskip(NEXT) | instid1(VALU_DEP_1)
	v_fmaak_f32 v92, v1, v92, 0x3e088382
	v_fmaak_f32 v92, v1, v92, 0xbeaaaa99
	s_delay_alu instid0(VALU_DEP_1) | instskip(NEXT) | instid1(VALU_DEP_1)
	v_mul_f32_e64 v92, |v75|, v92
	v_fma_f32 v1, v1, v92, |v75|
.LBB81_29:                              ;   in Loop: Header=BB81_9 Depth=1
	s_wait_alu 0xfffe
	s_or_b32 exec_lo, exec_lo, s24
	v_cmp_ngt_f32_e64 s24, 0x3f200000, |v76|
                                        ; implicit-def: $vgpr92
	s_and_saveexec_b32 s25, s24
	s_wait_alu 0xfffe
	s_xor_b32 s24, exec_lo, s25
	s_cbranch_execz .LBB81_31
; %bb.30:                               ;   in Loop: Header=BB81_9 Depth=1
	v_add_f32_e64 v92, |v76|, |v76|
	s_delay_alu instid0(VALU_DEP_1) | instskip(SKIP_1) | instid1(VALU_DEP_2)
	v_mul_f32_e32 v93, 0x3fb8aa3b, v92
	v_cmp_ngt_f32_e32 vcc_lo, 0xc2ce8ed0, v92
	v_rndne_f32_e32 v94, v93
	v_fma_f32 v95, 0x3fb8aa3b, v92, -v93
	s_delay_alu instid0(VALU_DEP_2) | instskip(NEXT) | instid1(VALU_DEP_2)
	v_sub_f32_e32 v93, v93, v94
	v_fmac_f32_e32 v95, 0x32a5705f, v92
	v_cvt_i32_f32_e32 v94, v94
	s_delay_alu instid0(VALU_DEP_2) | instskip(NEXT) | instid1(VALU_DEP_1)
	v_add_f32_e32 v93, v93, v95
	v_exp_f32_e32 v93, v93
	s_delay_alu instid0(TRANS32_DEP_1) | instskip(SKIP_1) | instid1(VALU_DEP_1)
	v_ldexp_f32 v93, v93, v94
	s_wait_alu 0xfffd
	v_cndmask_b32_e32 v93, 0, v93, vcc_lo
	v_cmp_nlt_f32_e32 vcc_lo, 0x42b17218, v92
	s_wait_alu 0xfffd
	s_delay_alu instid0(VALU_DEP_2) | instskip(NEXT) | instid1(VALU_DEP_1)
	v_cndmask_b32_e32 v92, 0x7f800000, v93, vcc_lo
	v_add_f32_e32 v92, 1.0, v92
	s_delay_alu instid0(VALU_DEP_1) | instskip(NEXT) | instid1(TRANS32_DEP_1)
	v_rcp_f32_e32 v92, v92
	v_fma_f32 v92, v92, -2.0, 1.0
.LBB81_31:                              ;   in Loop: Header=BB81_9 Depth=1
	s_wait_alu 0xfffe
	s_and_not1_saveexec_b32 s24, s24
	s_cbranch_execz .LBB81_33
; %bb.32:                               ;   in Loop: Header=BB81_9 Depth=1
	v_mul_f32_e32 v92, v76, v76
	s_delay_alu instid0(VALU_DEP_1) | instskip(NEXT) | instid1(VALU_DEP_1)
	v_fmaak_f32 v93, s5, v92, 0x3ca908c9
	v_fmaak_f32 v93, v92, v93, 0xbd5c1c4e
	s_delay_alu instid0(VALU_DEP_1) | instskip(NEXT) | instid1(VALU_DEP_1)
	v_fmaak_f32 v93, v92, v93, 0x3e088382
	v_fmaak_f32 v93, v92, v93, 0xbeaaaa99
	s_delay_alu instid0(VALU_DEP_1) | instskip(NEXT) | instid1(VALU_DEP_1)
	v_mul_f32_e64 v93, |v76|, v93
	v_fma_f32 v92, v92, v93, |v76|
.LBB81_33:                              ;   in Loop: Header=BB81_9 Depth=1
	s_wait_alu 0xfffe
	s_or_b32 exec_lo, exec_lo, s24
	v_cmp_ngt_f32_e64 s24, 0x3f200000, |v77|
                                        ; implicit-def: $vgpr93
	s_and_saveexec_b32 s25, s24
	s_wait_alu 0xfffe
	s_xor_b32 s24, exec_lo, s25
	s_cbranch_execz .LBB81_35
; %bb.34:                               ;   in Loop: Header=BB81_9 Depth=1
	v_add_f32_e64 v93, |v77|, |v77|
	s_delay_alu instid0(VALU_DEP_1) | instskip(SKIP_1) | instid1(VALU_DEP_2)
	v_mul_f32_e32 v94, 0x3fb8aa3b, v93
	v_cmp_ngt_f32_e32 vcc_lo, 0xc2ce8ed0, v93
	v_rndne_f32_e32 v95, v94
	v_fma_f32 v96, 0x3fb8aa3b, v93, -v94
	s_delay_alu instid0(VALU_DEP_2) | instskip(NEXT) | instid1(VALU_DEP_2)
	v_sub_f32_e32 v94, v94, v95
	v_fmac_f32_e32 v96, 0x32a5705f, v93
	v_cvt_i32_f32_e32 v95, v95
	s_delay_alu instid0(VALU_DEP_2) | instskip(NEXT) | instid1(VALU_DEP_1)
	v_add_f32_e32 v94, v94, v96
	v_exp_f32_e32 v94, v94
	s_delay_alu instid0(TRANS32_DEP_1) | instskip(SKIP_1) | instid1(VALU_DEP_1)
	v_ldexp_f32 v94, v94, v95
	s_wait_alu 0xfffd
	v_cndmask_b32_e32 v94, 0, v94, vcc_lo
	v_cmp_nlt_f32_e32 vcc_lo, 0x42b17218, v93
	s_wait_alu 0xfffd
	s_delay_alu instid0(VALU_DEP_2) | instskip(NEXT) | instid1(VALU_DEP_1)
	v_cndmask_b32_e32 v93, 0x7f800000, v94, vcc_lo
	v_add_f32_e32 v93, 1.0, v93
	s_delay_alu instid0(VALU_DEP_1) | instskip(NEXT) | instid1(TRANS32_DEP_1)
	v_rcp_f32_e32 v93, v93
	v_fma_f32 v93, v93, -2.0, 1.0
.LBB81_35:                              ;   in Loop: Header=BB81_9 Depth=1
	s_wait_alu 0xfffe
	s_and_not1_saveexec_b32 s24, s24
	s_cbranch_execz .LBB81_37
; %bb.36:                               ;   in Loop: Header=BB81_9 Depth=1
	v_mul_f32_e32 v93, v77, v77
	s_delay_alu instid0(VALU_DEP_1) | instskip(NEXT) | instid1(VALU_DEP_1)
	v_fmaak_f32 v94, s5, v93, 0x3ca908c9
	v_fmaak_f32 v94, v93, v94, 0xbd5c1c4e
	s_delay_alu instid0(VALU_DEP_1) | instskip(NEXT) | instid1(VALU_DEP_1)
	v_fmaak_f32 v94, v93, v94, 0x3e088382
	v_fmaak_f32 v94, v93, v94, 0xbeaaaa99
	s_delay_alu instid0(VALU_DEP_1) | instskip(NEXT) | instid1(VALU_DEP_1)
	v_mul_f32_e64 v94, |v77|, v94
	v_fma_f32 v93, v93, v94, |v77|
.LBB81_37:                              ;   in Loop: Header=BB81_9 Depth=1
	s_wait_alu 0xfffe
	s_or_b32 exec_lo, exec_lo, s24
	v_cmp_ngt_f32_e64 s24, 0x3f200000, |v78|
                                        ; implicit-def: $vgpr94
	s_and_saveexec_b32 s25, s24
	s_wait_alu 0xfffe
	s_xor_b32 s24, exec_lo, s25
	s_cbranch_execz .LBB81_39
; %bb.38:                               ;   in Loop: Header=BB81_9 Depth=1
	v_add_f32_e64 v94, |v78|, |v78|
	s_delay_alu instid0(VALU_DEP_1) | instskip(SKIP_1) | instid1(VALU_DEP_2)
	v_mul_f32_e32 v95, 0x3fb8aa3b, v94
	v_cmp_ngt_f32_e32 vcc_lo, 0xc2ce8ed0, v94
	v_rndne_f32_e32 v96, v95
	v_fma_f32 v97, 0x3fb8aa3b, v94, -v95
	s_delay_alu instid0(VALU_DEP_2) | instskip(NEXT) | instid1(VALU_DEP_2)
	v_sub_f32_e32 v95, v95, v96
	v_fmac_f32_e32 v97, 0x32a5705f, v94
	v_cvt_i32_f32_e32 v96, v96
	s_delay_alu instid0(VALU_DEP_2) | instskip(NEXT) | instid1(VALU_DEP_1)
	v_add_f32_e32 v95, v95, v97
	v_exp_f32_e32 v95, v95
	s_delay_alu instid0(TRANS32_DEP_1) | instskip(SKIP_1) | instid1(VALU_DEP_1)
	v_ldexp_f32 v95, v95, v96
	s_wait_alu 0xfffd
	v_cndmask_b32_e32 v95, 0, v95, vcc_lo
	v_cmp_nlt_f32_e32 vcc_lo, 0x42b17218, v94
	s_wait_alu 0xfffd
	s_delay_alu instid0(VALU_DEP_2) | instskip(NEXT) | instid1(VALU_DEP_1)
	v_cndmask_b32_e32 v94, 0x7f800000, v95, vcc_lo
	v_add_f32_e32 v94, 1.0, v94
	s_delay_alu instid0(VALU_DEP_1) | instskip(NEXT) | instid1(TRANS32_DEP_1)
	v_rcp_f32_e32 v94, v94
	v_fma_f32 v94, v94, -2.0, 1.0
.LBB81_39:                              ;   in Loop: Header=BB81_9 Depth=1
	s_wait_alu 0xfffe
	s_and_not1_saveexec_b32 s24, s24
	s_cbranch_execz .LBB81_41
; %bb.40:                               ;   in Loop: Header=BB81_9 Depth=1
	v_mul_f32_e32 v94, v78, v78
	s_delay_alu instid0(VALU_DEP_1) | instskip(NEXT) | instid1(VALU_DEP_1)
	v_fmaak_f32 v95, s5, v94, 0x3ca908c9
	v_fmaak_f32 v95, v94, v95, 0xbd5c1c4e
	s_delay_alu instid0(VALU_DEP_1) | instskip(NEXT) | instid1(VALU_DEP_1)
	v_fmaak_f32 v95, v94, v95, 0x3e088382
	v_fmaak_f32 v95, v94, v95, 0xbeaaaa99
	s_delay_alu instid0(VALU_DEP_1) | instskip(NEXT) | instid1(VALU_DEP_1)
	v_mul_f32_e64 v95, |v78|, v95
	v_fma_f32 v94, v94, v95, |v78|
.LBB81_41:                              ;   in Loop: Header=BB81_9 Depth=1
	s_wait_alu 0xfffe
	s_or_b32 exec_lo, exec_lo, s24
	v_cvt_f32_f16_e32 v86, v86
	v_bfi_b32 v1, 0x7fffffff, v1, v75
	v_cvt_f32_f16_e32 v87, v87
	v_bfi_b32 v92, 0x7fffffff, v92, v76
	v_cvt_f32_f16_e32 v76, v91
	v_cvt_f32_f16_e32 v75, v0
	v_fmac_f32_e32 v86, s3, v1
	v_bfi_b32 v0, 0x7fffffff, v93, v77
	v_fmac_f32_e32 v87, s3, v92
	v_bfi_b32 v1, 0x7fffffff, v94, v78
	v_cmp_ngt_f32_e64 s24, 0x3f200000, |v71|
	s_delay_alu instid0(VALU_DEP_4) | instskip(NEXT) | instid1(VALU_DEP_3)
	v_dual_add_f32 v77, 0x40051340, v86 :: v_dual_fmac_f32 v76, s3, v0
	v_dual_add_f32 v0, 0x40051340, v87 :: v_dual_fmac_f32 v75, s3, v1
	s_delay_alu instid0(VALU_DEP_2) | instskip(NEXT) | instid1(VALU_DEP_2)
	v_add_f32_e32 v1, 0x40051340, v76
	v_max3_num_f32 v0, v63, v77, v0
	s_delay_alu instid0(VALU_DEP_3) | instskip(NEXT) | instid1(VALU_DEP_1)
	v_add_f32_e32 v77, 0x40051340, v75
	v_max3_num_f32 v0, v0, v1, v77
                                        ; implicit-def: $vgpr77
	ds_bpermute_b32 v1, v2, v0
	s_wait_dscnt 0x0
	v_max_num_f32_e32 v1, v1, v1
	s_delay_alu instid0(VALU_DEP_1) | instskip(SKIP_3) | instid1(VALU_DEP_1)
	v_max_num_f32_e32 v0, v0, v1
	ds_bpermute_b32 v1, v85, v0
	s_wait_dscnt 0x0
	v_max_num_f32_e32 v1, v1, v1
	v_max_num_f32_e32 v0, v0, v1
	ds_bpermute_b32 v1, v84, v0
	s_wait_dscnt 0x0
	v_max_num_f32_e32 v1, v1, v1
	s_delay_alu instid0(VALU_DEP_1) | instskip(SKIP_3) | instid1(VALU_DEP_1)
	v_max_num_f32_e32 v0, v0, v1
	ds_bpermute_b32 v1, v79, v0
	s_wait_dscnt 0x0
	v_max_num_f32_e32 v1, v1, v1
	v_max_num_f32_e32 v92, v0, v1
	ds_bpermute_b32 v93, v3, v92
	s_and_saveexec_b32 s25, s24
	s_wait_alu 0xfffe
	s_xor_b32 s24, exec_lo, s25
	s_cbranch_execz .LBB81_43
; %bb.42:                               ;   in Loop: Header=BB81_9 Depth=1
	v_add_f32_e64 v0, |v71|, |v71|
	s_delay_alu instid0(VALU_DEP_1) | instskip(SKIP_1) | instid1(VALU_DEP_2)
	v_mul_f32_e32 v1, 0x3fb8aa3b, v0
	v_cmp_ngt_f32_e32 vcc_lo, 0xc2ce8ed0, v0
	v_rndne_f32_e32 v77, v1
	v_fma_f32 v78, 0x3fb8aa3b, v0, -v1
	s_delay_alu instid0(VALU_DEP_1) | instskip(SKIP_1) | instid1(VALU_DEP_2)
	v_dual_sub_f32 v1, v1, v77 :: v_dual_fmac_f32 v78, 0x32a5705f, v0
	v_cvt_i32_f32_e32 v77, v77
	v_add_f32_e32 v1, v1, v78
	s_delay_alu instid0(VALU_DEP_1) | instskip(NEXT) | instid1(TRANS32_DEP_1)
	v_exp_f32_e32 v1, v1
	v_ldexp_f32 v1, v1, v77
	s_wait_alu 0xfffd
	s_delay_alu instid0(VALU_DEP_1) | instskip(SKIP_2) | instid1(VALU_DEP_2)
	v_cndmask_b32_e32 v1, 0, v1, vcc_lo
	v_cmp_nlt_f32_e32 vcc_lo, 0x42b17218, v0
	s_wait_alu 0xfffd
	v_cndmask_b32_e32 v0, 0x7f800000, v1, vcc_lo
	s_delay_alu instid0(VALU_DEP_1) | instskip(NEXT) | instid1(VALU_DEP_1)
	v_add_f32_e32 v0, 1.0, v0
	v_rcp_f32_e32 v0, v0
	s_delay_alu instid0(TRANS32_DEP_1)
	v_fma_f32 v77, v0, -2.0, 1.0
.LBB81_43:                              ;   in Loop: Header=BB81_9 Depth=1
	s_wait_alu 0xfffe
	s_and_not1_saveexec_b32 s24, s24
	s_cbranch_execz .LBB81_45
; %bb.44:                               ;   in Loop: Header=BB81_9 Depth=1
	v_mul_f32_e32 v0, v71, v71
	s_delay_alu instid0(VALU_DEP_1) | instskip(NEXT) | instid1(VALU_DEP_1)
	v_fmaak_f32 v1, s5, v0, 0x3ca908c9
	v_fmaak_f32 v1, v0, v1, 0xbd5c1c4e
	s_delay_alu instid0(VALU_DEP_1) | instskip(NEXT) | instid1(VALU_DEP_1)
	v_fmaak_f32 v1, v0, v1, 0x3e088382
	v_fmaak_f32 v1, v0, v1, 0xbeaaaa99
	s_delay_alu instid0(VALU_DEP_1) | instskip(NEXT) | instid1(VALU_DEP_1)
	v_mul_f32_e64 v1, |v71|, v1
	v_fma_f32 v77, v0, v1, |v71|
.LBB81_45:                              ;   in Loop: Header=BB81_9 Depth=1
	s_wait_alu 0xfffe
	s_or_b32 exec_lo, exec_lo, s24
	v_add_nc_u32_e32 v0, v90, v43
	v_cmp_ngt_f32_e64 s24, 0x3f200000, |v72|
                                        ; implicit-def: $vgpr78
	s_delay_alu instid0(VALU_DEP_2) | instskip(NEXT) | instid1(VALU_DEP_1)
	v_ashrrev_i32_e32 v1, 31, v0
	v_lshlrev_b64_e32 v[0:1], 1, v[0:1]
	s_delay_alu instid0(VALU_DEP_1) | instskip(SKIP_1) | instid1(VALU_DEP_2)
	v_add_co_u32 v0, vcc_lo, s34, v0
	s_wait_alu 0xfffd
	v_add_co_ci_u32_e64 v1, null, s35, v1, vcc_lo
	global_load_u16 v90, v[0:1], off
	s_and_saveexec_b32 s25, s24
	s_wait_alu 0xfffe
	s_xor_b32 s24, exec_lo, s25
	s_cbranch_execz .LBB81_47
; %bb.46:                               ;   in Loop: Header=BB81_9 Depth=1
	v_add_f32_e64 v78, |v72|, |v72|
	s_delay_alu instid0(VALU_DEP_1) | instskip(SKIP_1) | instid1(VALU_DEP_2)
	v_mul_f32_e32 v91, 0x3fb8aa3b, v78
	v_cmp_ngt_f32_e32 vcc_lo, 0xc2ce8ed0, v78
	v_rndne_f32_e32 v94, v91
	v_fma_f32 v95, 0x3fb8aa3b, v78, -v91
	s_delay_alu instid0(VALU_DEP_2) | instskip(NEXT) | instid1(VALU_DEP_2)
	v_sub_f32_e32 v91, v91, v94
	v_fmac_f32_e32 v95, 0x32a5705f, v78
	v_cvt_i32_f32_e32 v94, v94
	s_delay_alu instid0(VALU_DEP_2) | instskip(NEXT) | instid1(VALU_DEP_1)
	v_add_f32_e32 v91, v91, v95
	v_exp_f32_e32 v91, v91
	s_delay_alu instid0(TRANS32_DEP_1) | instskip(SKIP_1) | instid1(VALU_DEP_1)
	v_ldexp_f32 v91, v91, v94
	s_wait_alu 0xfffd
	v_cndmask_b32_e32 v91, 0, v91, vcc_lo
	v_cmp_nlt_f32_e32 vcc_lo, 0x42b17218, v78
	s_wait_alu 0xfffd
	s_delay_alu instid0(VALU_DEP_2) | instskip(NEXT) | instid1(VALU_DEP_1)
	v_cndmask_b32_e32 v78, 0x7f800000, v91, vcc_lo
	v_add_f32_e32 v78, 1.0, v78
	s_delay_alu instid0(VALU_DEP_1) | instskip(NEXT) | instid1(TRANS32_DEP_1)
	v_rcp_f32_e32 v78, v78
	v_fma_f32 v78, v78, -2.0, 1.0
.LBB81_47:                              ;   in Loop: Header=BB81_9 Depth=1
	s_wait_alu 0xfffe
	s_and_not1_saveexec_b32 s24, s24
	s_cbranch_execz .LBB81_49
; %bb.48:                               ;   in Loop: Header=BB81_9 Depth=1
	v_mul_f32_e32 v78, v72, v72
	s_delay_alu instid0(VALU_DEP_1) | instskip(NEXT) | instid1(VALU_DEP_1)
	v_fmaak_f32 v91, s5, v78, 0x3ca908c9
	v_fmaak_f32 v91, v78, v91, 0xbd5c1c4e
	s_delay_alu instid0(VALU_DEP_1) | instskip(NEXT) | instid1(VALU_DEP_1)
	v_fmaak_f32 v91, v78, v91, 0x3e088382
	v_fmaak_f32 v91, v78, v91, 0xbeaaaa99
	s_delay_alu instid0(VALU_DEP_1) | instskip(NEXT) | instid1(VALU_DEP_1)
	v_mul_f32_e64 v91, |v72|, v91
	v_fma_f32 v78, v78, v91, |v72|
.LBB81_49:                              ;   in Loop: Header=BB81_9 Depth=1
	s_wait_alu 0xfffe
	s_or_b32 exec_lo, exec_lo, s24
	global_load_u16 v94, v[0:1], off offset:64
	v_cmp_ngt_f32_e64 s24, 0x3f200000, |v73|
                                        ; implicit-def: $vgpr91
	s_and_saveexec_b32 s25, s24
	s_wait_alu 0xfffe
	s_xor_b32 s24, exec_lo, s25
	s_cbranch_execz .LBB81_51
; %bb.50:                               ;   in Loop: Header=BB81_9 Depth=1
	v_add_f32_e64 v91, |v73|, |v73|
	s_delay_alu instid0(VALU_DEP_1) | instskip(SKIP_1) | instid1(VALU_DEP_2)
	v_mul_f32_e32 v95, 0x3fb8aa3b, v91
	v_cmp_ngt_f32_e32 vcc_lo, 0xc2ce8ed0, v91
	v_rndne_f32_e32 v96, v95
	v_fma_f32 v97, 0x3fb8aa3b, v91, -v95
	s_delay_alu instid0(VALU_DEP_2) | instskip(NEXT) | instid1(VALU_DEP_2)
	v_sub_f32_e32 v95, v95, v96
	v_fmac_f32_e32 v97, 0x32a5705f, v91
	v_cvt_i32_f32_e32 v96, v96
	s_delay_alu instid0(VALU_DEP_2) | instskip(NEXT) | instid1(VALU_DEP_1)
	v_add_f32_e32 v95, v95, v97
	v_exp_f32_e32 v95, v95
	s_delay_alu instid0(TRANS32_DEP_1) | instskip(SKIP_1) | instid1(VALU_DEP_1)
	v_ldexp_f32 v95, v95, v96
	s_wait_alu 0xfffd
	v_cndmask_b32_e32 v95, 0, v95, vcc_lo
	v_cmp_nlt_f32_e32 vcc_lo, 0x42b17218, v91
	s_wait_alu 0xfffd
	s_delay_alu instid0(VALU_DEP_2) | instskip(NEXT) | instid1(VALU_DEP_1)
	v_cndmask_b32_e32 v91, 0x7f800000, v95, vcc_lo
	v_add_f32_e32 v91, 1.0, v91
	s_delay_alu instid0(VALU_DEP_1) | instskip(NEXT) | instid1(TRANS32_DEP_1)
	v_rcp_f32_e32 v91, v91
	v_fma_f32 v91, v91, -2.0, 1.0
.LBB81_51:                              ;   in Loop: Header=BB81_9 Depth=1
	s_wait_alu 0xfffe
	s_and_not1_saveexec_b32 s24, s24
	s_cbranch_execz .LBB81_53
; %bb.52:                               ;   in Loop: Header=BB81_9 Depth=1
	v_mul_f32_e32 v91, v73, v73
	s_delay_alu instid0(VALU_DEP_1) | instskip(NEXT) | instid1(VALU_DEP_1)
	v_fmaak_f32 v95, s5, v91, 0x3ca908c9
	v_fmaak_f32 v95, v91, v95, 0xbd5c1c4e
	s_delay_alu instid0(VALU_DEP_1) | instskip(NEXT) | instid1(VALU_DEP_1)
	v_fmaak_f32 v95, v91, v95, 0x3e088382
	v_fmaak_f32 v95, v91, v95, 0xbeaaaa99
	s_delay_alu instid0(VALU_DEP_1) | instskip(NEXT) | instid1(VALU_DEP_1)
	v_mul_f32_e64 v95, |v73|, v95
	v_fma_f32 v91, v91, v95, |v73|
.LBB81_53:                              ;   in Loop: Header=BB81_9 Depth=1
	s_wait_alu 0xfffe
	s_or_b32 exec_lo, exec_lo, s24
	global_load_u16 v95, v[0:1], off offset:128
	v_cmp_ngt_f32_e64 s24, 0x3f200000, |v74|
                                        ; implicit-def: $vgpr97
	s_and_saveexec_b32 s25, s24
	s_wait_alu 0xfffe
	s_xor_b32 s24, exec_lo, s25
	s_cbranch_execz .LBB81_55
; %bb.54:                               ;   in Loop: Header=BB81_9 Depth=1
	v_add_f32_e64 v96, |v74|, |v74|
	s_delay_alu instid0(VALU_DEP_1) | instskip(SKIP_1) | instid1(VALU_DEP_2)
	v_mul_f32_e32 v97, 0x3fb8aa3b, v96
	v_cmp_ngt_f32_e32 vcc_lo, 0xc2ce8ed0, v96
	v_rndne_f32_e32 v98, v97
	v_fma_f32 v99, 0x3fb8aa3b, v96, -v97
	s_delay_alu instid0(VALU_DEP_2) | instskip(NEXT) | instid1(VALU_DEP_2)
	v_sub_f32_e32 v97, v97, v98
	v_fmac_f32_e32 v99, 0x32a5705f, v96
	v_cvt_i32_f32_e32 v98, v98
	s_delay_alu instid0(VALU_DEP_2) | instskip(NEXT) | instid1(VALU_DEP_1)
	v_add_f32_e32 v97, v97, v99
	v_exp_f32_e32 v97, v97
	s_delay_alu instid0(TRANS32_DEP_1) | instskip(SKIP_1) | instid1(VALU_DEP_1)
	v_ldexp_f32 v97, v97, v98
	s_wait_alu 0xfffd
	v_cndmask_b32_e32 v97, 0, v97, vcc_lo
	v_cmp_nlt_f32_e32 vcc_lo, 0x42b17218, v96
	s_wait_alu 0xfffd
	s_delay_alu instid0(VALU_DEP_2) | instskip(NEXT) | instid1(VALU_DEP_1)
	v_cndmask_b32_e32 v96, 0x7f800000, v97, vcc_lo
	v_add_f32_e32 v96, 1.0, v96
	s_delay_alu instid0(VALU_DEP_1) | instskip(NEXT) | instid1(TRANS32_DEP_1)
	v_rcp_f32_e32 v96, v96
	v_fma_f32 v97, v96, -2.0, 1.0
.LBB81_55:                              ;   in Loop: Header=BB81_9 Depth=1
	s_wait_alu 0xfffe
	s_and_not1_saveexec_b32 s24, s24
	s_cbranch_execz .LBB81_57
; %bb.56:                               ;   in Loop: Header=BB81_9 Depth=1
	v_mul_f32_e32 v96, v74, v74
	s_delay_alu instid0(VALU_DEP_1) | instskip(NEXT) | instid1(VALU_DEP_1)
	v_fmaak_f32 v97, s5, v96, 0x3ca908c9
	v_fmaak_f32 v97, v96, v97, 0xbd5c1c4e
	s_delay_alu instid0(VALU_DEP_1) | instskip(NEXT) | instid1(VALU_DEP_1)
	v_fmaak_f32 v97, v96, v97, 0x3e088382
	v_fmaak_f32 v97, v96, v97, 0xbeaaaa99
	s_delay_alu instid0(VALU_DEP_1) | instskip(NEXT) | instid1(VALU_DEP_1)
	v_mul_f32_e64 v97, |v74|, v97
	v_fma_f32 v97, v96, v97, |v74|
.LBB81_57:                              ;   in Loop: Header=BB81_9 Depth=1
	s_wait_alu 0xfffe
	s_or_b32 exec_lo, exec_lo, s24
	global_load_u16 v96, v[0:1], off offset:192
	v_bfi_b32 v0, 0x7fffffff, v77, v71
	v_bfi_b32 v1, 0x7fffffff, v78, v72
	v_cmp_ngt_f32_e64 s24, 0x3f200000, |v67|
	s_wait_loadcnt 0x3
	s_delay_alu instid0(VALU_DEP_3) | instskip(SKIP_4) | instid1(VALU_DEP_3)
	v_fma_mix_f32 v78, s3, v0, v90 op_sel_hi:[0,0,1]
	s_wait_loadcnt 0x2
	v_fma_mix_f32 v77, s3, v1, v94 op_sel_hi:[0,0,1]
	v_bfi_b32 v0, 0x7fffffff, v91, v73
	v_bfi_b32 v1, 0x7fffffff, v97, v74
	v_dual_add_f32 v73, 0x40051340, v78 :: v_dual_add_f32 v74, 0x40051340, v77
	s_wait_loadcnt 0x1
	s_delay_alu instid0(VALU_DEP_3) | instskip(NEXT) | instid1(VALU_DEP_2)
	v_fma_mix_f32 v72, s3, v0, v95 op_sel_hi:[0,0,1]
	v_max3_num_f32 v0, v61, v73, v74
	s_wait_loadcnt 0x0
	v_fma_mix_f32 v71, s3, v1, v96 op_sel_hi:[0,0,1]
	s_delay_alu instid0(VALU_DEP_3) | instskip(NEXT) | instid1(VALU_DEP_2)
	v_add_f32_e32 v1, 0x40051340, v72
	v_add_f32_e32 v73, 0x40051340, v71
	s_delay_alu instid0(VALU_DEP_1) | instskip(SKIP_3) | instid1(VALU_DEP_1)
	v_max3_num_f32 v0, v0, v1, v73
                                        ; implicit-def: $vgpr73
	ds_bpermute_b32 v1, v2, v0
	s_wait_dscnt 0x0
	v_max_num_f32_e32 v1, v1, v1
	v_max_num_f32_e32 v0, v0, v1
	ds_bpermute_b32 v1, v85, v0
	s_wait_dscnt 0x0
	v_max_num_f32_e32 v1, v1, v1
	s_delay_alu instid0(VALU_DEP_1) | instskip(SKIP_3) | instid1(VALU_DEP_1)
	v_max_num_f32_e32 v0, v0, v1
	ds_bpermute_b32 v1, v84, v0
	s_wait_dscnt 0x0
	v_max_num_f32_e32 v1, v1, v1
	v_max_num_f32_e32 v0, v0, v1
	ds_bpermute_b32 v1, v79, v0
	s_wait_dscnt 0x0
	v_max_num_f32_e32 v1, v1, v1
	s_delay_alu instid0(VALU_DEP_1)
	v_max_num_f32_e32 v0, v0, v1
	ds_bpermute_b32 v1, v3, v0
	s_and_saveexec_b32 s25, s24
	s_wait_alu 0xfffe
	s_xor_b32 s24, exec_lo, s25
	s_cbranch_execz .LBB81_59
; %bb.58:                               ;   in Loop: Header=BB81_9 Depth=1
	v_add_f32_e64 v73, |v67|, |v67|
	s_delay_alu instid0(VALU_DEP_1) | instskip(SKIP_1) | instid1(VALU_DEP_2)
	v_mul_f32_e32 v74, 0x3fb8aa3b, v73
	v_cmp_ngt_f32_e32 vcc_lo, 0xc2ce8ed0, v73
	v_rndne_f32_e32 v91, v74
	v_fma_f32 v97, 0x3fb8aa3b, v73, -v74
	s_delay_alu instid0(VALU_DEP_1) | instskip(SKIP_1) | instid1(VALU_DEP_2)
	v_dual_sub_f32 v74, v74, v91 :: v_dual_fmac_f32 v97, 0x32a5705f, v73
	v_cvt_i32_f32_e32 v91, v91
	v_add_f32_e32 v74, v74, v97
	s_delay_alu instid0(VALU_DEP_1) | instskip(NEXT) | instid1(TRANS32_DEP_1)
	v_exp_f32_e32 v74, v74
	v_ldexp_f32 v74, v74, v91
	s_wait_alu 0xfffd
	s_delay_alu instid0(VALU_DEP_1) | instskip(SKIP_2) | instid1(VALU_DEP_2)
	v_cndmask_b32_e32 v74, 0, v74, vcc_lo
	v_cmp_nlt_f32_e32 vcc_lo, 0x42b17218, v73
	s_wait_alu 0xfffd
	v_cndmask_b32_e32 v73, 0x7f800000, v74, vcc_lo
	s_delay_alu instid0(VALU_DEP_1) | instskip(NEXT) | instid1(VALU_DEP_1)
	v_add_f32_e32 v73, 1.0, v73
	v_rcp_f32_e32 v73, v73
	s_delay_alu instid0(TRANS32_DEP_1)
	v_fma_f32 v73, v73, -2.0, 1.0
.LBB81_59:                              ;   in Loop: Header=BB81_9 Depth=1
	s_wait_alu 0xfffe
	s_and_not1_saveexec_b32 s24, s24
	s_cbranch_execz .LBB81_61
; %bb.60:                               ;   in Loop: Header=BB81_9 Depth=1
	v_mul_f32_e32 v73, v67, v67
	s_delay_alu instid0(VALU_DEP_1) | instskip(NEXT) | instid1(VALU_DEP_1)
	v_fmaak_f32 v74, s5, v73, 0x3ca908c9
	v_fmaak_f32 v74, v73, v74, 0xbd5c1c4e
	s_delay_alu instid0(VALU_DEP_1) | instskip(NEXT) | instid1(VALU_DEP_1)
	v_fmaak_f32 v74, v73, v74, 0x3e088382
	v_fmaak_f32 v74, v73, v74, 0xbeaaaa99
	s_delay_alu instid0(VALU_DEP_1) | instskip(NEXT) | instid1(VALU_DEP_1)
	v_mul_f32_e64 v74, |v67|, v74
	v_fma_f32 v73, v73, v74, |v67|
.LBB81_61:                              ;   in Loop: Header=BB81_9 Depth=1
	s_wait_alu 0xfffe
	s_or_b32 exec_lo, exec_lo, s24
	v_cmp_ngt_f32_e64 s24, 0x3f200000, |v68|
                                        ; implicit-def: $vgpr97
	s_and_saveexec_b32 s25, s24
	s_wait_alu 0xfffe
	s_xor_b32 s24, exec_lo, s25
	s_cbranch_execz .LBB81_63
; %bb.62:                               ;   in Loop: Header=BB81_9 Depth=1
	v_add_f32_e64 v74, |v68|, |v68|
	s_delay_alu instid0(VALU_DEP_1) | instskip(SKIP_1) | instid1(VALU_DEP_2)
	v_mul_f32_e32 v91, 0x3fb8aa3b, v74
	v_cmp_ngt_f32_e32 vcc_lo, 0xc2ce8ed0, v74
	v_rndne_f32_e32 v97, v91
	v_fma_f32 v98, 0x3fb8aa3b, v74, -v91
	s_delay_alu instid0(VALU_DEP_1) | instskip(SKIP_1) | instid1(VALU_DEP_2)
	v_dual_sub_f32 v91, v91, v97 :: v_dual_fmac_f32 v98, 0x32a5705f, v74
	v_cvt_i32_f32_e32 v97, v97
	v_add_f32_e32 v91, v91, v98
	s_delay_alu instid0(VALU_DEP_1) | instskip(NEXT) | instid1(TRANS32_DEP_1)
	v_exp_f32_e32 v91, v91
	v_ldexp_f32 v91, v91, v97
	s_wait_alu 0xfffd
	s_delay_alu instid0(VALU_DEP_1) | instskip(SKIP_2) | instid1(VALU_DEP_2)
	v_cndmask_b32_e32 v91, 0, v91, vcc_lo
	v_cmp_nlt_f32_e32 vcc_lo, 0x42b17218, v74
	s_wait_alu 0xfffd
	v_cndmask_b32_e32 v74, 0x7f800000, v91, vcc_lo
	s_delay_alu instid0(VALU_DEP_1) | instskip(NEXT) | instid1(VALU_DEP_1)
	v_add_f32_e32 v74, 1.0, v74
	v_rcp_f32_e32 v74, v74
	s_delay_alu instid0(TRANS32_DEP_1)
	v_fma_f32 v97, v74, -2.0, 1.0
.LBB81_63:                              ;   in Loop: Header=BB81_9 Depth=1
	s_wait_alu 0xfffe
	s_and_not1_saveexec_b32 s24, s24
	s_cbranch_execz .LBB81_65
; %bb.64:                               ;   in Loop: Header=BB81_9 Depth=1
	v_mul_f32_e32 v74, v68, v68
	s_delay_alu instid0(VALU_DEP_1) | instskip(NEXT) | instid1(VALU_DEP_1)
	v_fmaak_f32 v91, s5, v74, 0x3ca908c9
	v_fmaak_f32 v91, v74, v91, 0xbd5c1c4e
	s_delay_alu instid0(VALU_DEP_1) | instskip(NEXT) | instid1(VALU_DEP_1)
	v_fmaak_f32 v91, v74, v91, 0x3e088382
	v_fmaak_f32 v91, v74, v91, 0xbeaaaa99
	s_delay_alu instid0(VALU_DEP_1) | instskip(NEXT) | instid1(VALU_DEP_1)
	v_mul_f32_e64 v91, |v68|, v91
	v_fma_f32 v97, v74, v91, |v68|
.LBB81_65:                              ;   in Loop: Header=BB81_9 Depth=1
	s_wait_alu 0xfffe
	s_or_b32 exec_lo, exec_lo, s24
	v_cmp_ngt_f32_e64 s24, 0x3f200000, |v69|
                                        ; implicit-def: $vgpr98
	s_and_saveexec_b32 s25, s24
	s_wait_alu 0xfffe
	s_xor_b32 s24, exec_lo, s25
	s_cbranch_execz .LBB81_67
; %bb.66:                               ;   in Loop: Header=BB81_9 Depth=1
	v_add_f32_e64 v74, |v69|, |v69|
	s_delay_alu instid0(VALU_DEP_1) | instskip(SKIP_1) | instid1(VALU_DEP_2)
	v_mul_f32_e32 v91, 0x3fb8aa3b, v74
	v_cmp_ngt_f32_e32 vcc_lo, 0xc2ce8ed0, v74
	v_rndne_f32_e32 v98, v91
	v_fma_f32 v99, 0x3fb8aa3b, v74, -v91
	s_delay_alu instid0(VALU_DEP_2) | instskip(NEXT) | instid1(VALU_DEP_2)
	v_sub_f32_e32 v91, v91, v98
	v_fmac_f32_e32 v99, 0x32a5705f, v74
	v_cvt_i32_f32_e32 v98, v98
	s_delay_alu instid0(VALU_DEP_2) | instskip(NEXT) | instid1(VALU_DEP_1)
	v_add_f32_e32 v91, v91, v99
	v_exp_f32_e32 v91, v91
	s_delay_alu instid0(TRANS32_DEP_1) | instskip(SKIP_1) | instid1(VALU_DEP_1)
	v_ldexp_f32 v91, v91, v98
	s_wait_alu 0xfffd
	v_cndmask_b32_e32 v91, 0, v91, vcc_lo
	v_cmp_nlt_f32_e32 vcc_lo, 0x42b17218, v74
	s_wait_alu 0xfffd
	s_delay_alu instid0(VALU_DEP_2) | instskip(NEXT) | instid1(VALU_DEP_1)
	v_cndmask_b32_e32 v74, 0x7f800000, v91, vcc_lo
	v_add_f32_e32 v74, 1.0, v74
	s_delay_alu instid0(VALU_DEP_1) | instskip(NEXT) | instid1(TRANS32_DEP_1)
	v_rcp_f32_e32 v74, v74
	v_fma_f32 v98, v74, -2.0, 1.0
.LBB81_67:                              ;   in Loop: Header=BB81_9 Depth=1
	s_wait_alu 0xfffe
	s_and_not1_saveexec_b32 s24, s24
	s_cbranch_execz .LBB81_69
; %bb.68:                               ;   in Loop: Header=BB81_9 Depth=1
	v_mul_f32_e32 v74, v69, v69
	s_delay_alu instid0(VALU_DEP_1) | instskip(NEXT) | instid1(VALU_DEP_1)
	v_fmaak_f32 v91, s5, v74, 0x3ca908c9
	v_fmaak_f32 v91, v74, v91, 0xbd5c1c4e
	s_delay_alu instid0(VALU_DEP_1) | instskip(NEXT) | instid1(VALU_DEP_1)
	v_fmaak_f32 v91, v74, v91, 0x3e088382
	v_fmaak_f32 v91, v74, v91, 0xbeaaaa99
	s_delay_alu instid0(VALU_DEP_1) | instskip(NEXT) | instid1(VALU_DEP_1)
	v_mul_f32_e64 v91, |v69|, v91
	v_fma_f32 v98, v74, v91, |v69|
.LBB81_69:                              ;   in Loop: Header=BB81_9 Depth=1
	s_wait_alu 0xfffe
	s_or_b32 exec_lo, exec_lo, s24
	v_cmp_ngt_f32_e64 s24, 0x3f200000, |v70|
                                        ; implicit-def: $vgpr99
	s_and_saveexec_b32 s25, s24
	s_wait_alu 0xfffe
	s_xor_b32 s24, exec_lo, s25
	s_cbranch_execz .LBB81_71
; %bb.70:                               ;   in Loop: Header=BB81_9 Depth=1
	v_add_f32_e64 v74, |v70|, |v70|
	s_delay_alu instid0(VALU_DEP_1) | instskip(SKIP_1) | instid1(VALU_DEP_2)
	v_mul_f32_e32 v91, 0x3fb8aa3b, v74
	v_cmp_ngt_f32_e32 vcc_lo, 0xc2ce8ed0, v74
	v_rndne_f32_e32 v99, v91
	v_fma_f32 v100, 0x3fb8aa3b, v74, -v91
	s_delay_alu instid0(VALU_DEP_1) | instskip(SKIP_1) | instid1(VALU_DEP_2)
	v_dual_sub_f32 v91, v91, v99 :: v_dual_fmac_f32 v100, 0x32a5705f, v74
	v_cvt_i32_f32_e32 v99, v99
	v_add_f32_e32 v91, v91, v100
	s_delay_alu instid0(VALU_DEP_1) | instskip(NEXT) | instid1(TRANS32_DEP_1)
	v_exp_f32_e32 v91, v91
	v_ldexp_f32 v91, v91, v99
	s_wait_alu 0xfffd
	s_delay_alu instid0(VALU_DEP_1) | instskip(SKIP_2) | instid1(VALU_DEP_2)
	v_cndmask_b32_e32 v91, 0, v91, vcc_lo
	v_cmp_nlt_f32_e32 vcc_lo, 0x42b17218, v74
	s_wait_alu 0xfffd
	v_cndmask_b32_e32 v74, 0x7f800000, v91, vcc_lo
	s_delay_alu instid0(VALU_DEP_1) | instskip(NEXT) | instid1(VALU_DEP_1)
	v_add_f32_e32 v74, 1.0, v74
	v_rcp_f32_e32 v74, v74
	s_delay_alu instid0(TRANS32_DEP_1)
	v_fma_f32 v99, v74, -2.0, 1.0
.LBB81_71:                              ;   in Loop: Header=BB81_9 Depth=1
	s_wait_alu 0xfffe
	s_and_not1_saveexec_b32 s24, s24
	s_cbranch_execz .LBB81_73
; %bb.72:                               ;   in Loop: Header=BB81_9 Depth=1
	v_mul_f32_e32 v74, v70, v70
	s_delay_alu instid0(VALU_DEP_1) | instskip(NEXT) | instid1(VALU_DEP_1)
	v_fmaak_f32 v91, s5, v74, 0x3ca908c9
	v_fmaak_f32 v91, v74, v91, 0xbd5c1c4e
	s_delay_alu instid0(VALU_DEP_1) | instskip(NEXT) | instid1(VALU_DEP_1)
	v_fmaak_f32 v91, v74, v91, 0x3e088382
	v_fmaak_f32 v91, v74, v91, 0xbeaaaa99
	s_delay_alu instid0(VALU_DEP_1) | instskip(NEXT) | instid1(VALU_DEP_1)
	v_mul_f32_e64 v91, |v70|, v91
	v_fma_f32 v99, v74, v91, |v70|
.LBB81_73:                              ;   in Loop: Header=BB81_9 Depth=1
	s_wait_alu 0xfffe
	s_or_b32 exec_lo, exec_lo, s24
	v_cvt_f32_f16_e32 v91, v90
	v_bfi_b32 v67, 0x7fffffff, v73, v67
	v_cvt_f32_f16_e32 v90, v94
	v_bfi_b32 v68, 0x7fffffff, v97, v68
	v_cvt_f32_f16_e32 v74, v95
	v_cvt_f32_f16_e32 v73, v96
	v_fmac_f32_e32 v91, s3, v67
	v_bfi_b32 v67, 0x7fffffff, v98, v69
	v_bfi_b32 v69, 0x7fffffff, v99, v70
	s_wait_dscnt 0x0
	v_dual_fmac_f32 v90, s3, v68 :: v_dual_max_num_f32 v1, v1, v1
	v_max_num_f32_e32 v0, v0, v0
	s_delay_alu instid0(VALU_DEP_3) | instskip(NEXT) | instid1(VALU_DEP_3)
	v_dual_add_f32 v68, 0x40051340, v91 :: v_dual_fmac_f32 v73, s3, v69
	v_dual_fmac_f32 v74, s3, v67 :: v_dual_add_f32 v67, 0x40051340, v90
	s_mul_u64 s[24:25], s[10:11], s[14:15]
	s_delay_alu instid0(VALU_DEP_1) | instskip(NEXT) | instid1(VALU_DEP_2)
	v_dual_add_f32 v70, 0x40051340, v73 :: v_dual_add_f32 v69, 0x40051340, v74
	v_max3_num_f32 v67, v60, v68, v67
	v_max_num_f32_e32 v68, v93, v93
	s_wait_alu 0xfffe
	s_lshl_b64 s[24:25], s[24:25], 2
	s_barrier_signal -1
	s_wait_alu 0xfffe
	s_add_nc_u64 s[24:25], s[8:9], s[24:25]
	v_max3_num_f32 v67, v67, v69, v70
	v_dual_max_num_f32 v70, v89, v89 :: v_dual_max_num_f32 v69, v92, v92
	s_barrier_wait -1
	global_inv scope:SCOPE_SE
	ds_bpermute_b32 v89, v2, v67
	v_max_num_f32_e32 v88, v88, v88
	v_dual_max_num_f32 v2, v0, v1 :: v_dual_max_num_f32 v1, v69, v68
	s_wait_alu 0xfffe
	v_add_co_u32 v68, vcc_lo, s24, v12
	s_wait_alu 0xfffd
	v_add_co_ci_u32_e64 v69, null, s25, v13, vcc_lo
	v_sub_f32_e32 v75, v75, v1
	v_sub_f32_e32 v105, v87, v1
	;; [unrolled: 1-line block ×8, first 2 shown]
	s_wait_dscnt 0x0
	v_dual_max_num_f32 v89, v89, v89 :: v_dual_max_num_f32 v0, v88, v70
	v_add_co_u32 v70, vcc_lo, s24, v14
	s_wait_alu 0xfffd
	v_add_co_ci_u32_e64 v88, null, s25, v15, vcc_lo
	s_delay_alu instid0(VALU_DEP_3)
	v_dual_max_num_f32 v94, v67, v89 :: v_dual_sub_f32 v65, v65, v0
	v_sub_f32_e32 v102, v80, v0
	v_add_co_u32 v92, vcc_lo, s24, v16
	ds_bpermute_b32 v85, v85, v94
	v_mul_f32_e32 v111, 0x3fb8aa3b, v65
	v_mul_f32_e32 v109, 0x3fb8aa3b, v102
	s_wait_alu 0xfffd
	v_add_co_ci_u32_e64 v93, null, s25, v17, vcc_lo
	v_add_co_u32 v95, vcc_lo, s24, v18
	s_wait_alu 0xfffd
	v_add_co_ci_u32_e64 v97, null, s25, v19, vcc_lo
	v_sub_f32_e32 v101, v83, v0
	v_sub_f32_e32 v100, v82, v0
	v_add_co_u32 v67, vcc_lo, v68, v49
	s_wait_alu 0xfffd
	v_add_co_ci_u32_e64 v68, null, 0, v69, vcc_lo
	v_add_co_u32 v69, vcc_lo, v70, v49
	s_wait_alu 0xfffd
	v_add_co_ci_u32_e64 v70, null, 0, v88, vcc_lo
	v_add_co_u32 v88, vcc_lo, v92, v49
	s_wait_dscnt 0x0
	v_max_num_f32_e32 v80, v85, v85
	v_sub_f32_e32 v103, v81, v0
	v_mul_f32_e32 v107, 0x3fb8aa3b, v101
	s_wait_alu 0xfffd
	v_add_co_ci_u32_e64 v89, null, 0, v93, vcc_lo
	v_max_num_f32_e32 v108, v94, v80
	v_add_co_u32 v96, vcc_lo, v95, v49
	s_wait_alu 0xfffd
	v_add_co_ci_u32_e64 v97, null, 0, v97, vcc_lo
	ds_bpermute_b32 v113, v84, v108
	v_mul_f32_e32 v106, 0x3fb8aa3b, v100
	s_clause 0x3
	global_load_b128 v[80:83], v[67:68], off
	global_load_b128 v[84:87], v[69:70], off
	;; [unrolled: 1-line block ×4, first 2 shown]
	v_rndne_f32_e32 v88, v107
	v_mul_f32_e32 v110, 0x3fb8aa3b, v103
	v_fma_f32 v70, 0x3fb8aa3b, v101, -v107
	v_fma_f32 v89, 0x3fb8aa3b, v102, -v109
	v_rndne_f32_e32 v114, v109
	v_mul_f32_e32 v112, 0x3fb8aa3b, v104
	v_sub_f32_e32 v107, v107, v88
	v_fma_f32 v115, 0x3fb8aa3b, v103, -v110
	v_dual_fmac_f32 v70, 0x32a5705f, v101 :: v_dual_fmac_f32 v89, 0x32a5705f, v102
	v_sub_f32_e32 v109, v109, v114
	v_fma_f32 v119, 0x3fb8aa3b, v104, -v112
	s_delay_alu instid0(VALU_DEP_4) | instskip(SKIP_2) | instid1(VALU_DEP_4)
	v_fmac_f32_e32 v115, 0x32a5705f, v103
	v_rndne_f32_e32 v116, v110
	v_fma_f32 v117, 0x3fb8aa3b, v65, -v111
	v_dual_add_f32 v70, v107, v70 :: v_dual_fmac_f32 v119, 0x32a5705f, v104
	s_wait_dscnt 0x0
	v_max_num_f32_e32 v113, v113, v113
	v_fma_f32 v67, 0x3fb8aa3b, v100, -v106
	v_rndne_f32_e32 v69, v106
	v_dual_sub_f32 v110, v110, v116 :: v_dual_fmac_f32 v117, 0x32a5705f, v65
	s_delay_alu instid0(VALU_DEP_3) | instskip(NEXT) | instid1(VALU_DEP_3)
	v_dual_max_num_f32 v108, v108, v113 :: v_dual_fmac_f32 v67, 0x32a5705f, v100
	v_sub_f32_e32 v106, v106, v69
	v_cvt_i32_f32_e32 v69, v69
	v_add_f32_e32 v89, v109, v89
	ds_bpermute_b32 v79, v79, v108
	v_exp_f32_e32 v70, v70
	v_add_f32_e32 v67, v106, v67
	v_rndne_f32_e32 v118, v111
	v_cvt_i32_f32_e32 v88, v88
	v_add_f32_e32 v106, v110, v115
	v_exp_f32_e32 v89, v89
	v_exp_f32_e32 v67, v67
	v_cmp_ngt_f32_e32 vcc_lo, 0xc2ce8ed0, v100
	v_dual_mul_f32 v68, 0x3fb8aa3b, v105 :: v_dual_sub_f32 v111, v111, v118
	v_cvt_i32_f32_e32 v110, v114
	v_ldexp_f32 v70, v70, v88
	v_exp_f32_e32 v106, v106
	v_rndne_f32_e32 v120, v112
	s_or_b32 s24, s10, 64
	s_delay_alu instid0(TRANS32_DEP_2)
	v_ldexp_f32 v67, v67, v69
	s_wait_alu 0xfffe
	s_ashr_i32 s25, s24, 31
	s_wait_dscnt 0x0
	v_max_num_f32_e32 v69, v79, v79
	v_ldexp_f32 v79, v89, v110
	s_wait_alu 0xfffd
	v_cndmask_b32_e32 v67, 0, v67, vcc_lo
	v_cmp_ngt_f32_e32 vcc_lo, 0xc2ce8ed0, v101
	v_add_f32_e32 v107, v111, v117
	v_cvt_i32_f32_e32 v111, v116
	s_wait_alu 0xfffe
	s_mul_u64 s[24:25], s[24:25], s[14:15]
	s_wait_alu 0xfffd
	v_cndmask_b32_e32 v70, 0, v70, vcc_lo
	v_cmp_ngt_f32_e32 vcc_lo, 0xc2ce8ed0, v102
	v_exp_f32_e32 v107, v107
	v_ldexp_f32 v88, v106, v111
	s_wait_alu 0xfffe
	s_lshl_b64 s[24:25], s[24:25], 2
	s_wait_alu 0xfffd
	v_cndmask_b32_e32 v79, 0, v79, vcc_lo
	v_cmp_nlt_f32_e32 vcc_lo, 0x42b17218, v100
	s_wait_alu 0xfffe
	s_add_nc_u64 s[24:25], s[8:9], s[24:25]
	s_wait_alu 0xfffd
	v_cndmask_b32_e32 v67, 0x7f800000, v67, vcc_lo
	v_cmp_nlt_f32_e32 vcc_lo, 0x42b17218, v101
	v_sub_f32_e32 v109, v112, v120
	v_cvt_i32_f32_e32 v112, v118
	s_wait_alu 0xfffd
	v_cndmask_b32_e32 v70, 0x7f800000, v70, vcc_lo
	v_cmp_ngt_f32_e32 vcc_lo, 0xc2ce8ed0, v103
	v_add_f32_e32 v109, v109, v119
	v_ldexp_f32 v89, v107, v112
	s_delay_alu instid0(VALU_DEP_4)
	v_add_f32_e32 v100, v67, v70
	s_wait_alu 0xfffd
	v_cndmask_b32_e32 v88, 0, v88, vcc_lo
	v_cmp_nlt_f32_e32 vcc_lo, 0x42b17218, v102
	v_mul_f32_e32 v102, 0x3fb8aa3b, v76
	v_cvt_f16_f32_e32 v70, v70
	s_wait_alu 0xfffd
	v_cndmask_b32_e32 v79, 0x7f800000, v79, vcc_lo
	v_cmp_ngt_f32_e32 vcc_lo, 0xc2ce8ed0, v65
	s_wait_alu 0xfffd
	s_delay_alu instid0(VALU_DEP_2)
	v_dual_add_f32 v100, v79, v100 :: v_dual_cndmask_b32 v89, 0, v89
	v_cmp_nlt_f32_e32 vcc_lo, 0x42b17218, v103
	s_wait_alu 0xfffd
	v_dual_cndmask_b32 v88, 0x7f800000, v88 :: v_dual_max_num_f32 v69, v108, v69
	v_cmp_nlt_f32_e32 vcc_lo, 0x42b17218, v65
	ds_bpermute_b32 v3, v3, v69
	s_wait_alu 0xfffd
	v_cndmask_b32_e32 v65, 0x7f800000, v89, vcc_lo
	v_cvt_f16_f32_e32 v89, v67
	v_add_f32_e32 v67, v88, v100
	v_cmp_ngt_f32_e32 vcc_lo, 0xc2ce8ed0, v104
	s_delay_alu instid0(VALU_DEP_4) | instskip(NEXT) | instid1(VALU_DEP_3)
	v_cvt_f16_f32_e32 v100, v65
	v_fmac_f32_e32 v67, v64, v65
	v_exp_f32_e32 v65, v109
	s_delay_alu instid0(VALU_DEP_2) | instskip(SKIP_1) | instid1(VALU_DEP_2)
	v_and_b32_e32 v64, 0xffff, v100
	v_rndne_f32_e32 v100, v68
	v_mul_u32_u24_e32 v101, 0x10001, v64
	v_cvt_i32_f32_e32 v64, v120
	s_wait_dscnt 0x0
	v_max_num_f32_e32 v3, v3, v3
	s_delay_alu instid0(VALU_DEP_3) | instskip(SKIP_1) | instid1(TRANS32_DEP_1)
	v_pk_mul_f16 v103, v57, v101
	v_sub_f32_e32 v57, v63, v1
	v_ldexp_f32 v63, v65, v64
	v_fma_f32 v65, 0x3fb8aa3b, v76, -v102
	v_max_num_f32_e32 v3, v69, v3
	v_cvt_f16_f32_e32 v69, v88
	v_fma_f32 v88, 0x3fb8aa3b, v105, -v68
	s_wait_alu 0xfffd
	v_dual_sub_f32 v68, v68, v100 :: v_dual_cndmask_b32 v63, 0, v63
	v_cmp_nlt_f32_e32 vcc_lo, 0x42b17218, v104
	v_cvt_i32_f32_e32 v100, v100
	v_fmac_f32_e32 v88, 0x32a5705f, v105
	v_cvt_f16_f32_e32 v79, v79
	s_wait_alu 0xfffd
	v_cndmask_b32_e32 v63, 0x7f800000, v63, vcc_lo
	v_cmp_ngt_f32_e32 vcc_lo, 0xc2ce8ed0, v105
	v_add_f32_e32 v64, v68, v88
	v_rndne_f32_e32 v68, v102
	s_delay_alu instid0(VALU_DEP_2) | instskip(NEXT) | instid1(VALU_DEP_1)
	v_exp_f32_e32 v64, v64
	v_sub_f32_e32 v88, v102, v68
	v_cvt_i32_f32_e32 v68, v68
	v_sub_f32_e32 v74, v74, v3
	v_sub_f32_e32 v73, v73, v3
	;; [unrolled: 1-line block ×3, first 2 shown]
	s_delay_alu instid0(TRANS32_DEP_1) | instskip(SKIP_1) | instid1(VALU_DEP_1)
	v_ldexp_f32 v64, v64, v100
	s_wait_alu 0xfffd
	v_cndmask_b32_e32 v64, 0, v64, vcc_lo
	v_mul_f32_e32 v102, 0x3fb8aa3b, v75
	v_cmp_nlt_f32_e32 vcc_lo, 0x42b17218, v105
	s_delay_alu instid0(VALU_DEP_2) | instskip(SKIP_3) | instid1(VALU_DEP_3)
	v_rndne_f32_e32 v104, v102
	s_wait_alu 0xfffd
	v_cndmask_b32_e32 v64, 0x7f800000, v64, vcc_lo
	v_cmp_ngt_f32_e32 vcc_lo, 0xc2ce8ed0, v76
	v_sub_f32_e32 v100, v102, v104
	v_fmac_f32_e32 v65, 0x32a5705f, v76
	v_mul_f32_e32 v106, 0x3fb8aa3b, v57
	s_delay_alu instid0(VALU_DEP_1) | instskip(NEXT) | instid1(VALU_DEP_3)
	v_rndne_f32_e32 v107, v106
	v_add_f32_e32 v65, v88, v65
	v_fma_f32 v88, 0x3fb8aa3b, v75, -v102
	v_fma_f32 v102, 0x3fb8aa3b, v57, -v106
	s_delay_alu instid0(VALU_DEP_2) | instskip(NEXT) | instid1(VALU_DEP_2)
	v_fmac_f32_e32 v88, 0x32a5705f, v75
	v_fmac_f32_e32 v102, 0x32a5705f, v57
	s_delay_alu instid0(VALU_DEP_2) | instskip(SKIP_4) | instid1(TRANS32_DEP_1)
	v_add_f32_e32 v88, v100, v88
	v_sub_f32_e32 v100, v106, v107
	v_exp_f32_e32 v65, v65
	v_cvt_f16_f32_e32 v105, v63
	v_add_f32_e32 v63, v63, v64
	v_ldexp_f32 v65, v65, v68
	v_exp_f32_e32 v68, v88
	v_add_f32_e32 v88, v100, v102
	v_cvt_i32_f32_e32 v100, v104
	s_wait_alu 0xfffd
	v_dual_mul_f32 v104, 0x3fb8aa3b, v71 :: v_dual_cndmask_b32 v65, 0, v65
	v_cmp_nlt_f32_e32 vcc_lo, 0x42b17218, v76
	v_exp_f32_e32 v88, v88
	v_cvt_i32_f32_e32 v76, v107
	s_delay_alu instid0(TRANS32_DEP_2) | instskip(SKIP_1) | instid1(VALU_DEP_1)
	v_ldexp_f32 v68, v68, v100
	v_mul_f32_e32 v100, 0x3fb8aa3b, v78
	v_rndne_f32_e32 v102, v100
	s_wait_alu 0xfffd
	v_cndmask_b32_e32 v65, 0x7f800000, v65, vcc_lo
	v_cmp_ngt_f32_e32 vcc_lo, 0xc2ce8ed0, v75
	s_delay_alu instid0(TRANS32_DEP_1) | instskip(SKIP_1) | instid1(VALU_DEP_4)
	v_ldexp_f32 v76, v88, v76
	v_fma_f32 v88, 0x3fb8aa3b, v78, -v100
	v_dual_sub_f32 v100, v100, v102 :: v_dual_add_f32 v63, v65, v63
	s_wait_alu 0xfffd
	v_cndmask_b32_e32 v68, 0, v68, vcc_lo
	v_cmp_nlt_f32_e32 vcc_lo, 0x42b17218, v75
	v_fmac_f32_e32 v88, 0x32a5705f, v78
	v_cvt_f16_f32_e32 v64, v64
	s_wait_alu 0xfffd
	v_cndmask_b32_e32 v75, 0x7f800000, v68, vcc_lo
	v_cmp_ngt_f32_e32 vcc_lo, 0xc2ce8ed0, v57
	s_wait_alu 0xfffd
	v_cndmask_b32_e32 v76, 0, v76, vcc_lo
	v_cmp_nlt_f32_e32 vcc_lo, 0x42b17218, v57
	v_dual_add_f32 v68, v75, v63 :: v_dual_add_f32 v63, v100, v88
	v_cvt_f16_f32_e32 v88, v65
	v_cvt_i32_f32_e32 v100, v102
	s_wait_alu 0xfffd
	v_cndmask_b32_e32 v57, 0x7f800000, v76, vcc_lo
	v_mul_f32_e32 v76, 0x3fb8aa3b, v77
	v_cmp_ngt_f32_e32 vcc_lo, 0xc2ce8ed0, v78
	s_delay_alu instid0(VALU_DEP_3) | instskip(SKIP_1) | instid1(VALU_DEP_3)
	v_fmac_f32_e32 v68, v62, v57
	v_exp_f32_e32 v62, v63
	v_fma_f32 v63, 0x3fb8aa3b, v77, -v76
	v_rndne_f32_e32 v65, v76
	v_cvt_f16_f32_e32 v57, v57
	v_sub_f32_e32 v72, v72, v2
	v_cvt_f16_f32_e32 v75, v75
	v_fmac_f32_e32 v63, 0x32a5705f, v77
	v_sub_f32_e32 v76, v76, v65
	v_and_b32_e32 v57, 0xffff, v57
	v_mul_f32_e32 v102, 0x3fb8aa3b, v72
	v_ldexp_f32 v62, v62, v100
	v_cvt_i32_f32_e32 v65, v65
	v_add_f32_e32 v63, v76, v63
	v_pack_b32_f16 v69, v69, v75
	v_fma_f32 v76, 0x3fb8aa3b, v72, -v102
	s_wait_alu 0xfffd
	v_cndmask_b32_e32 v62, 0, v62, vcc_lo
	v_cmp_nlt_f32_e32 vcc_lo, 0x42b17218, v78
	v_exp_f32_e32 v63, v63
	v_rndne_f32_e32 v100, v102
	v_fmac_f32_e32 v76, 0x32a5705f, v72
	v_fma_f32 v78, 0x3fb8aa3b, v71, -v104
	s_wait_alu 0xfffd
	v_cndmask_b32_e32 v62, 0x7f800000, v62, vcc_lo
	v_cmp_ngt_f32_e32 vcc_lo, 0xc2ce8ed0, v77
	s_delay_alu instid0(VALU_DEP_3) | instskip(NEXT) | instid1(VALU_DEP_3)
	v_fmac_f32_e32 v78, 0x32a5705f, v71
	v_cvt_f16_f32_e32 v106, v62
	s_delay_alu instid0(TRANS32_DEP_1) | instskip(SKIP_1) | instid1(VALU_DEP_1)
	v_ldexp_f32 v63, v63, v65
	s_wait_alu 0xfffd
	v_cndmask_b32_e32 v63, 0, v63, vcc_lo
	v_cmp_nlt_f32_e32 vcc_lo, 0x42b17218, v77
	v_sub_f32_e32 v102, v102, v100
	v_cvt_i32_f32_e32 v100, v100
	s_wait_alu 0xfffd
	s_delay_alu instid0(VALU_DEP_2) | instskip(SKIP_2) | instid1(VALU_DEP_3)
	v_dual_cndmask_b32 v63, 0x7f800000, v63 :: v_dual_add_f32 v76, v102, v76
	v_rndne_f32_e32 v102, v104
	v_cmp_ngt_f32_e32 vcc_lo, 0xc2ce8ed0, v72
	v_exp_f32_e32 v65, v76
	s_delay_alu instid0(VALU_DEP_2) | instskip(NEXT) | instid1(VALU_DEP_1)
	v_sub_f32_e32 v76, v104, v102
	v_add_f32_e32 v76, v76, v78
	s_delay_alu instid0(TRANS32_DEP_1) | instskip(NEXT) | instid1(VALU_DEP_2)
	v_ldexp_f32 v65, v65, v100
	v_exp_f32_e32 v76, v76
	v_add_f32_e32 v100, v62, v63
	s_wait_alu 0xfffd
	s_delay_alu instid0(VALU_DEP_2) | instskip(SKIP_3) | instid1(VALU_DEP_3)
	v_cndmask_b32_e32 v62, 0, v65, vcc_lo
	v_cvt_i32_f32_e32 v65, v102
	v_cmp_nlt_f32_e32 vcc_lo, 0x42b17218, v72
	s_wait_alu 0xfffd
	v_cndmask_b32_e32 v72, 0x7f800000, v62, vcc_lo
	v_cvt_f16_f32_e32 v62, v63
	s_delay_alu instid0(TRANS32_DEP_1) | instskip(SKIP_2) | instid1(VALU_DEP_2)
	v_ldexp_f32 v63, v76, v65
	v_cmp_ngt_f32_e32 vcc_lo, 0xc2ce8ed0, v71
	s_wait_alu 0xfffd
	v_cndmask_b32_e32 v63, 0, v63, vcc_lo
	v_cmp_nlt_f32_e32 vcc_lo, 0x42b17218, v71
	s_wait_alu 0xfffd
	s_delay_alu instid0(VALU_DEP_2) | instskip(SKIP_2) | instid1(VALU_DEP_1)
	v_cndmask_b32_e32 v71, 0x7f800000, v63, vcc_lo
	v_cmp_ngt_f32_e32 vcc_lo, 0xc2ce8ed0, v61
	v_mul_f32_e32 v104, 0x3fb8aa3b, v61
	v_fma_f32 v78, 0x3fb8aa3b, v61, -v104
	v_rndne_f32_e32 v107, v104
	s_delay_alu instid0(VALU_DEP_1) | instskip(NEXT) | instid1(VALU_DEP_1)
	v_dual_fmac_f32 v78, 0x32a5705f, v61 :: v_dual_sub_f32 v77, v104, v107
	v_dual_add_f32 v77, v77, v78 :: v_dual_sub_f32 v78, v91, v3
	v_cvt_i32_f32_e32 v91, v107
	s_delay_alu instid0(VALU_DEP_2) | instskip(NEXT) | instid1(VALU_DEP_2)
	v_exp_f32_e32 v65, v77
	v_mul_f32_e32 v76, 0x3fb8aa3b, v78
	s_delay_alu instid0(VALU_DEP_1) | instskip(SKIP_1) | instid1(TRANS32_DEP_1)
	v_fma_f32 v102, 0x3fb8aa3b, v78, -v76
	v_rndne_f32_e32 v104, v76
	v_ldexp_f32 v63, v65, v91
	s_delay_alu instid0(VALU_DEP_2)
	v_dual_fmac_f32 v102, 0x32a5705f, v78 :: v_dual_sub_f32 v65, v76, v104
	v_mul_f32_e32 v76, 0x3fb8aa3b, v90
	v_cvt_f16_f32_e32 v91, v71
	s_wait_alu 0xfffd
	v_cndmask_b32_e32 v63, 0, v63, vcc_lo
	v_cmp_nlt_f32_e32 vcc_lo, 0x42b17218, v61
	v_add_f32_e32 v65, v65, v102
	v_fma_f32 v102, 0x3fb8aa3b, v90, -v76
	v_rndne_f32_e32 v107, v76
	s_wait_alu 0xfffd
	v_cndmask_b32_e32 v108, 0x7f800000, v63, vcc_lo
	v_exp_f32_e32 v61, v65
	s_delay_alu instid0(VALU_DEP_2)
	v_dual_fmac_f32 v102, 0x32a5705f, v90 :: v_dual_sub_f32 v63, v76, v107
	v_mul_f32_e32 v65, 0x3fb8aa3b, v74
	v_cvt_i32_f32_e32 v76, v104
	v_sub_f32_e32 v104, v60, v3
	v_cmp_ngt_f32_e32 vcc_lo, 0xc2ce8ed0, v78
	v_add_f32_e32 v60, v63, v102
	v_fma_f32 v63, 0x3fb8aa3b, v74, -v65
	v_cvt_i32_f32_e32 v107, v107
	s_delay_alu instid0(TRANS32_DEP_1)
	v_ldexp_f32 v61, v61, v76
	v_rndne_f32_e32 v76, v65
	v_exp_f32_e32 v60, v60
	v_fmac_f32_e32 v63, 0x32a5705f, v74
	s_wait_alu 0xfffd
	v_cndmask_b32_e32 v61, 0, v61, vcc_lo
	v_sub_f32_e32 v65, v65, v76
	v_cmp_nlt_f32_e32 vcc_lo, 0x42b17218, v78
	v_cvt_i32_f32_e32 v76, v76
	s_delay_alu instid0(VALU_DEP_3)
	v_dual_add_f32 v63, v65, v63 :: v_dual_mul_f32 v102, 0x3fb8aa3b, v73
	s_wait_alu 0xfffd
	v_cndmask_b32_e32 v78, 0x7f800000, v61, vcc_lo
	v_mul_f32_e32 v65, 0x3fb8aa3b, v104
	v_ldexp_f32 v60, v60, v107
	v_exp_f32_e32 v63, v63
	v_fma_f32 v109, 0x3fb8aa3b, v73, -v102
	v_rndne_f32_e32 v110, v102
	v_rndne_f32_e32 v107, v65
	v_cvt_f16_f32_e32 v77, v72
	s_delay_alu instid0(VALU_DEP_3) | instskip(SKIP_1) | instid1(TRANS32_DEP_1)
	v_dual_fmac_f32 v109, 0x32a5705f, v73 :: v_dual_sub_f32 v102, v102, v110
	v_cmp_ngt_f32_e32 vcc_lo, 0xc2ce8ed0, v90
	v_ldexp_f32 v63, v63, v76
	s_delay_alu instid0(VALU_DEP_3)
	v_add_f32_e32 v61, v102, v109
	v_fma_f32 v102, 0x3fb8aa3b, v104, -v65
	s_wait_alu 0xfffd
	v_cndmask_b32_e32 v60, 0, v60, vcc_lo
	v_cvt_i32_f32_e32 v109, v110
	v_sub_f32_e32 v65, v65, v107
	v_exp_f32_e32 v61, v61
	v_fmac_f32_e32 v102, 0x32a5705f, v104
	v_cmp_nlt_f32_e32 vcc_lo, 0x42b17218, v90
	s_wait_alu 0xfffd
	v_cndmask_b32_e32 v76, 0x7f800000, v60, vcc_lo
	s_delay_alu instid0(TRANS32_DEP_1) | instskip(SKIP_2) | instid1(VALU_DEP_4)
	v_ldexp_f32 v60, v61, v109
	v_add_f32_e32 v61, v65, v102
	v_cmp_ngt_f32_e32 vcc_lo, 0xc2ce8ed0, v74
	v_cvt_f16_f32_e32 v65, v76
	v_add_nc_u32_e32 v109, v44, v32
	s_delay_alu instid0(VALU_DEP_4)
	v_exp_f32_e32 v61, v61
	s_wait_alu 0xfffd
	v_cndmask_b32_e32 v63, 0, v63, vcc_lo
	v_cmp_ngt_f32_e32 vcc_lo, 0xc2ce8ed0, v73
	s_wait_alu 0xfffd
	v_cndmask_b32_e32 v60, 0, v60, vcc_lo
	v_cmp_nlt_f32_e32 vcc_lo, 0x42b17218, v74
	s_wait_alu 0xfffd
	v_cndmask_b32_e32 v74, 0x7f800000, v63, vcc_lo
	v_cmp_nlt_f32_e32 vcc_lo, 0x42b17218, v73
	v_cvt_f16_f32_e32 v63, v78
	s_delay_alu instid0(VALU_DEP_3) | instskip(SKIP_3) | instid1(VALU_DEP_2)
	v_cvt_f16_f32_e32 v73, v74
	s_wait_alu 0xfffd
	v_cndmask_b32_e32 v90, 0x7f800000, v60, vcc_lo
	v_cvt_i32_f32_e32 v60, v107
	v_cvt_f16_f32_e32 v102, v90
	s_delay_alu instid0(VALU_DEP_2)
	v_ldexp_f32 v107, v61, v60
	v_pack_b32_f16 v61, v106, v63
	v_pack_b32_f16 v60, v89, v105
	;; [unrolled: 1-line block ×5, first 2 shown]
	v_cvt_f16_f32_e32 v73, v108
	v_pack_b32_f16 v64, v79, v88
	v_pack_b32_f16 v70, v91, v102
	ds_store_2addr_b64 v109, v[60:61], v[62:63] offset1:32
	ds_store_2addr_b64 v109, v[64:65], v[69:70] offset0:64 offset1:96
	s_wait_loadcnt 0x3
	ds_store_b128 v42, v[80:83]
	s_wait_loadcnt 0x2
	ds_store_b128 v45, v[84:87]
	;; [unrolled: 2-line block ×4, first 2 shown]
	v_mul_u32_u24_e32 v83, 0x10001, v57
	v_and_b32_e32 v57, 0xffff, v73
	v_cmp_ngt_f32_e32 vcc_lo, 0xc2ce8ed0, v104
	s_wait_dscnt 0x0
	s_barrier_signal -1
	s_barrier_wait -1
	global_inv scope:SCOPE_SE
	s_wait_alu 0xfffd
	v_cndmask_b32_e32 v75, 0, v107, vcc_lo
	v_cmp_nlt_f32_e32 vcc_lo, 0x42b17218, v104
	ds_load_b128 v[60:63], v44
	v_add_f32_e32 v64, v78, v76
	v_add_f32_e32 v69, v72, v100
	v_mul_u32_u24_e32 v84, 0x10001, v57
	s_wait_alu 0xfffd
	v_cndmask_b32_e32 v65, 0x7f800000, v75, vcc_lo
	v_pk_mul_f16 v55, v55, v83
	s_wait_alu 0xfffe
	v_add_co_u32 v147, vcc_lo, s24, v12
	v_pk_mul_f16 v53, v53, v84
	v_cvt_f16_f32_e32 v75, v65
	s_wait_alu 0xfffd
	v_add_co_ci_u32_e64 v148, null, s25, v13, vcc_lo
	v_add_co_u32 v149, vcc_lo, s24, v14
	s_delay_alu instid0(VALU_DEP_3)
	v_and_b32_e32 v57, 0xffff, v75
	ds_load_b128 v[75:78], v44 offset:16
	v_add_f32_e32 v64, v74, v64
	v_add_f32_e32 v70, v71, v69
	ds_load_2addr_b64 v[71:74], v32 offset1:32
	v_mul_u32_u24_e32 v57, 0x10001, v57
	s_wait_alu 0xfffd
	v_add_co_ci_u32_e64 v150, null, s25, v15, vcc_lo
	v_add_f32_e32 v69, v90, v64
	v_fmac_f32_e32 v70, v58, v108
	s_wait_dscnt 0x2
	v_and_b32_e32 v58, 0xffff, v60
	v_pk_mul_f16 v51, v51, v57
	v_pk_mul_f16 v86, v50, v57
	v_fmac_f32_e32 v69, v59, v65
	v_lshrrev_b32_e32 v59, 16, v60
	v_and_b32_e32 v60, 0xffff, v61
	v_lshrrev_b32_e32 v61, 16, v61
	v_mul_u32_u24_e32 v64, 0x10001, v58
	v_add_co_u32 v147, vcc_lo, v147, v49
	v_mul_u32_u24_e32 v65, 0x10001, v59
	v_mul_u32_u24_e32 v85, 0x10001, v60
	v_mul_u32_u24_e32 v61, 0x10001, v61
	ds_load_b128 v[57:60], v44 offset:32
	ds_load_b128 v[79:82], v44 offset:48
	s_wait_dscnt 0x2
	v_pk_mul_f16 v50, v71, v64
	v_pk_mul_f16 v87, v71, v65
	;; [unrolled: 1-line block ×3, first 2 shown]
	v_pk_fma_f16 v71, v71, v61, v51
	v_lshrrev_b32_e32 v51, 16, v62
	v_pk_fma_f16 v56, v56, v101, v50
	v_and_b32_e32 v50, 0xffff, v62
	v_pk_fma_f16 v54, v54, v83, v87
	v_pk_fma_f16 v83, v52, v84, v88
	;; [unrolled: 1-line block ×4, first 2 shown]
	v_and_b32_e32 v65, 0xffff, v63
	v_lshrrev_b32_e32 v63, 16, v63
	v_mul_u32_u24_e32 v84, 0x10001, v50
	v_mul_u32_u24_e32 v85, 0x10001, v51
	ds_load_2addr_b64 v[50:53], v32 offset0:64 offset1:96
	v_mul_u32_u24_e32 v65, 0x10001, v65
	v_mul_u32_u24_e32 v63, 0x10001, v63
	v_pk_fma_f16 v64, v72, v64, v103
	v_pk_fma_f16 v61, v72, v61, v86
	;; [unrolled: 1-line block ×6, first 2 shown]
	v_and_b32_e32 v73, 0xffff, v75
	v_lshrrev_b32_e32 v75, 16, v75
	v_and_b32_e32 v83, 0xffff, v76
	v_lshrrev_b32_e32 v76, 16, v76
	v_pk_fma_f16 v64, v74, v84, v64
	v_pk_fma_f16 v55, v74, v85, v55
	;; [unrolled: 1-line block ×3, first 2 shown]
	v_mul_u32_u24_e32 v65, 0x10001, v73
	v_mul_u32_u24_e32 v73, 0x10001, v75
	;; [unrolled: 1-line block ×4, first 2 shown]
	v_pk_fma_f16 v74, v74, v63, v61
	v_and_b32_e32 v61, 0xffff, v77
	v_lshrrev_b32_e32 v63, 16, v77
	s_wait_dscnt 0x0
	v_pk_fma_f16 v56, v50, v65, v56
	v_pk_fma_f16 v54, v50, v73, v54
	;; [unrolled: 1-line block ×7, first 2 shown]
	v_and_b32_e32 v73, 0xffff, v78
	v_lshrrev_b32_e32 v75, 16, v78
	v_mul_u32_u24_e32 v77, 0x10001, v61
	v_mul_u32_u24_e32 v78, 0x10001, v63
	ds_load_2addr_b64 v[61:64], v32 offset0:128 offset1:160
	v_mul_u32_u24_e32 v73, 0x10001, v73
	v_mul_u32_u24_e32 v75, 0x10001, v75
	v_pk_fma_f16 v51, v51, v76, v74
	v_pk_fma_f16 v56, v52, v77, v56
	v_pk_fma_f16 v54, v52, v78, v54
	v_pk_fma_f16 v72, v52, v73, v72
	v_pk_fma_f16 v50, v52, v75, v50
	v_pk_fma_f16 v52, v53, v77, v65
	v_and_b32_e32 v65, 0xffff, v57
	v_lshrrev_b32_e32 v57, 16, v57
	v_and_b32_e32 v74, 0xffff, v58
	v_lshrrev_b32_e32 v58, 16, v58
	v_pk_fma_f16 v71, v53, v73, v71
	v_mul_u32_u24_e32 v65, 0x10001, v65
	v_mul_u32_u24_e32 v57, 0x10001, v57
	;; [unrolled: 1-line block ×4, first 2 shown]
	v_pk_fma_f16 v55, v53, v78, v55
	v_pk_fma_f16 v51, v53, v75, v51
	s_wait_dscnt 0x0
	v_pk_fma_f16 v56, v61, v65, v56
	v_pk_fma_f16 v74, v61, v57, v54
	v_pk_fma_f16 v72, v61, v73, v72
	v_pk_fma_f16 v50, v61, v58, v50
	v_pk_fma_f16 v61, v62, v65, v52
	v_and_b32_e32 v52, 0xffff, v59
	v_lshrrev_b32_e32 v53, 16, v59
	v_pk_fma_f16 v57, v62, v57, v55
	v_pk_fma_f16 v59, v62, v73, v71
	v_and_b32_e32 v65, 0xffff, v60
	v_lshrrev_b32_e32 v60, 16, v60
	v_mul_u32_u24_e32 v71, 0x10001, v52
	v_mul_u32_u24_e32 v73, 0x10001, v53
	ds_load_2addr_b64 v[52:55], v32 offset0:192 offset1:224
	v_mul_u32_u24_e32 v65, 0x10001, v65
	v_mul_u32_u24_e32 v60, 0x10001, v60
	v_pk_fma_f16 v51, v62, v58, v51
	v_pk_fma_f16 v56, v63, v71, v56
	;; [unrolled: 1-line block ×6, first 2 shown]
	v_and_b32_e32 v63, 0xffff, v79
	v_lshrrev_b32_e32 v71, 16, v79
	v_pk_fma_f16 v57, v64, v73, v57
	v_and_b32_e32 v72, 0xffff, v80
	v_lshrrev_b32_e32 v73, 16, v80
	v_pk_fma_f16 v65, v64, v65, v59
	v_mul_u32_u24_e32 v59, 0x10001, v63
	v_mul_u32_u24_e32 v63, 0x10001, v71
	;; [unrolled: 1-line block ×4, first 2 shown]
	v_pk_fma_f16 v51, v64, v60, v51
	s_wait_dscnt 0x0
	v_pk_fma_f16 v64, v52, v59, v56
	v_pk_fma_f16 v73, v52, v63, v58
	;; [unrolled: 1-line block ×4, first 2 shown]
	ds_load_b128 v[56:59], v44 offset:64
	v_pk_fma_f16 v74, v52, v71, v62
	v_pk_fma_f16 v50, v52, v72, v50
	v_and_b32_e32 v60, 0xffff, v81
	v_lshrrev_b32_e32 v61, 16, v81
	v_and_b32_e32 v62, 0xffff, v82
	v_add_nc_u32_e32 v52, 0x800, v32
	v_pk_fma_f16 v65, v53, v71, v65
	v_lshrrev_b32_e32 v71, 16, v82
	v_mul_u32_u24_e32 v77, 0x10001, v60
	v_mul_u32_u24_e32 v78, 0x10001, v61
	;; [unrolled: 1-line block ×3, first 2 shown]
	ds_load_2addr_b64 v[60:63], v52 offset1:32
	v_mul_u32_u24_e32 v80, 0x10001, v71
	v_pk_fma_f16 v51, v53, v72, v51
	v_pk_fma_f16 v53, v54, v77, v64
	;; [unrolled: 1-line block ×7, first 2 shown]
	ds_load_b128 v[71:74], v44 offset:80
	s_wait_dscnt 0x2
	v_and_b32_e32 v76, 0xffff, v56
	v_lshrrev_b32_e32 v56, 16, v56
	v_and_b32_e32 v77, 0xffff, v57
	v_lshrrev_b32_e32 v57, 16, v57
	v_pk_fma_f16 v65, v55, v79, v65
	v_mul_u32_u24_e32 v76, 0x10001, v76
	v_mul_u32_u24_e32 v56, 0x10001, v56
	;; [unrolled: 1-line block ×4, first 2 shown]
	v_pk_fma_f16 v51, v55, v80, v51
	s_wait_dscnt 0x1
	v_pk_fma_f16 v78, v60, v76, v53
	v_pk_fma_f16 v64, v60, v56, v64
	;; [unrolled: 1-line block ×5, first 2 shown]
	v_and_b32_e32 v53, 0xffff, v58
	v_lshrrev_b32_e32 v54, 16, v58
	v_pk_fma_f16 v75, v61, v56, v75
	v_pk_fma_f16 v58, v61, v77, v65
	v_and_b32_e32 v65, 0xffff, v59
	v_lshrrev_b32_e32 v59, 16, v59
	v_mul_u32_u24_e32 v76, 0x10001, v53
	v_mul_u32_u24_e32 v77, 0x10001, v54
	ds_load_2addr_b64 v[53:56], v52 offset0:64 offset1:96
	v_mul_u32_u24_e32 v65, 0x10001, v65
	v_mul_u32_u24_e32 v59, 0x10001, v59
	v_pk_fma_f16 v51, v61, v57, v51
	v_pk_fma_f16 v57, v62, v76, v78
	;; [unrolled: 1-line block ×7, first 2 shown]
	s_wait_dscnt 0x1
	v_and_b32_e32 v75, 0xffff, v71
	v_lshrrev_b32_e32 v71, 16, v71
	v_and_b32_e32 v76, 0xffff, v72
	v_lshrrev_b32_e32 v72, 16, v72
	v_pk_fma_f16 v65, v63, v65, v58
	v_mul_u32_u24_e32 v58, 0x10001, v75
	v_mul_u32_u24_e32 v71, 0x10001, v71
	;; [unrolled: 1-line block ×4, first 2 shown]
	v_pk_fma_f16 v51, v63, v59, v51
	s_wait_dscnt 0x0
	v_pk_fma_f16 v76, v53, v58, v57
	v_pk_fma_f16 v77, v53, v71, v61
	;; [unrolled: 1-line block ×5, first 2 shown]
	ds_load_b128 v[57:60], v44 offset:96
	v_pk_fma_f16 v71, v54, v71, v62
	v_and_b32_e32 v61, 0xffff, v73
	v_lshrrev_b32_e32 v62, 16, v73
	v_and_b32_e32 v63, 0xffff, v74
	v_pk_fma_f16 v65, v54, v75, v65
	v_lshrrev_b32_e32 v73, 16, v74
	v_mul_u32_u24_e32 v74, 0x10001, v61
	v_mul_u32_u24_e32 v75, 0x10001, v62
	;; [unrolled: 1-line block ×3, first 2 shown]
	ds_load_2addr_b64 v[61:64], v52 offset0:128 offset1:160
	v_mul_u32_u24_e32 v80, 0x10001, v73
	v_pk_fma_f16 v51, v54, v72, v51
	v_pk_fma_f16 v54, v55, v74, v76
	;; [unrolled: 1-line block ×7, first 2 shown]
	ds_load_b128 v[71:74], v44 offset:112
	s_wait_dscnt 0x2
	v_and_b32_e32 v75, 0xffff, v57
	v_lshrrev_b32_e32 v57, 16, v57
	v_and_b32_e32 v78, 0xffff, v58
	v_lshrrev_b32_e32 v58, 16, v58
	v_pk_fma_f16 v65, v56, v79, v65
	v_mul_u32_u24_e32 v75, 0x10001, v75
	v_mul_u32_u24_e32 v57, 0x10001, v57
	;; [unrolled: 1-line block ×4, first 2 shown]
	v_pk_fma_f16 v51, v56, v80, v51
	s_wait_dscnt 0x1
	v_pk_fma_f16 v79, v61, v75, v54
	v_pk_fma_f16 v76, v61, v57, v76
	;; [unrolled: 1-line block ×5, first 2 shown]
	v_and_b32_e32 v53, 0xffff, v59
	v_lshrrev_b32_e32 v54, 16, v59
	v_pk_fma_f16 v57, v62, v57, v55
	v_pk_fma_f16 v59, v62, v78, v65
	v_and_b32_e32 v65, 0xffff, v60
	v_lshrrev_b32_e32 v60, 16, v60
	v_mul_u32_u24_e32 v75, 0x10001, v53
	v_mul_u32_u24_e32 v78, 0x10001, v54
	ds_load_2addr_b64 v[53:56], v52 offset0:192 offset1:224
	v_mul_u32_u24_e32 v65, 0x10001, v65
	v_mul_u32_u24_e32 v60, 0x10001, v60
	v_pk_fma_f16 v51, v62, v58, v51
	v_pk_fma_f16 v58, v63, v75, v79
	;; [unrolled: 1-line block ×5, first 2 shown]
	s_wait_dscnt 0x1
	v_and_b32_e32 v63, 0xffff, v71
	v_lshrrev_b32_e32 v71, 16, v71
	v_pk_fma_f16 v61, v64, v75, v61
	v_pk_fma_f16 v57, v64, v78, v57
	v_and_b32_e32 v75, 0xffff, v72
	v_lshrrev_b32_e32 v72, 16, v72
	v_pk_fma_f16 v65, v64, v65, v59
	v_mul_u32_u24_e32 v59, 0x10001, v63
	v_mul_u32_u24_e32 v63, 0x10001, v71
	;; [unrolled: 1-line block ×4, first 2 shown]
	v_pk_fma_f16 v51, v64, v60, v51
	s_wait_dscnt 0x0
	v_pk_fma_f16 v75, v53, v59, v58
	v_pk_fma_f16 v78, v54, v59, v61
	;; [unrolled: 1-line block ×3, first 2 shown]
	ds_load_b128 v[57:60], v44 offset:128
	v_pk_fma_f16 v77, v53, v63, v62
	v_pk_fma_f16 v76, v53, v71, v76
	;; [unrolled: 1-line block ×3, first 2 shown]
	v_and_b32_e32 v61, 0xffff, v73
	v_lshrrev_b32_e32 v62, 16, v73
	v_and_b32_e32 v63, 0xffff, v74
	v_add_nc_u32_e32 v53, 0x1000, v32
	v_pk_fma_f16 v65, v54, v71, v65
	v_lshrrev_b32_e32 v71, 16, v74
	v_mul_u32_u24_e32 v73, 0x10001, v61
	v_mul_u32_u24_e32 v74, 0x10001, v62
	;; [unrolled: 1-line block ×3, first 2 shown]
	ds_load_2addr_b64 v[61:64], v53 offset1:32
	v_mul_u32_u24_e32 v81, 0x10001, v71
	v_pk_fma_f16 v51, v54, v72, v51
	v_pk_fma_f16 v54, v55, v73, v75
	;; [unrolled: 1-line block ×7, first 2 shown]
	ds_load_b128 v[71:74], v44 offset:144
	s_wait_dscnt 0x2
	v_and_b32_e32 v78, 0xffff, v57
	v_lshrrev_b32_e32 v57, 16, v57
	v_and_b32_e32 v79, 0xffff, v58
	v_lshrrev_b32_e32 v58, 16, v58
	v_pk_fma_f16 v65, v56, v80, v65
	v_mul_u32_u24_e32 v78, 0x10001, v78
	v_mul_u32_u24_e32 v57, 0x10001, v57
	;; [unrolled: 1-line block ×4, first 2 shown]
	v_pk_fma_f16 v51, v56, v81, v51
	s_wait_dscnt 0x1
	v_pk_fma_f16 v80, v61, v78, v54
	v_pk_fma_f16 v75, v61, v57, v75
	;; [unrolled: 1-line block ×5, first 2 shown]
	v_and_b32_e32 v54, 0xffff, v59
	v_lshrrev_b32_e32 v55, 16, v59
	v_pk_fma_f16 v77, v62, v57, v77
	v_pk_fma_f16 v59, v62, v79, v65
	v_and_b32_e32 v65, 0xffff, v60
	v_lshrrev_b32_e32 v60, 16, v60
	v_mul_u32_u24_e32 v78, 0x10001, v54
	v_mul_u32_u24_e32 v79, 0x10001, v55
	ds_load_2addr_b64 v[54:57], v53 offset0:64 offset1:96
	v_mul_u32_u24_e32 v65, 0x10001, v65
	v_mul_u32_u24_e32 v60, 0x10001, v60
	v_pk_fma_f16 v51, v62, v58, v51
	v_pk_fma_f16 v58, v63, v78, v80
	;; [unrolled: 1-line block ×6, first 2 shown]
	s_wait_dscnt 0x1
	v_and_b32_e32 v76, 0xffff, v71
	v_lshrrev_b32_e32 v71, 16, v71
	v_and_b32_e32 v77, 0xffff, v72
	v_lshrrev_b32_e32 v72, 16, v72
	v_pk_fma_f16 v61, v64, v78, v61
	v_pk_fma_f16 v65, v64, v65, v59
	v_mul_u32_u24_e32 v59, 0x10001, v76
	v_mul_u32_u24_e32 v71, 0x10001, v71
	;; [unrolled: 1-line block ×4, first 2 shown]
	v_pk_fma_f16 v51, v64, v60, v51
	s_wait_dscnt 0x0
	v_pk_fma_f16 v77, v54, v59, v58
	v_pk_fma_f16 v78, v54, v71, v62
	;; [unrolled: 1-line block ×5, first 2 shown]
	ds_load_b128 v[58:61], v44 offset:160
	v_pk_fma_f16 v71, v55, v71, v63
	v_and_b32_e32 v62, 0xffff, v73
	v_lshrrev_b32_e32 v63, 16, v73
	v_and_b32_e32 v64, 0xffff, v74
	v_pk_fma_f16 v76, v55, v76, v65
	v_lshrrev_b32_e32 v73, 16, v74
	v_mul_u32_u24_e32 v74, 0x10001, v62
	v_mul_u32_u24_e32 v79, 0x10001, v63
	;; [unrolled: 1-line block ×3, first 2 shown]
	ds_load_2addr_b64 v[62:65], v53 offset0:128 offset1:160
	v_mul_u32_u24_e32 v81, 0x10001, v73
	v_pk_fma_f16 v51, v55, v72, v51
	v_pk_fma_f16 v55, v56, v74, v77
	;; [unrolled: 1-line block ×7, first 2 shown]
	ds_load_b128 v[71:74], v44 offset:176
	s_wait_dscnt 0x2
	v_and_b32_e32 v78, 0xffff, v58
	v_lshrrev_b32_e32 v58, 16, v58
	v_and_b32_e32 v79, 0xffff, v59
	v_lshrrev_b32_e32 v59, 16, v59
	v_pk_fma_f16 v76, v57, v80, v76
	v_mul_u32_u24_e32 v78, 0x10001, v78
	v_mul_u32_u24_e32 v58, 0x10001, v58
	;; [unrolled: 1-line block ×4, first 2 shown]
	v_pk_fma_f16 v51, v57, v81, v51
	s_wait_dscnt 0x1
	v_pk_fma_f16 v80, v62, v78, v55
	v_pk_fma_f16 v77, v62, v58, v77
	;; [unrolled: 1-line block ×5, first 2 shown]
	v_and_b32_e32 v54, 0xffff, v60
	v_lshrrev_b32_e32 v55, 16, v60
	v_pk_fma_f16 v58, v63, v58, v56
	v_pk_fma_f16 v60, v63, v79, v76
	v_and_b32_e32 v76, 0xffff, v61
	v_lshrrev_b32_e32 v61, 16, v61
	v_mul_u32_u24_e32 v78, 0x10001, v54
	v_mul_u32_u24_e32 v79, 0x10001, v55
	ds_load_2addr_b64 v[54:57], v53 offset0:192 offset1:224
	v_mul_u32_u24_e32 v76, 0x10001, v76
	v_mul_u32_u24_e32 v61, 0x10001, v61
	v_pk_fma_f16 v51, v63, v59, v51
	v_pk_fma_f16 v59, v64, v78, v80
	;; [unrolled: 1-line block ×5, first 2 shown]
	s_wait_dscnt 0x1
	v_and_b32_e32 v64, 0xffff, v71
	v_lshrrev_b32_e32 v71, 16, v71
	v_pk_fma_f16 v62, v65, v78, v62
	v_pk_fma_f16 v58, v65, v79, v58
	v_and_b32_e32 v77, 0xffff, v72
	v_lshrrev_b32_e32 v72, 16, v72
	v_pk_fma_f16 v76, v65, v76, v60
	v_mul_u32_u24_e32 v60, 0x10001, v64
	v_mul_u32_u24_e32 v64, 0x10001, v71
	;; [unrolled: 1-line block ×4, first 2 shown]
	v_pk_fma_f16 v51, v65, v61, v51
	s_wait_dscnt 0x0
	v_pk_fma_f16 v77, v54, v60, v59
	v_pk_fma_f16 v79, v55, v60, v62
	;; [unrolled: 1-line block ×3, first 2 shown]
	ds_load_b128 v[58:61], v44 offset:192
	v_pk_fma_f16 v78, v54, v64, v63
	v_pk_fma_f16 v75, v54, v71, v75
	;; [unrolled: 1-line block ×3, first 2 shown]
	v_and_b32_e32 v62, 0xffff, v73
	v_lshrrev_b32_e32 v63, 16, v73
	v_and_b32_e32 v64, 0xffff, v74
	v_add_nc_u32_e32 v54, 0x1800, v32
	v_pk_fma_f16 v76, v55, v71, v76
	v_lshrrev_b32_e32 v71, 16, v74
	v_mul_u32_u24_e32 v73, 0x10001, v62
	v_mul_u32_u24_e32 v74, 0x10001, v63
	;; [unrolled: 1-line block ×3, first 2 shown]
	ds_load_2addr_b64 v[62:65], v54 offset1:32
	v_mul_u32_u24_e32 v82, 0x10001, v71
	v_pk_fma_f16 v51, v55, v72, v51
	v_pk_fma_f16 v55, v56, v73, v77
	v_pk_fma_f16 v77, v56, v74, v78
	v_pk_fma_f16 v75, v56, v81, v75
	v_pk_fma_f16 v50, v56, v82, v50
	v_pk_fma_f16 v56, v57, v73, v79
	v_pk_fma_f16 v78, v57, v74, v80
	ds_load_b128 v[71:74], v44 offset:208
	s_wait_dscnt 0x2
	v_and_b32_e32 v79, 0xffff, v58
	v_lshrrev_b32_e32 v58, 16, v58
	v_and_b32_e32 v80, 0xffff, v59
	v_lshrrev_b32_e32 v59, 16, v59
	v_pk_fma_f16 v76, v57, v81, v76
	v_mul_u32_u24_e32 v79, 0x10001, v79
	v_mul_u32_u24_e32 v58, 0x10001, v58
	;; [unrolled: 1-line block ×4, first 2 shown]
	v_pk_fma_f16 v51, v57, v82, v51
	s_wait_dscnt 0x1
	v_pk_fma_f16 v81, v62, v79, v55
	v_pk_fma_f16 v77, v62, v58, v77
	v_pk_fma_f16 v75, v62, v80, v75
	v_pk_fma_f16 v50, v62, v59, v50
	v_pk_fma_f16 v62, v63, v79, v56
	v_and_b32_e32 v55, 0xffff, v60
	v_lshrrev_b32_e32 v56, 16, v60
	v_pk_fma_f16 v78, v63, v58, v78
	v_pk_fma_f16 v60, v63, v80, v76
	v_and_b32_e32 v76, 0xffff, v61
	v_lshrrev_b32_e32 v61, 16, v61
	v_mul_u32_u24_e32 v79, 0x10001, v55
	v_mul_u32_u24_e32 v80, 0x10001, v56
	ds_load_2addr_b64 v[55:58], v54 offset0:64 offset1:96
	v_mul_u32_u24_e32 v76, 0x10001, v76
	v_mul_u32_u24_e32 v61, 0x10001, v61
	v_pk_fma_f16 v51, v63, v59, v51
	v_pk_fma_f16 v59, v64, v79, v81
	;; [unrolled: 1-line block ×6, first 2 shown]
	s_wait_dscnt 0x1
	v_and_b32_e32 v77, 0xffff, v71
	v_lshrrev_b32_e32 v71, 16, v71
	v_and_b32_e32 v78, 0xffff, v72
	v_lshrrev_b32_e32 v72, 16, v72
	v_pk_fma_f16 v62, v65, v79, v62
	v_pk_fma_f16 v76, v65, v76, v60
	v_mul_u32_u24_e32 v60, 0x10001, v77
	v_mul_u32_u24_e32 v71, 0x10001, v71
	;; [unrolled: 1-line block ×4, first 2 shown]
	v_pk_fma_f16 v51, v65, v61, v51
	s_wait_dscnt 0x0
	v_pk_fma_f16 v65, v55, v60, v59
	v_pk_fma_f16 v63, v55, v71, v63
	;; [unrolled: 1-line block ×5, first 2 shown]
	ds_load_b128 v[59:62], v44 offset:224
	v_pk_fma_f16 v64, v56, v71, v64
	v_and_b32_e32 v71, 0xffff, v73
	v_lshrrev_b32_e32 v72, 16, v73
	v_and_b32_e32 v73, 0xffff, v74
	v_pk_fma_f16 v79, v56, v77, v76
	v_lshrrev_b32_e32 v76, 16, v74
	v_mul_u32_u24_e32 v77, 0x10001, v71
	v_mul_u32_u24_e32 v80, 0x10001, v72
	;; [unrolled: 1-line block ×3, first 2 shown]
	ds_load_2addr_b64 v[71:74], v54 offset0:128 offset1:160
	v_mul_u32_u24_e32 v82, 0x10001, v76
	v_pk_fma_f16 v51, v56, v78, v51
	v_pk_fma_f16 v56, v57, v77, v65
	;; [unrolled: 1-line block ×7, first 2 shown]
	ds_load_b128 v[75:78], v44 offset:240
	s_wait_dscnt 0x2
	v_and_b32_e32 v64, 0xffff, v59
	v_lshrrev_b32_e32 v59, 16, v59
	v_and_b32_e32 v80, 0xffff, v60
	v_lshrrev_b32_e32 v60, 16, v60
	v_pk_fma_f16 v79, v58, v81, v79
	v_mul_u32_u24_e32 v64, 0x10001, v64
	v_mul_u32_u24_e32 v59, 0x10001, v59
	;; [unrolled: 1-line block ×4, first 2 shown]
	v_pk_fma_f16 v51, v58, v82, v51
	s_wait_dscnt 0x1
	v_pk_fma_f16 v81, v71, v64, v56
	v_pk_fma_f16 v64, v72, v64, v55
	v_and_b32_e32 v55, 0xffff, v61
	v_lshrrev_b32_e32 v56, 16, v61
	v_pk_fma_f16 v63, v71, v59, v63
	v_pk_fma_f16 v65, v71, v80, v65
	;; [unrolled: 1-line block ×5, first 2 shown]
	v_and_b32_e32 v71, 0xffff, v62
	v_lshrrev_b32_e32 v62, 16, v62
	v_mul_u32_u24_e32 v79, 0x10001, v55
	v_mul_u32_u24_e32 v80, 0x10001, v56
	ds_load_2addr_b64 v[55:58], v54 offset0:192 offset1:224
	v_mul_u32_u24_e32 v71, 0x10001, v71
	v_mul_u32_u24_e32 v62, 0x10001, v62
	v_pk_fma_f16 v51, v72, v60, v51
	v_pk_fma_f16 v60, v73, v79, v81
	;; [unrolled: 1-line block ×5, first 2 shown]
	s_wait_dscnt 0x1
	v_and_b32_e32 v72, 0xffff, v75
	v_lshrrev_b32_e32 v73, 16, v75
	v_pk_fma_f16 v64, v74, v79, v64
	v_pk_fma_f16 v59, v74, v80, v59
	v_and_b32_e32 v75, 0xffff, v76
	v_lshrrev_b32_e32 v76, 16, v76
	v_pk_fma_f16 v71, v74, v71, v61
	v_mul_u32_u24_e32 v61, 0x10001, v72
	v_mul_u32_u24_e32 v72, 0x10001, v73
	;; [unrolled: 1-line block ×4, first 2 shown]
	v_pk_fma_f16 v51, v74, v62, v51
	s_wait_dscnt 0x0
	v_pk_fma_f16 v76, v55, v61, v60
	v_pk_fma_f16 v64, v56, v61, v64
	;; [unrolled: 1-line block ×3, first 2 shown]
	ds_load_b128 v[59:62], v44 offset:256
	v_pk_fma_f16 v63, v55, v72, v63
	v_pk_fma_f16 v65, v55, v73, v65
	v_pk_fma_f16 v50, v55, v75, v50
	v_pk_fma_f16 v80, v56, v73, v71
	v_and_b32_e32 v71, 0xffff, v77
	v_lshrrev_b32_e32 v72, 16, v77
	v_and_b32_e32 v73, 0xffff, v78
	v_add_nc_u32_e32 v55, 0x2000, v32
	v_lshrrev_b32_e32 v77, 16, v78
	v_mul_u32_u24_e32 v78, 0x10001, v71
	v_mul_u32_u24_e32 v81, 0x10001, v72
	v_mul_u32_u24_e32 v82, 0x10001, v73
	ds_load_2addr_b64 v[71:74], v55 offset1:32
	v_mul_u32_u24_e32 v83, 0x10001, v77
	v_pk_fma_f16 v51, v56, v75, v51
	v_pk_fma_f16 v56, v57, v78, v76
	;; [unrolled: 1-line block ×7, first 2 shown]
	ds_load_b128 v[75:78], v44 offset:272
	s_wait_dscnt 0x2
	v_and_b32_e32 v79, 0xffff, v59
	v_lshrrev_b32_e32 v59, 16, v59
	v_and_b32_e32 v81, 0xffff, v60
	v_lshrrev_b32_e32 v60, 16, v60
	v_pk_fma_f16 v80, v58, v82, v80
	v_mul_u32_u24_e32 v79, 0x10001, v79
	v_mul_u32_u24_e32 v59, 0x10001, v59
	;; [unrolled: 1-line block ×4, first 2 shown]
	v_pk_fma_f16 v51, v58, v83, v51
	s_wait_dscnt 0x1
	v_pk_fma_f16 v82, v71, v79, v56
	v_pk_fma_f16 v63, v71, v59, v63
	;; [unrolled: 1-line block ×5, first 2 shown]
	v_and_b32_e32 v56, 0xffff, v61
	v_lshrrev_b32_e32 v57, 16, v61
	v_pk_fma_f16 v64, v72, v59, v64
	v_pk_fma_f16 v61, v72, v81, v80
	v_and_b32_e32 v79, 0xffff, v62
	v_lshrrev_b32_e32 v62, 16, v62
	v_mul_u32_u24_e32 v80, 0x10001, v56
	v_mul_u32_u24_e32 v81, 0x10001, v57
	ds_load_2addr_b64 v[56:59], v55 offset0:64 offset1:96
	v_mul_u32_u24_e32 v79, 0x10001, v79
	v_mul_u32_u24_e32 v62, 0x10001, v62
	v_pk_fma_f16 v51, v72, v60, v51
	v_pk_fma_f16 v60, v73, v80, v82
	;; [unrolled: 1-line block ×5, first 2 shown]
	s_wait_dscnt 0x1
	v_and_b32_e32 v72, 0xffff, v75
	v_lshrrev_b32_e32 v73, 16, v75
	v_and_b32_e32 v75, 0xffff, v76
	v_lshrrev_b32_e32 v76, 16, v76
	v_pk_fma_f16 v71, v74, v80, v71
	v_pk_fma_f16 v79, v74, v79, v61
	v_mul_u32_u24_e32 v61, 0x10001, v72
	v_mul_u32_u24_e32 v72, 0x10001, v73
	;; [unrolled: 1-line block ×4, first 2 shown]
	v_pk_fma_f16 v64, v74, v81, v64
	v_pk_fma_f16 v51, v74, v62, v51
	s_wait_dscnt 0x0
	v_pk_fma_f16 v76, v56, v61, v60
	v_pk_fma_f16 v80, v56, v72, v63
	;; [unrolled: 1-line block ×5, first 2 shown]
	ds_load_b128 v[60:63], v44 offset:288
	v_pk_fma_f16 v64, v57, v72, v64
	v_and_b32_e32 v71, 0xffff, v77
	v_lshrrev_b32_e32 v72, 16, v77
	v_and_b32_e32 v74, 0xffff, v78
	v_pk_fma_f16 v79, v57, v73, v79
	v_lshrrev_b32_e32 v77, 16, v78
	v_mul_u32_u24_e32 v78, 0x10001, v71
	v_mul_u32_u24_e32 v81, 0x10001, v72
	;; [unrolled: 1-line block ×3, first 2 shown]
	ds_load_2addr_b64 v[71:74], v55 offset0:128 offset1:160
	v_mul_u32_u24_e32 v83, 0x10001, v77
	v_pk_fma_f16 v51, v57, v75, v51
	v_pk_fma_f16 v57, v58, v78, v76
	;; [unrolled: 1-line block ×7, first 2 shown]
	ds_load_b128 v[75:78], v44 offset:304
	s_wait_dscnt 0x2
	v_and_b32_e32 v64, 0xffff, v60
	v_lshrrev_b32_e32 v60, 16, v60
	v_and_b32_e32 v81, 0xffff, v61
	v_lshrrev_b32_e32 v61, 16, v61
	v_pk_fma_f16 v79, v59, v82, v79
	v_mul_u32_u24_e32 v64, 0x10001, v64
	v_mul_u32_u24_e32 v60, 0x10001, v60
	;; [unrolled: 1-line block ×4, first 2 shown]
	v_pk_fma_f16 v51, v59, v83, v51
	s_wait_dscnt 0x1
	v_pk_fma_f16 v82, v71, v64, v57
	v_pk_fma_f16 v64, v72, v64, v56
	v_and_b32_e32 v56, 0xffff, v62
	v_lshrrev_b32_e32 v57, 16, v62
	v_pk_fma_f16 v80, v71, v60, v80
	v_pk_fma_f16 v65, v71, v81, v65
	;; [unrolled: 1-line block ×5, first 2 shown]
	v_and_b32_e32 v71, 0xffff, v63
	v_lshrrev_b32_e32 v63, 16, v63
	v_mul_u32_u24_e32 v79, 0x10001, v56
	v_mul_u32_u24_e32 v81, 0x10001, v57
	ds_load_2addr_b64 v[56:59], v55 offset0:192 offset1:224
	v_mul_u32_u24_e32 v71, 0x10001, v71
	v_mul_u32_u24_e32 v63, 0x10001, v63
	v_pk_fma_f16 v51, v72, v61, v51
	v_pk_fma_f16 v61, v73, v79, v82
	;; [unrolled: 1-line block ×5, first 2 shown]
	s_wait_dscnt 0x1
	v_and_b32_e32 v73, 0xffff, v75
	v_lshrrev_b32_e32 v75, 16, v75
	v_pk_fma_f16 v64, v74, v79, v64
	v_pk_fma_f16 v60, v74, v81, v60
	v_and_b32_e32 v79, 0xffff, v76
	v_lshrrev_b32_e32 v76, 16, v76
	v_pk_fma_f16 v71, v74, v71, v62
	v_mul_u32_u24_e32 v62, 0x10001, v73
	v_mul_u32_u24_e32 v73, 0x10001, v75
	;; [unrolled: 1-line block ×4, first 2 shown]
	v_pk_fma_f16 v51, v74, v63, v51
	s_wait_dscnt 0x0
	v_pk_fma_f16 v79, v56, v62, v61
	v_pk_fma_f16 v64, v57, v62, v64
	;; [unrolled: 1-line block ×3, first 2 shown]
	ds_load_b128 v[60:63], v44 offset:320
	v_pk_fma_f16 v80, v56, v73, v72
	v_pk_fma_f16 v65, v56, v75, v65
	v_pk_fma_f16 v50, v56, v76, v50
	v_pk_fma_f16 v82, v57, v75, v71
	v_and_b32_e32 v71, 0xffff, v77
	v_lshrrev_b32_e32 v72, 16, v77
	v_and_b32_e32 v73, 0xffff, v78
	v_add_nc_u32_e32 v56, 0x2800, v32
	v_lshrrev_b32_e32 v75, 16, v78
	v_mul_u32_u24_e32 v77, 0x10001, v71
	v_mul_u32_u24_e32 v78, 0x10001, v72
	;; [unrolled: 1-line block ×3, first 2 shown]
	ds_load_2addr_b64 v[71:74], v56 offset1:32
	v_mul_u32_u24_e32 v84, 0x10001, v75
	v_pk_fma_f16 v51, v57, v76, v51
	v_pk_fma_f16 v57, v58, v77, v79
	;; [unrolled: 1-line block ×7, first 2 shown]
	ds_load_b128 v[75:78], v44 offset:336
	s_wait_dscnt 0x2
	v_and_b32_e32 v80, 0xffff, v60
	v_lshrrev_b32_e32 v60, 16, v60
	v_and_b32_e32 v81, 0xffff, v61
	v_lshrrev_b32_e32 v61, 16, v61
	v_pk_fma_f16 v82, v59, v83, v82
	v_mul_u32_u24_e32 v80, 0x10001, v80
	v_mul_u32_u24_e32 v60, 0x10001, v60
	;; [unrolled: 1-line block ×4, first 2 shown]
	v_pk_fma_f16 v51, v59, v84, v51
	s_wait_dscnt 0x1
	v_pk_fma_f16 v83, v71, v80, v57
	v_pk_fma_f16 v79, v71, v60, v79
	;; [unrolled: 1-line block ×5, first 2 shown]
	v_and_b32_e32 v57, 0xffff, v62
	v_lshrrev_b32_e32 v58, 16, v62
	v_pk_fma_f16 v64, v72, v60, v64
	v_pk_fma_f16 v62, v72, v81, v82
	v_and_b32_e32 v80, 0xffff, v63
	v_lshrrev_b32_e32 v63, 16, v63
	v_mul_u32_u24_e32 v81, 0x10001, v57
	v_mul_u32_u24_e32 v82, 0x10001, v58
	ds_load_2addr_b64 v[57:60], v56 offset0:64 offset1:96
	v_mul_u32_u24_e32 v80, 0x10001, v80
	v_mul_u32_u24_e32 v63, 0x10001, v63
	v_pk_fma_f16 v51, v72, v61, v51
	v_pk_fma_f16 v61, v73, v81, v83
	;; [unrolled: 1-line block ×5, first 2 shown]
	s_wait_dscnt 0x1
	v_and_b32_e32 v73, 0xffff, v75
	v_lshrrev_b32_e32 v75, 16, v75
	v_and_b32_e32 v79, 0xffff, v76
	v_lshrrev_b32_e32 v76, 16, v76
	s_wait_alu 0xfffd
	v_add_co_ci_u32_e64 v148, null, 0, v148, vcc_lo
	v_add_co_u32 v151, vcc_lo, v149, v49
	s_wait_alu 0xfffd
	v_add_co_ci_u32_e64 v152, null, 0, v150, vcc_lo
	v_add_co_u32 v149, vcc_lo, s24, v16
	v_pk_fma_f16 v163, v74, v80, v62
	v_mul_u32_u24_e32 v62, 0x10001, v73
	v_mul_u32_u24_e32 v73, 0x10001, v75
	;; [unrolled: 1-line block ×4, first 2 shown]
	s_wait_alu 0xfffd
	v_add_co_ci_u32_e64 v150, null, s25, v17, vcc_lo
	v_add_co_u32 v153, vcc_lo, s24, v18
	s_wait_alu 0xfffd
	v_add_co_ci_u32_e64 v154, null, s25, v19, vcc_lo
	v_add_co_u32 v155, vcc_lo, v149, v49
	v_pk_fma_f16 v71, v74, v81, v71
	v_pk_fma_f16 v64, v74, v82, v64
	;; [unrolled: 1-line block ×3, first 2 shown]
	s_wait_dscnt 0x0
	v_pk_fma_f16 v167, v57, v62, v61
	v_pk_fma_f16 v168, v57, v73, v72
	;; [unrolled: 1-line block ×4, first 2 shown]
	v_add_nc_u32_e32 v51, 0x3000, v32
	v_add_nc_u32_e32 v50, 0x3800, v32
	s_wait_alu 0xfffd
	v_add_co_ci_u32_e64 v156, null, 0, v150, vcc_lo
	v_add_co_u32 v159, vcc_lo, v153, v49
	s_wait_alu 0xfffd
	v_add_co_ci_u32_e64 v160, null, 0, v154, vcc_lo
	v_pk_fma_f16 v169, v58, v62, v71
	v_pk_fma_f16 v170, v58, v73, v64
	v_lshrrev_b32_e32 v171, 16, v77
	v_lshrrev_b32_e32 v172, 16, v78
	v_and_b32_e32 v173, 0xffff, v77
	v_and_b32_e32 v174, 0xffff, v78
	ds_load_2addr_b64 v[61:64], v56 offset0:128 offset1:160
	ds_load_2addr_b64 v[71:74], v56 offset0:192 offset1:224
	ds_load_b128 v[75:78], v44 offset:352
	ds_load_b128 v[79:82], v44 offset:368
	ds_load_2addr_b64 v[83:86], v51 offset1:32
	ds_load_2addr_b64 v[87:90], v51 offset0:64 offset1:96
	ds_load_b128 v[91:94], v44 offset:384
	ds_load_b128 v[95:98], v44 offset:400
	ds_load_2addr_b64 v[99:102], v51 offset0:128 offset1:160
	ds_load_2addr_b64 v[103:106], v51 offset0:192 offset1:224
	ds_load_b128 v[107:110], v44 offset:416
	ds_load_b128 v[111:114], v44 offset:432
	ds_load_2addr_b64 v[115:118], v50 offset1:32
	ds_load_2addr_b64 v[119:122], v50 offset0:64 offset1:96
	ds_load_b128 v[123:126], v44 offset:448
	ds_load_b128 v[127:130], v44 offset:464
	ds_load_2addr_b64 v[131:134], v50 offset0:128 offset1:160
	ds_load_2addr_b64 v[135:138], v50 offset0:192 offset1:224
	ds_load_b128 v[139:142], v44 offset:480
	ds_load_b128 v[143:146], v44 offset:496
	s_wait_loadcnt_dscnt 0x0
	s_barrier_signal -1
	s_barrier_wait -1
	global_inv scope:SCOPE_SE
	s_clause 0x3
	global_load_b128 v[147:150], v[147:148], off
	global_load_b128 v[151:154], v[151:152], off
	;; [unrolled: 1-line block ×4, first 2 shown]
	v_pk_fma_f16 v163, v58, v164, v163
	v_mul_u32_u24_e32 v164, 0x10001, v173
	v_mul_u32_u24_e32 v171, 0x10001, v171
	;; [unrolled: 1-line block ×4, first 2 shown]
	v_pk_fma_f16 v58, v58, v165, v166
	v_pk_fma_f16 v165, v59, v164, v167
	;; [unrolled: 1-line block ×3, first 2 shown]
	v_and_b32_e32 v167, 0xffff, v75
	v_lshrrev_b32_e32 v75, 16, v75
	v_and_b32_e32 v168, 0xffff, v76
	v_lshrrev_b32_e32 v76, 16, v76
	v_pk_fma_f16 v65, v59, v173, v65
	v_pk_fma_f16 v57, v59, v172, v57
	;; [unrolled: 1-line block ×4, first 2 shown]
	v_mul_u32_u24_e32 v167, 0x10001, v167
	v_mul_u32_u24_e32 v75, 0x10001, v75
	;; [unrolled: 1-line block ×4, first 2 shown]
	v_pk_fma_f16 v163, v60, v173, v163
	v_pk_fma_f16 v58, v60, v172, v58
	;; [unrolled: 1-line block ×7, first 2 shown]
	v_and_b32_e32 v75, 0xffff, v77
	v_lshrrev_b32_e32 v77, 16, v77
	v_and_b32_e32 v164, 0xffff, v78
	v_lshrrev_b32_e32 v78, 16, v78
	v_pk_fma_f16 v59, v62, v167, v59
	v_mul_u32_u24_e32 v75, 0x10001, v75
	v_mul_u32_u24_e32 v77, 0x10001, v77
	v_mul_u32_u24_e32 v164, 0x10001, v164
	v_mul_u32_u24_e32 v78, 0x10001, v78
	v_pk_fma_f16 v163, v62, v168, v163
	v_pk_fma_f16 v58, v62, v76, v58
	;; [unrolled: 1-line block ×6, first 2 shown]
	v_and_b32_e32 v63, 0xffff, v79
	v_pk_fma_f16 v59, v64, v75, v59
	v_and_b32_e32 v76, 0xffff, v80
	v_lshrrev_b32_e32 v75, 16, v79
	v_pk_fma_f16 v61, v64, v77, v61
	v_mul_u32_u24_e32 v63, 0x10001, v63
	v_pk_fma_f16 v79, v64, v164, v163
	v_mul_u32_u24_e32 v76, 0x10001, v76
	v_mul_u32_u24_e32 v75, 0x10001, v75
	v_pk_fma_f16 v58, v64, v78, v58
	v_pk_fma_f16 v60, v71, v63, v60
	;; [unrolled: 1-line block ×3, first 2 shown]
	v_and_b32_e32 v63, 0xffff, v81
	v_pk_fma_f16 v64, v71, v76, v65
	v_lshrrev_b32_e32 v65, 16, v81
	v_pk_fma_f16 v62, v71, v75, v62
	v_pk_fma_f16 v61, v72, v75, v61
	v_mul_u32_u24_e32 v63, 0x10001, v63
	v_lshrrev_b32_e32 v77, 16, v80
	v_mul_u32_u24_e32 v65, 0x10001, v65
	v_lshrrev_b32_e32 v75, 16, v82
	v_pk_fma_f16 v76, v72, v76, v79
	v_pk_fma_f16 v60, v73, v63, v60
	;; [unrolled: 1-line block ×3, first 2 shown]
	v_and_b32_e32 v63, 0xffff, v91
	v_pk_fma_f16 v62, v73, v65, v62
	v_pk_fma_f16 v61, v74, v65, v61
	v_lshrrev_b32_e32 v65, 16, v91
	v_mul_u32_u24_e32 v77, 0x10001, v77
	v_mul_u32_u24_e32 v63, 0x10001, v63
	v_mul_u32_u24_e32 v75, 0x10001, v75
	s_wait_loadcnt 0x3
	ds_store_b128 v42, v[147:150]
	s_wait_loadcnt 0x2
	ds_store_b128 v45, v[151:154]
	;; [unrolled: 2-line block ×4, first 2 shown]
	v_mul_u32_u24_e32 v65, 0x10001, v65
	v_pk_fma_f16 v60, v83, v63, v60
	v_pk_fma_f16 v59, v84, v63, v59
	v_and_b32_e32 v63, 0xffff, v93
	v_pk_fma_f16 v57, v71, v77, v57
	v_pk_fma_f16 v62, v83, v65, v62
	;; [unrolled: 1-line block ×3, first 2 shown]
	v_lshrrev_b32_e32 v65, 16, v93
	v_mul_u32_u24_e32 v63, 0x10001, v63
	v_and_b32_e32 v71, 0xffff, v82
	v_pk_fma_f16 v58, v72, v77, v58
	v_pk_fma_f16 v57, v73, v75, v57
	v_mul_u32_u24_e32 v65, 0x10001, v65
	v_pk_fma_f16 v60, v85, v63, v60
	v_pk_fma_f16 v59, v86, v63, v59
	v_and_b32_e32 v63, 0xffff, v95
	v_mul_u32_u24_e32 v71, 0x10001, v71
	v_pk_fma_f16 v62, v85, v65, v62
	v_pk_fma_f16 v61, v86, v65, v61
	v_lshrrev_b32_e32 v65, 16, v95
	v_mul_u32_u24_e32 v63, 0x10001, v63
	v_pk_fma_f16 v64, v73, v71, v64
	v_and_b32_e32 v72, 0xffff, v92
	v_lshrrev_b32_e32 v73, 16, v92
	v_mul_u32_u24_e32 v65, 0x10001, v65
	v_pk_fma_f16 v60, v87, v63, v60
	v_pk_fma_f16 v59, v88, v63, v59
	v_and_b32_e32 v63, 0xffff, v97
	v_pk_fma_f16 v71, v74, v71, v76
	v_pk_fma_f16 v62, v87, v65, v62
	;; [unrolled: 1-line block ×3, first 2 shown]
	v_lshrrev_b32_e32 v65, 16, v97
	v_mul_u32_u24_e32 v63, 0x10001, v63
	v_mul_u32_u24_e32 v72, 0x10001, v72
	;; [unrolled: 1-line block ×3, first 2 shown]
	v_pk_fma_f16 v58, v74, v75, v58
	v_mul_u32_u24_e32 v65, 0x10001, v65
	v_pk_fma_f16 v60, v89, v63, v60
	v_pk_fma_f16 v59, v90, v63, v59
	v_and_b32_e32 v63, 0xffff, v107
	v_and_b32_e32 v74, 0xffff, v94
	v_pk_fma_f16 v62, v89, v65, v62
	v_pk_fma_f16 v61, v90, v65, v61
	v_lshrrev_b32_e32 v65, 16, v107
	v_mul_u32_u24_e32 v63, 0x10001, v63
	v_lshrrev_b32_e32 v75, 16, v94
	v_pk_fma_f16 v64, v83, v72, v64
	v_pk_fma_f16 v57, v83, v73, v57
	v_mul_u32_u24_e32 v65, 0x10001, v65
	v_pk_fma_f16 v60, v99, v63, v60
	v_pk_fma_f16 v59, v100, v63, v59
	v_and_b32_e32 v63, 0xffff, v109
	v_pk_fma_f16 v71, v84, v72, v71
	v_pk_fma_f16 v62, v99, v65, v62
	;; [unrolled: 1-line block ×3, first 2 shown]
	v_lshrrev_b32_e32 v65, 16, v109
	v_mul_u32_u24_e32 v63, 0x10001, v63
	v_mul_u32_u24_e32 v72, 0x10001, v74
	;; [unrolled: 1-line block ×3, first 2 shown]
	v_pk_fma_f16 v58, v84, v73, v58
	v_mul_u32_u24_e32 v65, 0x10001, v65
	v_pk_fma_f16 v60, v101, v63, v60
	v_pk_fma_f16 v59, v102, v63, v59
	v_and_b32_e32 v63, 0xffff, v111
	v_and_b32_e32 v73, 0xffff, v96
	v_pk_fma_f16 v62, v101, v65, v62
	v_pk_fma_f16 v61, v102, v65, v61
	v_lshrrev_b32_e32 v65, 16, v111
	v_mul_u32_u24_e32 v63, 0x10001, v63
	v_lshrrev_b32_e32 v75, 16, v96
	v_pk_fma_f16 v64, v85, v72, v64
	v_pk_fma_f16 v57, v85, v74, v57
	v_mul_u32_u24_e32 v65, 0x10001, v65
	v_pk_fma_f16 v60, v103, v63, v60
	v_pk_fma_f16 v59, v104, v63, v59
	v_and_b32_e32 v63, 0xffff, v113
	v_pk_fma_f16 v71, v86, v72, v71
	v_pk_fma_f16 v62, v103, v65, v62
	;; [unrolled: 1-line block ×3, first 2 shown]
	v_lshrrev_b32_e32 v65, 16, v113
	v_mul_u32_u24_e32 v63, 0x10001, v63
	v_mul_u32_u24_e32 v72, 0x10001, v73
	;; [unrolled: 1-line block ×3, first 2 shown]
	v_pk_fma_f16 v58, v86, v74, v58
	v_mul_u32_u24_e32 v65, 0x10001, v65
	v_pk_fma_f16 v60, v105, v63, v60
	v_pk_fma_f16 v59, v106, v63, v59
	v_and_b32_e32 v63, 0xffff, v123
	v_and_b32_e32 v74, 0xffff, v98
	v_lshrrev_b32_e32 v75, 16, v98
	v_pk_fma_f16 v62, v105, v65, v62
	v_pk_fma_f16 v61, v106, v65, v61
	v_lshrrev_b32_e32 v65, 16, v123
	v_mul_u32_u24_e32 v63, 0x10001, v63
	v_pk_fma_f16 v64, v87, v72, v64
	v_pk_fma_f16 v57, v87, v73, v57
	v_pk_fma_f16 v71, v88, v72, v71
	v_mul_u32_u24_e32 v72, 0x10001, v74
	v_mul_u32_u24_e32 v74, 0x10001, v75
	v_pk_fma_f16 v58, v88, v73, v58
	v_and_b32_e32 v73, 0xffff, v108
	v_lshrrev_b32_e32 v75, 16, v108
	v_mul_u32_u24_e32 v65, 0x10001, v65
	v_pk_fma_f16 v60, v115, v63, v60
	v_pk_fma_f16 v59, v116, v63, v59
	v_and_b32_e32 v63, 0xffff, v125
	v_pk_fma_f16 v64, v89, v72, v64
	v_pk_fma_f16 v57, v89, v74, v57
	v_pk_fma_f16 v71, v90, v72, v71
	v_mul_u32_u24_e32 v72, 0x10001, v73
	v_mul_u32_u24_e32 v73, 0x10001, v75
	v_pk_fma_f16 v58, v90, v74, v58
	v_and_b32_e32 v74, 0xffff, v110
	v_lshrrev_b32_e32 v75, 16, v110
	v_pk_fma_f16 v62, v115, v65, v62
	v_pk_fma_f16 v61, v116, v65, v61
	v_lshrrev_b32_e32 v65, 16, v125
	v_mul_u32_u24_e32 v63, 0x10001, v63
	v_pk_fma_f16 v64, v99, v72, v64
	v_pk_fma_f16 v57, v99, v73, v57
	v_pk_fma_f16 v71, v100, v72, v71
	v_mul_u32_u24_e32 v72, 0x10001, v74
	v_mul_u32_u24_e32 v74, 0x10001, v75
	v_pk_fma_f16 v58, v100, v73, v58
	v_and_b32_e32 v73, 0xffff, v112
	v_lshrrev_b32_e32 v75, 16, v112
	v_mul_u32_u24_e32 v65, 0x10001, v65
	v_pk_fma_f16 v60, v117, v63, v60
	v_pk_fma_f16 v59, v118, v63, v59
	v_and_b32_e32 v63, 0xffff, v127
	v_pk_fma_f16 v64, v101, v72, v64
	v_pk_fma_f16 v57, v101, v74, v57
	v_pk_fma_f16 v71, v102, v72, v71
	v_mul_u32_u24_e32 v72, 0x10001, v73
	v_mul_u32_u24_e32 v73, 0x10001, v75
	v_pk_fma_f16 v58, v102, v74, v58
	;; [unrolled: 24-line block ×5, first 2 shown]
	v_pk_fma_f16 v62, v131, v65, v62
	v_pk_fma_f16 v61, v132, v65, v61
	v_lshrrev_b32_e32 v65, 16, v141
	v_and_b32_e32 v74, 0xffff, v142
	v_lshrrev_b32_e32 v75, 16, v142
	v_mul_u32_u24_e32 v63, 0x10001, v63
	v_pk_fma_f16 v64, v131, v72, v64
	v_pk_fma_f16 v57, v131, v73, v57
	;; [unrolled: 1-line block ×3, first 2 shown]
	v_mul_u32_u24_e32 v65, 0x10001, v65
	v_mul_u32_u24_e32 v72, 0x10001, v74
	v_mul_u32_u24_e32 v74, 0x10001, v75
	v_pk_fma_f16 v58, v132, v73, v58
	v_pk_fma_f16 v60, v133, v63, v60
	;; [unrolled: 1-line block ×3, first 2 shown]
	v_and_b32_e32 v63, 0xffff, v143
	v_and_b32_e32 v73, 0xffff, v144
	v_lshrrev_b32_e32 v75, 16, v144
	v_pk_fma_f16 v62, v133, v65, v62
	v_pk_fma_f16 v64, v133, v72, v64
	;; [unrolled: 1-line block ×4, first 2 shown]
	v_lshrrev_b32_e32 v65, 16, v143
	v_pk_fma_f16 v71, v134, v72, v71
	v_mul_u32_u24_e32 v63, 0x10001, v63
	v_mul_u32_u24_e32 v72, 0x10001, v73
	;; [unrolled: 1-line block ×4, first 2 shown]
	v_pk_fma_f16 v74, v134, v74, v58
	v_pk_fma_f16 v75, v135, v63, v60
	;; [unrolled: 1-line block ×4, first 2 shown]
	s_wait_dscnt 0x0
	s_barrier_signal -1
	s_barrier_wait -1
	global_inv scope:SCOPE_SE
	ds_load_b128 v[57:60], v44 offset:512
	v_pk_fma_f16 v76, v135, v65, v62
	v_pk_fma_f16 v77, v135, v72, v64
	;; [unrolled: 1-line block ×3, first 2 shown]
	v_and_b32_e32 v61, 0xffff, v145
	v_lshrrev_b32_e32 v62, 16, v145
	v_and_b32_e32 v63, 0xffff, v146
	v_lshrrev_b32_e32 v64, 16, v146
	v_pk_fma_f16 v71, v136, v72, v71
	v_pk_fma_f16 v80, v136, v73, v74
	v_mul_u32_u24_e32 v72, 0x10001, v61
	v_mul_u32_u24_e32 v73, 0x10001, v62
	v_mul_u32_u24_e32 v74, 0x10001, v63
	v_mul_u32_u24_e32 v81, 0x10001, v64
	ds_load_2addr_b64 v[61:64], v32 offset1:32
	v_pk_fma_f16 v83, v137, v72, v75
	v_pk_fma_f16 v84, v137, v73, v76
	;; [unrolled: 1-line block ×6, first 2 shown]
	ds_load_b128 v[71:74], v44 offset:528
	s_wait_dscnt 0x2
	v_and_b32_e32 v75, 0xffff, v57
	v_lshrrev_b32_e32 v57, 16, v57
	v_and_b32_e32 v76, 0xffff, v58
	v_lshrrev_b32_e32 v58, 16, v58
	v_pk_fma_f16 v86, v137, v81, v78
	v_mul_u32_u24_e32 v90, 0x10001, v75
	v_mul_u32_u24_e32 v57, 0x10001, v57
	;; [unrolled: 1-line block ×4, first 2 shown]
	v_lshrrev_b32_e32 v58, 16, v59
	v_pk_fma_f16 v89, v138, v81, v80
	ds_load_b128 v[75:78], v44 offset:544
	ds_load_b128 v[79:82], v44 offset:560
	s_wait_dscnt 0x3
	v_pk_fma_f16 v84, v61, v57, v84
	v_pk_fma_f16 v65, v62, v57, v65
	v_and_b32_e32 v57, 0xffff, v59
	v_pk_fma_f16 v83, v61, v90, v83
	v_pk_fma_f16 v85, v61, v91, v85
	;; [unrolled: 1-line block ×5, first 2 shown]
	v_and_b32_e32 v88, 0xffff, v60
	v_lshrrev_b32_e32 v90, 16, v60
	v_mul_u32_u24_e32 v91, 0x10001, v57
	v_mul_u32_u24_e32 v93, 0x10001, v58
	ds_load_2addr_b64 v[57:60], v32 offset0:64 offset1:96
	v_mul_u32_u24_e32 v88, 0x10001, v88
	v_mul_u32_u24_e32 v90, 0x10001, v90
	v_pk_fma_f16 v62, v62, v92, v89
	v_pk_fma_f16 v83, v63, v91, v83
	;; [unrolled: 1-line block ×6, first 2 shown]
	s_wait_dscnt 0x3
	v_and_b32_e32 v86, 0xffff, v71
	v_lshrrev_b32_e32 v71, 16, v71
	v_and_b32_e32 v89, 0xffff, v72
	v_lshrrev_b32_e32 v72, 16, v72
	v_pk_fma_f16 v87, v64, v88, v87
	v_mul_u32_u24_e32 v86, 0x10001, v86
	v_mul_u32_u24_e32 v71, 0x10001, v71
	;; [unrolled: 1-line block ×4, first 2 shown]
	v_pk_fma_f16 v65, v64, v93, v65
	v_pk_fma_f16 v89, v64, v90, v62
	s_wait_dscnt 0x0
	v_pk_fma_f16 v83, v57, v86, v83
	v_pk_fma_f16 v84, v57, v71, v84
	;; [unrolled: 1-line block ×4, first 2 shown]
	v_and_b32_e32 v61, 0xffff, v73
	v_lshrrev_b32_e32 v62, 16, v73
	v_pk_fma_f16 v86, v58, v86, v63
	v_pk_fma_f16 v65, v58, v71, v65
	;; [unrolled: 1-line block ×3, first 2 shown]
	v_and_b32_e32 v73, 0xffff, v74
	v_lshrrev_b32_e32 v74, 16, v74
	v_mul_u32_u24_e32 v87, 0x10001, v61
	v_mul_u32_u24_e32 v88, 0x10001, v62
	ds_load_2addr_b64 v[61:64], v32 offset0:128 offset1:160
	v_mul_u32_u24_e32 v73, 0x10001, v73
	v_mul_u32_u24_e32 v74, 0x10001, v74
	v_pk_fma_f16 v58, v58, v72, v89
	v_pk_fma_f16 v72, v59, v87, v83
	;; [unrolled: 1-line block ×6, first 2 shown]
	v_and_b32_e32 v85, 0xffff, v75
	v_lshrrev_b32_e32 v75, 16, v75
	v_and_b32_e32 v86, 0xffff, v76
	v_lshrrev_b32_e32 v76, 16, v76
	v_pk_fma_f16 v71, v60, v73, v71
	v_mul_u32_u24_e32 v73, 0x10001, v85
	v_mul_u32_u24_e32 v75, 0x10001, v75
	;; [unrolled: 1-line block ×4, first 2 shown]
	v_pk_fma_f16 v65, v60, v88, v65
	v_pk_fma_f16 v74, v60, v74, v58
	s_wait_dscnt 0x0
	v_pk_fma_f16 v72, v61, v73, v72
	v_pk_fma_f16 v83, v61, v75, v83
	;; [unrolled: 1-line block ×4, first 2 shown]
	v_and_b32_e32 v57, 0xffff, v77
	v_lshrrev_b32_e32 v58, 16, v77
	v_pk_fma_f16 v73, v62, v73, v59
	v_pk_fma_f16 v65, v62, v75, v65
	;; [unrolled: 1-line block ×3, first 2 shown]
	v_and_b32_e32 v75, 0xffff, v78
	v_lshrrev_b32_e32 v77, 16, v78
	v_mul_u32_u24_e32 v78, 0x10001, v57
	v_mul_u32_u24_e32 v85, 0x10001, v58
	ds_load_2addr_b64 v[57:60], v32 offset0:192 offset1:224
	v_mul_u32_u24_e32 v75, 0x10001, v75
	v_mul_u32_u24_e32 v77, 0x10001, v77
	v_pk_fma_f16 v62, v62, v76, v74
	v_pk_fma_f16 v72, v63, v78, v72
	;; [unrolled: 1-line block ×6, first 2 shown]
	v_and_b32_e32 v73, 0xffff, v79
	v_lshrrev_b32_e32 v78, 16, v79
	v_and_b32_e32 v79, 0xffff, v80
	v_lshrrev_b32_e32 v80, 16, v80
	v_pk_fma_f16 v71, v64, v75, v71
	v_mul_u32_u24_e32 v73, 0x10001, v73
	v_mul_u32_u24_e32 v75, 0x10001, v78
	;; [unrolled: 1-line block ×4, first 2 shown]
	v_pk_fma_f16 v65, v64, v85, v65
	v_pk_fma_f16 v77, v64, v77, v62
	s_wait_dscnt 0x0
	v_pk_fma_f16 v80, v57, v73, v72
	v_pk_fma_f16 v83, v57, v75, v74
	;; [unrolled: 1-line block ×5, first 2 shown]
	ds_load_b128 v[61:64], v44 offset:576
	v_and_b32_e32 v72, 0xffff, v81
	v_lshrrev_b32_e32 v73, 16, v81
	v_and_b32_e32 v74, 0xffff, v82
	v_pk_fma_f16 v65, v58, v75, v65
	v_pk_fma_f16 v81, v58, v78, v71
	v_lshrrev_b32_e32 v75, 16, v82
	v_mul_u32_u24_e32 v78, 0x10001, v72
	v_mul_u32_u24_e32 v82, 0x10001, v73
	;; [unrolled: 1-line block ×3, first 2 shown]
	ds_load_2addr_b64 v[71:74], v52 offset1:32
	v_mul_u32_u24_e32 v86, 0x10001, v75
	v_pk_fma_f16 v58, v58, v79, v77
	v_pk_fma_f16 v79, v59, v78, v80
	;; [unrolled: 1-line block ×7, first 2 shown]
	ds_load_b128 v[75:78], v44 offset:592
	s_wait_dscnt 0x2
	v_and_b32_e32 v82, 0xffff, v61
	v_lshrrev_b32_e32 v61, 16, v61
	v_and_b32_e32 v84, 0xffff, v62
	v_lshrrev_b32_e32 v62, 16, v62
	v_pk_fma_f16 v81, v60, v85, v81
	v_mul_u32_u24_e32 v82, 0x10001, v82
	v_mul_u32_u24_e32 v61, 0x10001, v61
	;; [unrolled: 1-line block ×4, first 2 shown]
	v_pk_fma_f16 v85, v60, v86, v58
	s_wait_dscnt 0x1
	v_pk_fma_f16 v79, v71, v82, v79
	v_pk_fma_f16 v80, v71, v61, v80
	;; [unrolled: 1-line block ×4, first 2 shown]
	v_and_b32_e32 v57, 0xffff, v63
	v_lshrrev_b32_e32 v58, 16, v63
	v_pk_fma_f16 v82, v72, v82, v59
	v_pk_fma_f16 v61, v72, v61, v65
	;; [unrolled: 1-line block ×3, first 2 shown]
	v_and_b32_e32 v65, 0xffff, v64
	v_lshrrev_b32_e32 v64, 16, v64
	v_mul_u32_u24_e32 v81, 0x10001, v57
	v_mul_u32_u24_e32 v84, 0x10001, v58
	ds_load_2addr_b64 v[57:60], v52 offset0:64 offset1:96
	v_mul_u32_u24_e32 v65, 0x10001, v65
	v_mul_u32_u24_e32 v64, 0x10001, v64
	v_pk_fma_f16 v62, v72, v62, v85
	v_pk_fma_f16 v72, v73, v81, v79
	;; [unrolled: 1-line block ×7, first 2 shown]
	s_wait_dscnt 0x1
	v_and_b32_e32 v61, 0xffff, v75
	v_lshrrev_b32_e32 v75, 16, v75
	v_and_b32_e32 v82, 0xffff, v76
	v_lshrrev_b32_e32 v76, 16, v76
	v_pk_fma_f16 v65, v74, v65, v63
	v_mul_u32_u24_e32 v61, 0x10001, v61
	v_mul_u32_u24_e32 v75, 0x10001, v75
	;; [unrolled: 1-line block ×4, first 2 shown]
	v_pk_fma_f16 v83, v74, v64, v62
	s_wait_dscnt 0x0
	v_pk_fma_f16 v84, v57, v61, v72
	v_pk_fma_f16 v85, v58, v61, v73
	ds_load_b128 v[61:64], v44 offset:608
	v_pk_fma_f16 v79, v57, v75, v79
	v_pk_fma_f16 v80, v57, v82, v80
	;; [unrolled: 1-line block ×3, first 2 shown]
	v_and_b32_e32 v71, 0xffff, v77
	v_lshrrev_b32_e32 v72, 16, v77
	v_and_b32_e32 v73, 0xffff, v78
	v_pk_fma_f16 v75, v58, v75, v81
	v_pk_fma_f16 v65, v58, v82, v65
	v_lshrrev_b32_e32 v77, 16, v78
	v_mul_u32_u24_e32 v78, 0x10001, v71
	v_mul_u32_u24_e32 v81, 0x10001, v72
	;; [unrolled: 1-line block ×3, first 2 shown]
	ds_load_2addr_b64 v[71:74], v52 offset0:128 offset1:160
	v_mul_u32_u24_e32 v86, 0x10001, v77
	v_pk_fma_f16 v58, v58, v76, v83
	v_pk_fma_f16 v83, v59, v78, v84
	;; [unrolled: 1-line block ×7, first 2 shown]
	ds_load_b128 v[75:78], v44 offset:624
	s_wait_dscnt 0x2
	v_and_b32_e32 v84, 0xffff, v61
	v_lshrrev_b32_e32 v61, 16, v61
	v_and_b32_e32 v85, 0xffff, v62
	v_lshrrev_b32_e32 v62, 16, v62
	v_pk_fma_f16 v65, v60, v82, v65
	v_mul_u32_u24_e32 v82, 0x10001, v84
	v_mul_u32_u24_e32 v61, 0x10001, v61
	;; [unrolled: 1-line block ×4, first 2 shown]
	v_pk_fma_f16 v85, v60, v86, v58
	s_wait_dscnt 0x1
	v_pk_fma_f16 v83, v71, v82, v83
	v_pk_fma_f16 v79, v71, v61, v79
	;; [unrolled: 1-line block ×4, first 2 shown]
	v_and_b32_e32 v57, 0xffff, v63
	v_lshrrev_b32_e32 v58, 16, v63
	v_pk_fma_f16 v82, v72, v82, v59
	v_pk_fma_f16 v61, v72, v61, v81
	;; [unrolled: 1-line block ×3, first 2 shown]
	v_and_b32_e32 v65, 0xffff, v64
	v_mul_u32_u24_e32 v81, 0x10001, v57
	v_mul_u32_u24_e32 v84, 0x10001, v58
	ds_load_2addr_b64 v[57:60], v52 offset0:192 offset1:224
	v_lshrrev_b32_e32 v64, 16, v64
	v_mul_u32_u24_e32 v52, 0x10001, v65
	v_pk_fma_f16 v62, v72, v62, v85
	v_pk_fma_f16 v72, v73, v84, v79
	v_pk_fma_f16 v65, v73, v81, v83
	v_mul_u32_u24_e32 v64, 0x10001, v64
	v_pk_fma_f16 v79, v73, v52, v80
	v_pk_fma_f16 v80, v74, v84, v61
	s_wait_dscnt 0x1
	v_and_b32_e32 v61, 0xffff, v75
	v_lshrrev_b32_e32 v75, 16, v75
	v_pk_fma_f16 v71, v73, v64, v71
	v_pk_fma_f16 v73, v74, v81, v82
	v_and_b32_e32 v81, 0xffff, v76
	v_lshrrev_b32_e32 v76, 16, v76
	v_mul_u32_u24_e32 v61, 0x10001, v61
	v_pk_fma_f16 v52, v74, v52, v63
	v_mul_u32_u24_e32 v75, 0x10001, v75
	v_mul_u32_u24_e32 v81, 0x10001, v81
	;; [unrolled: 1-line block ×3, first 2 shown]
	v_pk_fma_f16 v82, v74, v64, v62
	s_wait_dscnt 0x0
	v_pk_fma_f16 v65, v57, v61, v65
	v_pk_fma_f16 v84, v58, v61, v73
	ds_load_b128 v[61:64], v44 offset:640
	v_pk_fma_f16 v83, v57, v75, v72
	v_pk_fma_f16 v79, v57, v81, v79
	;; [unrolled: 1-line block ×3, first 2 shown]
	v_and_b32_e32 v71, 0xffff, v77
	v_lshrrev_b32_e32 v72, 16, v77
	v_and_b32_e32 v73, 0xffff, v78
	v_pk_fma_f16 v75, v58, v75, v80
	v_pk_fma_f16 v52, v58, v81, v52
	v_lshrrev_b32_e32 v77, 16, v78
	v_mul_u32_u24_e32 v78, 0x10001, v71
	v_mul_u32_u24_e32 v80, 0x10001, v72
	;; [unrolled: 1-line block ×3, first 2 shown]
	ds_load_2addr_b64 v[71:74], v53 offset1:32
	v_mul_u32_u24_e32 v85, 0x10001, v77
	v_pk_fma_f16 v58, v58, v76, v82
	v_pk_fma_f16 v65, v59, v78, v65
	v_pk_fma_f16 v82, v59, v80, v83
	v_pk_fma_f16 v79, v59, v81, v79
	v_pk_fma_f16 v57, v59, v85, v57
	v_pk_fma_f16 v59, v60, v78, v84
	v_pk_fma_f16 v80, v60, v80, v75
	ds_load_b128 v[75:78], v44 offset:656
	s_wait_dscnt 0x2
	v_and_b32_e32 v83, 0xffff, v61
	v_lshrrev_b32_e32 v61, 16, v61
	v_and_b32_e32 v84, 0xffff, v62
	v_lshrrev_b32_e32 v62, 16, v62
	v_pk_fma_f16 v52, v60, v81, v52
	v_mul_u32_u24_e32 v81, 0x10001, v83
	v_mul_u32_u24_e32 v61, 0x10001, v61
	;; [unrolled: 1-line block ×4, first 2 shown]
	v_pk_fma_f16 v84, v60, v85, v58
	s_wait_dscnt 0x1
	v_pk_fma_f16 v65, v71, v81, v65
	v_pk_fma_f16 v82, v71, v61, v82
	;; [unrolled: 1-line block ×4, first 2 shown]
	v_and_b32_e32 v57, 0xffff, v63
	v_lshrrev_b32_e32 v58, 16, v63
	v_pk_fma_f16 v81, v72, v81, v59
	v_pk_fma_f16 v61, v72, v61, v80
	;; [unrolled: 1-line block ×3, first 2 shown]
	v_and_b32_e32 v63, 0xffff, v64
	v_lshrrev_b32_e32 v64, 16, v64
	v_mul_u32_u24_e32 v80, 0x10001, v57
	v_mul_u32_u24_e32 v83, 0x10001, v58
	ds_load_2addr_b64 v[57:60], v53 offset0:64 offset1:96
	v_mul_u32_u24_e32 v63, 0x10001, v63
	v_mul_u32_u24_e32 v64, 0x10001, v64
	v_pk_fma_f16 v62, v72, v62, v84
	v_pk_fma_f16 v65, v73, v80, v65
	;; [unrolled: 1-line block ×7, first 2 shown]
	s_wait_dscnt 0x1
	v_and_b32_e32 v61, 0xffff, v75
	v_lshrrev_b32_e32 v75, 16, v75
	v_and_b32_e32 v81, 0xffff, v76
	v_lshrrev_b32_e32 v76, 16, v76
	v_pk_fma_f16 v52, v74, v63, v52
	v_mul_u32_u24_e32 v61, 0x10001, v61
	v_mul_u32_u24_e32 v75, 0x10001, v75
	;; [unrolled: 1-line block ×4, first 2 shown]
	v_pk_fma_f16 v82, v74, v64, v62
	s_wait_dscnt 0x0
	v_pk_fma_f16 v65, v57, v61, v65
	v_pk_fma_f16 v84, v58, v61, v73
	ds_load_b128 v[61:64], v44 offset:672
	v_pk_fma_f16 v83, v57, v75, v72
	v_pk_fma_f16 v79, v57, v81, v79
	;; [unrolled: 1-line block ×3, first 2 shown]
	v_and_b32_e32 v71, 0xffff, v77
	v_lshrrev_b32_e32 v72, 16, v77
	v_and_b32_e32 v73, 0xffff, v78
	v_pk_fma_f16 v75, v58, v75, v80
	v_pk_fma_f16 v52, v58, v81, v52
	v_lshrrev_b32_e32 v77, 16, v78
	v_mul_u32_u24_e32 v78, 0x10001, v71
	v_mul_u32_u24_e32 v80, 0x10001, v72
	;; [unrolled: 1-line block ×3, first 2 shown]
	ds_load_2addr_b64 v[71:74], v53 offset0:128 offset1:160
	v_mul_u32_u24_e32 v85, 0x10001, v77
	v_pk_fma_f16 v58, v58, v76, v82
	v_pk_fma_f16 v65, v59, v78, v65
	;; [unrolled: 1-line block ×7, first 2 shown]
	ds_load_b128 v[75:78], v44 offset:688
	s_wait_dscnt 0x2
	v_and_b32_e32 v83, 0xffff, v61
	v_lshrrev_b32_e32 v61, 16, v61
	v_and_b32_e32 v84, 0xffff, v62
	v_lshrrev_b32_e32 v62, 16, v62
	v_pk_fma_f16 v52, v60, v81, v52
	v_mul_u32_u24_e32 v81, 0x10001, v83
	v_mul_u32_u24_e32 v61, 0x10001, v61
	;; [unrolled: 1-line block ×4, first 2 shown]
	v_pk_fma_f16 v84, v60, v85, v58
	s_wait_dscnt 0x1
	v_pk_fma_f16 v65, v71, v81, v65
	v_pk_fma_f16 v82, v71, v61, v82
	;; [unrolled: 1-line block ×4, first 2 shown]
	v_and_b32_e32 v57, 0xffff, v63
	v_lshrrev_b32_e32 v58, 16, v63
	v_pk_fma_f16 v81, v72, v81, v59
	v_pk_fma_f16 v61, v72, v61, v80
	;; [unrolled: 1-line block ×3, first 2 shown]
	v_and_b32_e32 v63, 0xffff, v64
	v_mul_u32_u24_e32 v80, 0x10001, v57
	v_mul_u32_u24_e32 v83, 0x10001, v58
	ds_load_2addr_b64 v[57:60], v53 offset0:192 offset1:224
	v_lshrrev_b32_e32 v64, 16, v64
	v_mul_u32_u24_e32 v53, 0x10001, v63
	v_pk_fma_f16 v62, v72, v62, v84
	s_delay_alu instid0(VALU_DEP_3) | instskip(NEXT) | instid1(VALU_DEP_3)
	v_mul_u32_u24_e32 v63, 0x10001, v64
	v_pk_fma_f16 v72, v73, v53, v79
	v_pk_fma_f16 v79, v74, v83, v61
	s_wait_dscnt 0x1
	v_and_b32_e32 v61, 0xffff, v75
	v_pk_fma_f16 v64, v73, v80, v65
	v_pk_fma_f16 v65, v73, v83, v82
	;; [unrolled: 1-line block ×4, first 2 shown]
	v_lshrrev_b32_e32 v75, 16, v75
	v_and_b32_e32 v80, 0xffff, v76
	v_lshrrev_b32_e32 v76, 16, v76
	v_pk_fma_f16 v52, v74, v53, v52
	v_mul_u32_u24_e32 v53, 0x10001, v61
	v_mul_u32_u24_e32 v75, 0x10001, v75
	;; [unrolled: 1-line block ×4, first 2 shown]
	v_pk_fma_f16 v81, v74, v63, v62
	s_wait_dscnt 0x0
	v_pk_fma_f16 v82, v57, v53, v64
	ds_load_b128 v[61:64], v44 offset:704
	v_pk_fma_f16 v65, v57, v75, v65
	v_pk_fma_f16 v83, v57, v80, v72
	;; [unrolled: 1-line block ×4, first 2 shown]
	v_and_b32_e32 v71, 0xffff, v77
	v_lshrrev_b32_e32 v72, 16, v77
	v_and_b32_e32 v73, 0xffff, v78
	v_pk_fma_f16 v75, v58, v75, v79
	v_pk_fma_f16 v52, v58, v80, v52
	v_lshrrev_b32_e32 v77, 16, v78
	v_mul_u32_u24_e32 v78, 0x10001, v71
	v_mul_u32_u24_e32 v79, 0x10001, v72
	;; [unrolled: 1-line block ×3, first 2 shown]
	ds_load_2addr_b64 v[71:74], v54 offset1:32
	v_mul_u32_u24_e32 v84, 0x10001, v77
	v_pk_fma_f16 v58, v58, v76, v81
	v_pk_fma_f16 v81, v59, v78, v82
	;; [unrolled: 1-line block ×7, first 2 shown]
	ds_load_b128 v[75:78], v44 offset:720
	s_wait_dscnt 0x2
	v_and_b32_e32 v79, 0xffff, v61
	v_lshrrev_b32_e32 v61, 16, v61
	v_and_b32_e32 v83, 0xffff, v62
	v_lshrrev_b32_e32 v62, 16, v62
	v_pk_fma_f16 v52, v60, v80, v52
	v_mul_u32_u24_e32 v79, 0x10001, v79
	v_mul_u32_u24_e32 v61, 0x10001, v61
	;; [unrolled: 1-line block ×4, first 2 shown]
	v_pk_fma_f16 v83, v60, v84, v58
	s_wait_dscnt 0x1
	v_pk_fma_f16 v81, v71, v79, v81
	v_pk_fma_f16 v65, v71, v61, v65
	;; [unrolled: 1-line block ×4, first 2 shown]
	v_and_b32_e32 v57, 0xffff, v63
	v_lshrrev_b32_e32 v58, 16, v63
	v_pk_fma_f16 v53, v72, v79, v53
	v_pk_fma_f16 v61, v72, v61, v59
	;; [unrolled: 1-line block ×3, first 2 shown]
	v_and_b32_e32 v63, 0xffff, v64
	v_lshrrev_b32_e32 v64, 16, v64
	v_mul_u32_u24_e32 v79, 0x10001, v57
	v_mul_u32_u24_e32 v80, 0x10001, v58
	ds_load_2addr_b64 v[57:60], v54 offset0:64 offset1:96
	v_mul_u32_u24_e32 v63, 0x10001, v63
	v_mul_u32_u24_e32 v64, 0x10001, v64
	v_pk_fma_f16 v62, v72, v62, v83
	v_pk_fma_f16 v72, v73, v79, v81
	;; [unrolled: 1-line block ×6, first 2 shown]
	s_wait_dscnt 0x1
	v_and_b32_e32 v61, 0xffff, v75
	v_pk_fma_f16 v53, v74, v79, v53
	v_lshrrev_b32_e32 v75, 16, v75
	v_and_b32_e32 v79, 0xffff, v76
	v_lshrrev_b32_e32 v76, 16, v76
	v_mul_u32_u24_e32 v61, 0x10001, v61
	v_pk_fma_f16 v52, v74, v63, v52
	v_mul_u32_u24_e32 v75, 0x10001, v75
	v_mul_u32_u24_e32 v79, 0x10001, v79
	;; [unrolled: 1-line block ×3, first 2 shown]
	v_pk_fma_f16 v80, v74, v64, v62
	s_wait_dscnt 0x0
	v_pk_fma_f16 v82, v57, v61, v72
	v_pk_fma_f16 v53, v58, v61, v53
	ds_load_b128 v[61:64], v44 offset:736
	v_pk_fma_f16 v65, v57, v75, v65
	v_pk_fma_f16 v81, v57, v79, v81
	;; [unrolled: 1-line block ×4, first 2 shown]
	v_and_b32_e32 v71, 0xffff, v77
	v_lshrrev_b32_e32 v72, 16, v77
	v_and_b32_e32 v73, 0xffff, v78
	v_pk_fma_f16 v52, v58, v79, v52
	v_lshrrev_b32_e32 v77, 16, v78
	v_mul_u32_u24_e32 v78, 0x10001, v71
	v_mul_u32_u24_e32 v79, 0x10001, v72
	;; [unrolled: 1-line block ×3, first 2 shown]
	ds_load_2addr_b64 v[71:74], v54 offset0:128 offset1:160
	v_mul_u32_u24_e32 v84, 0x10001, v77
	v_pk_fma_f16 v58, v58, v76, v80
	v_pk_fma_f16 v80, v59, v78, v82
	;; [unrolled: 1-line block ×7, first 2 shown]
	ds_load_b128 v[75:78], v44 offset:752
	s_wait_dscnt 0x2
	v_and_b32_e32 v79, 0xffff, v61
	v_lshrrev_b32_e32 v61, 16, v61
	v_and_b32_e32 v82, 0xffff, v62
	v_lshrrev_b32_e32 v62, 16, v62
	v_pk_fma_f16 v52, v60, v83, v52
	v_mul_u32_u24_e32 v79, 0x10001, v79
	v_mul_u32_u24_e32 v61, 0x10001, v61
	;; [unrolled: 1-line block ×4, first 2 shown]
	v_pk_fma_f16 v83, v60, v84, v58
	s_wait_dscnt 0x1
	v_pk_fma_f16 v80, v71, v79, v80
	v_pk_fma_f16 v65, v71, v61, v65
	;; [unrolled: 1-line block ×4, first 2 shown]
	v_and_b32_e32 v57, 0xffff, v63
	v_lshrrev_b32_e32 v58, 16, v63
	v_pk_fma_f16 v53, v72, v79, v53
	v_pk_fma_f16 v61, v72, v61, v59
	;; [unrolled: 1-line block ×3, first 2 shown]
	v_and_b32_e32 v63, 0xffff, v64
	v_lshrrev_b32_e32 v64, 16, v64
	v_mul_u32_u24_e32 v79, 0x10001, v57
	v_mul_u32_u24_e32 v82, 0x10001, v58
	ds_load_2addr_b64 v[57:60], v54 offset0:192 offset1:224
	v_mul_u32_u24_e32 v54, 0x10001, v63
	v_mul_u32_u24_e32 v63, 0x10001, v64
	v_pk_fma_f16 v62, v72, v62, v83
	v_pk_fma_f16 v64, v73, v79, v80
	;; [unrolled: 1-line block ×6, first 2 shown]
	s_wait_dscnt 0x1
	v_and_b32_e32 v61, 0xffff, v75
	v_pk_fma_f16 v53, v74, v79, v53
	v_lshrrev_b32_e32 v75, 16, v75
	v_and_b32_e32 v79, 0xffff, v76
	v_lshrrev_b32_e32 v76, 16, v76
	v_pk_fma_f16 v52, v74, v54, v52
	v_mul_u32_u24_e32 v54, 0x10001, v61
	v_mul_u32_u24_e32 v75, 0x10001, v75
	;; [unrolled: 1-line block ×4, first 2 shown]
	v_pk_fma_f16 v80, v74, v63, v62
	s_wait_dscnt 0x0
	v_pk_fma_f16 v81, v57, v54, v64
	ds_load_b128 v[61:64], v44 offset:768
	v_pk_fma_f16 v65, v57, v75, v65
	v_pk_fma_f16 v82, v57, v79, v72
	;; [unrolled: 1-line block ×5, first 2 shown]
	v_and_b32_e32 v71, 0xffff, v77
	v_lshrrev_b32_e32 v72, 16, v77
	v_and_b32_e32 v73, 0xffff, v78
	v_pk_fma_f16 v52, v58, v79, v52
	v_lshrrev_b32_e32 v75, 16, v78
	v_mul_u32_u24_e32 v77, 0x10001, v71
	v_mul_u32_u24_e32 v78, 0x10001, v72
	;; [unrolled: 1-line block ×3, first 2 shown]
	ds_load_2addr_b64 v[71:74], v55 offset1:32
	v_mul_u32_u24_e32 v83, 0x10001, v75
	v_pk_fma_f16 v58, v58, v76, v80
	v_pk_fma_f16 v80, v59, v77, v81
	;; [unrolled: 1-line block ×7, first 2 shown]
	ds_load_b128 v[75:78], v44 offset:784
	s_wait_dscnt 0x2
	v_and_b32_e32 v59, 0xffff, v61
	v_lshrrev_b32_e32 v61, 16, v61
	v_and_b32_e32 v82, 0xffff, v62
	v_lshrrev_b32_e32 v62, 16, v62
	v_pk_fma_f16 v52, v60, v79, v52
	v_mul_u32_u24_e32 v59, 0x10001, v59
	v_mul_u32_u24_e32 v61, 0x10001, v61
	;; [unrolled: 1-line block ×4, first 2 shown]
	v_pk_fma_f16 v82, v60, v83, v58
	s_wait_dscnt 0x1
	v_pk_fma_f16 v80, v71, v59, v80
	v_pk_fma_f16 v65, v71, v61, v65
	;; [unrolled: 1-line block ×4, first 2 shown]
	v_and_b32_e32 v57, 0xffff, v63
	v_lshrrev_b32_e32 v58, 16, v63
	v_pk_fma_f16 v53, v72, v59, v53
	v_pk_fma_f16 v54, v72, v61, v54
	;; [unrolled: 1-line block ×3, first 2 shown]
	v_and_b32_e32 v61, 0xffff, v64
	v_lshrrev_b32_e32 v63, 16, v64
	v_mul_u32_u24_e32 v64, 0x10001, v57
	v_mul_u32_u24_e32 v79, 0x10001, v58
	ds_load_2addr_b64 v[57:60], v55 offset0:64 offset1:96
	v_mul_u32_u24_e32 v61, 0x10001, v61
	v_mul_u32_u24_e32 v63, 0x10001, v63
	v_pk_fma_f16 v62, v72, v62, v82
	v_pk_fma_f16 v72, v73, v64, v80
	;; [unrolled: 1-line block ×3, first 2 shown]
	s_wait_dscnt 0x1
	v_and_b32_e32 v64, 0xffff, v75
	v_pk_fma_f16 v65, v73, v79, v65
	v_pk_fma_f16 v80, v73, v61, v81
	;; [unrolled: 1-line block ×3, first 2 shown]
	v_lshrrev_b32_e32 v73, 16, v75
	v_and_b32_e32 v75, 0xffff, v76
	v_lshrrev_b32_e32 v76, 16, v76
	v_pk_fma_f16 v52, v74, v61, v52
	v_mul_u32_u24_e32 v61, 0x10001, v64
	v_pk_fma_f16 v54, v74, v79, v54
	v_mul_u32_u24_e32 v73, 0x10001, v73
	v_mul_u32_u24_e32 v75, 0x10001, v75
	;; [unrolled: 1-line block ×3, first 2 shown]
	v_pk_fma_f16 v79, v74, v63, v62
	s_wait_dscnt 0x0
	v_pk_fma_f16 v81, v57, v61, v72
	v_pk_fma_f16 v53, v58, v61, v53
	ds_load_b128 v[61:64], v44 offset:800
	v_pk_fma_f16 v65, v57, v73, v65
	v_pk_fma_f16 v80, v57, v75, v80
	;; [unrolled: 1-line block ×4, first 2 shown]
	v_and_b32_e32 v71, 0xffff, v77
	v_lshrrev_b32_e32 v72, 16, v77
	v_and_b32_e32 v73, 0xffff, v78
	v_pk_fma_f16 v52, v58, v75, v52
	v_lshrrev_b32_e32 v75, 16, v78
	v_mul_u32_u24_e32 v77, 0x10001, v71
	v_mul_u32_u24_e32 v78, 0x10001, v72
	;; [unrolled: 1-line block ×3, first 2 shown]
	ds_load_2addr_b64 v[71:74], v55 offset0:128 offset1:160
	v_mul_u32_u24_e32 v83, 0x10001, v75
	v_pk_fma_f16 v58, v58, v76, v79
	v_pk_fma_f16 v79, v59, v77, v81
	v_pk_fma_f16 v65, v59, v78, v65
	v_pk_fma_f16 v80, v59, v82, v80
	v_pk_fma_f16 v57, v59, v83, v57
	v_pk_fma_f16 v53, v60, v77, v53
	v_pk_fma_f16 v54, v60, v78, v54
	ds_load_b128 v[75:78], v44 offset:816
	s_wait_dscnt 0x2
	v_and_b32_e32 v59, 0xffff, v61
	v_lshrrev_b32_e32 v61, 16, v61
	v_and_b32_e32 v81, 0xffff, v62
	v_lshrrev_b32_e32 v62, 16, v62
	v_pk_fma_f16 v52, v60, v82, v52
	v_mul_u32_u24_e32 v59, 0x10001, v59
	v_mul_u32_u24_e32 v61, 0x10001, v61
	;; [unrolled: 1-line block ×4, first 2 shown]
	v_pk_fma_f16 v58, v60, v83, v58
	s_wait_dscnt 0x1
	v_pk_fma_f16 v60, v71, v59, v79
	v_pk_fma_f16 v65, v71, v61, v65
	;; [unrolled: 1-line block ×4, first 2 shown]
	v_and_b32_e32 v53, 0xffff, v63
	v_lshrrev_b32_e32 v54, 16, v63
	v_pk_fma_f16 v79, v71, v81, v80
	v_pk_fma_f16 v57, v71, v62, v57
	;; [unrolled: 1-line block ×3, first 2 shown]
	v_and_b32_e32 v71, 0xffff, v64
	v_lshrrev_b32_e32 v64, 16, v64
	v_mul_u32_u24_e32 v80, 0x10001, v53
	v_mul_u32_u24_e32 v81, 0x10001, v54
	ds_load_2addr_b64 v[52:55], v55 offset0:192 offset1:224
	v_mul_u32_u24_e32 v71, 0x10001, v71
	v_mul_u32_u24_e32 v64, 0x10001, v64
	v_pk_fma_f16 v58, v72, v62, v58
	v_pk_fma_f16 v60, v73, v80, v60
	;; [unrolled: 1-line block ×5, first 2 shown]
	s_wait_dscnt 0x1
	v_and_b32_e32 v72, 0xffff, v75
	v_lshrrev_b32_e32 v73, 16, v75
	v_and_b32_e32 v75, 0xffff, v76
	v_lshrrev_b32_e32 v76, 16, v76
	v_pk_fma_f16 v59, v74, v80, v59
	v_pk_fma_f16 v63, v74, v71, v63
	v_mul_u32_u24_e32 v71, 0x10001, v72
	v_mul_u32_u24_e32 v72, 0x10001, v73
	;; [unrolled: 1-line block ×4, first 2 shown]
	v_pk_fma_f16 v61, v74, v81, v61
	v_pk_fma_f16 v74, v74, v64, v58
	s_wait_dscnt 0x0
	v_pk_fma_f16 v76, v52, v71, v60
	v_pk_fma_f16 v79, v52, v72, v62
	;; [unrolled: 1-line block ×5, first 2 shown]
	ds_load_b128 v[57:60], v44 offset:832
	v_pk_fma_f16 v72, v53, v72, v61
	v_and_b32_e32 v61, 0xffff, v77
	v_lshrrev_b32_e32 v62, 16, v77
	v_and_b32_e32 v64, 0xffff, v78
	v_pk_fma_f16 v77, v53, v73, v63
	v_lshrrev_b32_e32 v73, 16, v78
	v_mul_u32_u24_e32 v78, 0x10001, v61
	v_mul_u32_u24_e32 v80, 0x10001, v62
	;; [unrolled: 1-line block ×3, first 2 shown]
	ds_load_2addr_b64 v[61:64], v56 offset1:32
	v_mul_u32_u24_e32 v82, 0x10001, v73
	v_pk_fma_f16 v53, v53, v75, v74
	v_pk_fma_f16 v75, v54, v78, v76
	;; [unrolled: 1-line block ×7, first 2 shown]
	ds_load_b128 v[71:74], v44 offset:848
	s_wait_dscnt 0x2
	v_and_b32_e32 v79, 0xffff, v57
	v_lshrrev_b32_e32 v57, 16, v57
	v_and_b32_e32 v80, 0xffff, v58
	v_lshrrev_b32_e32 v58, 16, v58
	v_pk_fma_f16 v77, v55, v81, v77
	v_mul_u32_u24_e32 v79, 0x10001, v79
	v_mul_u32_u24_e32 v57, 0x10001, v57
	;; [unrolled: 1-line block ×4, first 2 shown]
	v_pk_fma_f16 v81, v55, v82, v53
	s_wait_dscnt 0x1
	v_pk_fma_f16 v75, v61, v79, v75
	v_pk_fma_f16 v76, v61, v57, v76
	;; [unrolled: 1-line block ×4, first 2 shown]
	v_and_b32_e32 v52, 0xffff, v59
	v_lshrrev_b32_e32 v53, 16, v59
	v_pk_fma_f16 v79, v62, v79, v54
	v_pk_fma_f16 v57, v62, v57, v78
	;; [unrolled: 1-line block ×3, first 2 shown]
	v_mul_u32_u24_e32 v78, 0x10001, v52
	v_mul_u32_u24_e32 v80, 0x10001, v53
	ds_load_2addr_b64 v[52:55], v56 offset0:64 offset1:96
	v_and_b32_e32 v77, 0xffff, v60
	v_lshrrev_b32_e32 v60, 16, v60
	v_pk_fma_f16 v58, v62, v58, v81
	v_pk_fma_f16 v62, v63, v78, v75
	v_pk_fma_f16 v75, v63, v80, v76
	v_mul_u32_u24_e32 v77, 0x10001, v77
	v_mul_u32_u24_e32 v60, 0x10001, v60
	v_pk_fma_f16 v76, v64, v80, v57
	s_wait_dscnt 0x1
	v_and_b32_e32 v57, 0xffff, v71
	v_lshrrev_b32_e32 v71, 16, v71
	v_pk_fma_f16 v65, v63, v77, v65
	v_pk_fma_f16 v61, v63, v60, v61
	;; [unrolled: 1-line block ×3, first 2 shown]
	v_and_b32_e32 v78, 0xffff, v72
	v_lshrrev_b32_e32 v72, 16, v72
	v_mul_u32_u24_e32 v57, 0x10001, v57
	v_pk_fma_f16 v77, v64, v77, v59
	v_mul_u32_u24_e32 v71, 0x10001, v71
	v_mul_u32_u24_e32 v78, 0x10001, v78
	;; [unrolled: 1-line block ×3, first 2 shown]
	v_pk_fma_f16 v79, v64, v60, v58
	s_wait_dscnt 0x0
	v_pk_fma_f16 v80, v52, v57, v62
	v_pk_fma_f16 v81, v53, v57, v63
	ds_load_b128 v[57:60], v44 offset:864
	v_pk_fma_f16 v75, v52, v71, v75
	v_pk_fma_f16 v65, v52, v78, v65
	;; [unrolled: 1-line block ×3, first 2 shown]
	v_and_b32_e32 v61, 0xffff, v73
	v_lshrrev_b32_e32 v62, 16, v73
	v_and_b32_e32 v63, 0xffff, v74
	v_pk_fma_f16 v71, v53, v71, v76
	v_pk_fma_f16 v76, v53, v78, v77
	v_lshrrev_b32_e32 v73, 16, v74
	v_mul_u32_u24_e32 v74, 0x10001, v61
	v_mul_u32_u24_e32 v77, 0x10001, v62
	;; [unrolled: 1-line block ×3, first 2 shown]
	ds_load_2addr_b64 v[61:64], v56 offset0:128 offset1:160
	v_mul_u32_u24_e32 v82, 0x10001, v73
	v_pk_fma_f16 v53, v53, v72, v79
	v_pk_fma_f16 v79, v54, v74, v80
	;; [unrolled: 1-line block ×7, first 2 shown]
	ds_load_b128 v[71:74], v44 offset:880
	s_wait_dscnt 0x2
	v_and_b32_e32 v80, 0xffff, v57
	v_lshrrev_b32_e32 v57, 16, v57
	v_and_b32_e32 v81, 0xffff, v58
	v_lshrrev_b32_e32 v58, 16, v58
	v_pk_fma_f16 v76, v55, v78, v76
	v_mul_u32_u24_e32 v78, 0x10001, v80
	v_mul_u32_u24_e32 v57, 0x10001, v57
	;; [unrolled: 1-line block ×4, first 2 shown]
	v_pk_fma_f16 v81, v55, v82, v53
	s_wait_dscnt 0x1
	v_pk_fma_f16 v79, v61, v78, v79
	v_pk_fma_f16 v75, v61, v57, v75
	;; [unrolled: 1-line block ×4, first 2 shown]
	v_and_b32_e32 v52, 0xffff, v59
	v_lshrrev_b32_e32 v53, 16, v59
	v_pk_fma_f16 v78, v62, v78, v54
	v_pk_fma_f16 v57, v62, v57, v77
	;; [unrolled: 1-line block ×3, first 2 shown]
	v_mul_u32_u24_e32 v77, 0x10001, v52
	v_mul_u32_u24_e32 v80, 0x10001, v53
	ds_load_2addr_b64 v[52:55], v56 offset0:192 offset1:224
	v_and_b32_e32 v76, 0xffff, v60
	v_lshrrev_b32_e32 v60, 16, v60
	v_pk_fma_f16 v58, v62, v58, v81
	v_pk_fma_f16 v62, v63, v77, v79
	;; [unrolled: 1-line block ×3, first 2 shown]
	v_mul_u32_u24_e32 v56, 0x10001, v76
	v_mul_u32_u24_e32 v60, 0x10001, v60
	v_pk_fma_f16 v76, v64, v80, v57
	s_wait_dscnt 0x1
	v_and_b32_e32 v57, 0xffff, v71
	v_lshrrev_b32_e32 v71, 16, v71
	v_pk_fma_f16 v65, v63, v56, v65
	v_pk_fma_f16 v61, v63, v60, v61
	;; [unrolled: 1-line block ×3, first 2 shown]
	v_and_b32_e32 v77, 0xffff, v72
	v_lshrrev_b32_e32 v72, 16, v72
	v_pk_fma_f16 v78, v64, v56, v59
	v_mul_u32_u24_e32 v56, 0x10001, v57
	v_mul_u32_u24_e32 v71, 0x10001, v71
	;; [unrolled: 1-line block ×4, first 2 shown]
	v_pk_fma_f16 v64, v64, v60, v58
	s_wait_dscnt 0x0
	v_pk_fma_f16 v79, v52, v56, v62
	v_pk_fma_f16 v80, v53, v56, v63
	ds_load_b128 v[56:59], v44 offset:896
	v_pk_fma_f16 v75, v52, v71, v75
	v_pk_fma_f16 v65, v52, v77, v65
	;; [unrolled: 1-line block ×3, first 2 shown]
	v_and_b32_e32 v60, 0xffff, v73
	v_lshrrev_b32_e32 v61, 16, v73
	v_and_b32_e32 v62, 0xffff, v74
	v_pk_fma_f16 v71, v53, v71, v76
	v_pk_fma_f16 v76, v53, v77, v78
	v_lshrrev_b32_e32 v73, 16, v74
	v_mul_u32_u24_e32 v74, 0x10001, v60
	v_mul_u32_u24_e32 v77, 0x10001, v61
	;; [unrolled: 1-line block ×3, first 2 shown]
	ds_load_2addr_b64 v[60:63], v51 offset1:32
	v_mul_u32_u24_e32 v81, 0x10001, v73
	v_pk_fma_f16 v53, v53, v72, v64
	v_pk_fma_f16 v64, v54, v74, v79
	;; [unrolled: 1-line block ×7, first 2 shown]
	ds_load_b128 v[71:74], v44 offset:912
	s_wait_dscnt 0x2
	v_and_b32_e32 v79, 0xffff, v56
	v_lshrrev_b32_e32 v56, 16, v56
	v_and_b32_e32 v80, 0xffff, v57
	v_lshrrev_b32_e32 v57, 16, v57
	v_pk_fma_f16 v76, v55, v78, v76
	v_mul_u32_u24_e32 v78, 0x10001, v79
	v_mul_u32_u24_e32 v56, 0x10001, v56
	;; [unrolled: 1-line block ×4, first 2 shown]
	v_pk_fma_f16 v80, v55, v81, v53
	s_wait_dscnt 0x1
	v_pk_fma_f16 v64, v60, v78, v64
	v_pk_fma_f16 v75, v60, v56, v75
	;; [unrolled: 1-line block ×4, first 2 shown]
	v_and_b32_e32 v52, 0xffff, v58
	v_lshrrev_b32_e32 v53, 16, v58
	v_pk_fma_f16 v78, v61, v78, v54
	v_pk_fma_f16 v56, v61, v56, v77
	;; [unrolled: 1-line block ×3, first 2 shown]
	v_mul_u32_u24_e32 v77, 0x10001, v52
	v_mul_u32_u24_e32 v79, 0x10001, v53
	ds_load_2addr_b64 v[52:55], v51 offset0:64 offset1:96
	v_and_b32_e32 v76, 0xffff, v59
	v_lshrrev_b32_e32 v59, 16, v59
	v_pk_fma_f16 v57, v61, v57, v80
	v_pk_fma_f16 v61, v62, v77, v64
	;; [unrolled: 1-line block ×3, first 2 shown]
	v_mul_u32_u24_e32 v76, 0x10001, v76
	v_mul_u32_u24_e32 v59, 0x10001, v59
	v_pk_fma_f16 v75, v63, v79, v56
	s_wait_dscnt 0x1
	v_and_b32_e32 v56, 0xffff, v71
	v_lshrrev_b32_e32 v71, 16, v71
	v_pk_fma_f16 v65, v62, v76, v65
	v_pk_fma_f16 v60, v62, v59, v60
	;; [unrolled: 1-line block ×3, first 2 shown]
	v_and_b32_e32 v77, 0xffff, v72
	v_lshrrev_b32_e32 v72, 16, v72
	v_mul_u32_u24_e32 v56, 0x10001, v56
	v_pk_fma_f16 v76, v63, v76, v58
	v_mul_u32_u24_e32 v71, 0x10001, v71
	v_mul_u32_u24_e32 v77, 0x10001, v77
	;; [unrolled: 1-line block ×3, first 2 shown]
	v_pk_fma_f16 v78, v63, v59, v57
	s_wait_dscnt 0x0
	v_pk_fma_f16 v79, v52, v56, v61
	v_pk_fma_f16 v80, v53, v56, v62
	ds_load_b128 v[56:59], v44 offset:928
	v_pk_fma_f16 v64, v52, v71, v64
	v_pk_fma_f16 v65, v52, v77, v65
	;; [unrolled: 1-line block ×3, first 2 shown]
	v_and_b32_e32 v60, 0xffff, v73
	v_lshrrev_b32_e32 v61, 16, v73
	v_and_b32_e32 v62, 0xffff, v74
	v_pk_fma_f16 v71, v53, v71, v75
	v_pk_fma_f16 v75, v53, v77, v76
	v_lshrrev_b32_e32 v73, 16, v74
	v_mul_u32_u24_e32 v74, 0x10001, v60
	v_mul_u32_u24_e32 v76, 0x10001, v61
	;; [unrolled: 1-line block ×3, first 2 shown]
	ds_load_2addr_b64 v[60:63], v51 offset0:128 offset1:160
	v_mul_u32_u24_e32 v81, 0x10001, v73
	v_pk_fma_f16 v53, v53, v72, v78
	v_pk_fma_f16 v78, v54, v74, v79
	;; [unrolled: 1-line block ×7, first 2 shown]
	ds_load_b128 v[71:74], v44 offset:944
	s_wait_dscnt 0x2
	v_and_b32_e32 v79, 0xffff, v56
	v_lshrrev_b32_e32 v56, 16, v56
	v_and_b32_e32 v80, 0xffff, v57
	v_lshrrev_b32_e32 v57, 16, v57
	v_pk_fma_f16 v75, v55, v77, v75
	v_mul_u32_u24_e32 v77, 0x10001, v79
	v_mul_u32_u24_e32 v56, 0x10001, v56
	;; [unrolled: 1-line block ×4, first 2 shown]
	v_pk_fma_f16 v55, v55, v81, v53
	s_wait_dscnt 0x1
	v_pk_fma_f16 v78, v60, v77, v78
	v_pk_fma_f16 v64, v60, v56, v64
	;; [unrolled: 1-line block ×4, first 2 shown]
	v_and_b32_e32 v52, 0xffff, v58
	v_lshrrev_b32_e32 v53, 16, v58
	v_pk_fma_f16 v77, v61, v77, v54
	v_pk_fma_f16 v56, v61, v56, v76
	;; [unrolled: 1-line block ×3, first 2 shown]
	v_and_b32_e32 v75, 0xffff, v59
	v_mul_u32_u24_e32 v76, 0x10001, v52
	v_mul_u32_u24_e32 v79, 0x10001, v53
	ds_load_2addr_b64 v[51:54], v51 offset0:192 offset1:224
	v_lshrrev_b32_e32 v59, 16, v59
	v_mul_u32_u24_e32 v75, 0x10001, v75
	v_pk_fma_f16 v55, v61, v57, v55
	v_pk_fma_f16 v61, v62, v79, v64
	;; [unrolled: 1-line block ×3, first 2 shown]
	v_mul_u32_u24_e32 v59, 0x10001, v59
	v_pk_fma_f16 v64, v62, v75, v65
	v_pk_fma_f16 v65, v63, v79, v56
	s_wait_dscnt 0x1
	v_and_b32_e32 v56, 0xffff, v71
	v_lshrrev_b32_e32 v71, 16, v71
	v_pk_fma_f16 v60, v62, v59, v60
	v_pk_fma_f16 v62, v63, v76, v77
	v_and_b32_e32 v76, 0xffff, v72
	v_lshrrev_b32_e32 v72, 16, v72
	v_mul_u32_u24_e32 v56, 0x10001, v56
	v_pk_fma_f16 v75, v63, v75, v58
	v_mul_u32_u24_e32 v71, 0x10001, v71
	v_mul_u32_u24_e32 v76, 0x10001, v76
	;; [unrolled: 1-line block ×3, first 2 shown]
	v_pk_fma_f16 v63, v63, v59, v55
	s_wait_dscnt 0x0
	v_pk_fma_f16 v77, v51, v56, v57
	v_pk_fma_f16 v79, v52, v56, v62
	ds_load_b128 v[55:58], v44 offset:960
	v_pk_fma_f16 v78, v51, v71, v61
	v_pk_fma_f16 v64, v51, v76, v64
	v_pk_fma_f16 v51, v51, v72, v60
	v_and_b32_e32 v59, 0xffff, v73
	v_lshrrev_b32_e32 v60, 16, v73
	v_and_b32_e32 v61, 0xffff, v74
	v_pk_fma_f16 v65, v52, v71, v65
	v_pk_fma_f16 v75, v52, v76, v75
	v_lshrrev_b32_e32 v71, 16, v74
	v_mul_u32_u24_e32 v73, 0x10001, v59
	v_mul_u32_u24_e32 v74, 0x10001, v60
	v_mul_u32_u24_e32 v76, 0x10001, v61
	ds_load_2addr_b64 v[59:62], v50 offset1:32
	v_mul_u32_u24_e32 v80, 0x10001, v71
	v_pk_fma_f16 v52, v52, v72, v63
	v_pk_fma_f16 v63, v53, v73, v77
	;; [unrolled: 1-line block ×7, first 2 shown]
	ds_load_b128 v[71:74], v44 offset:976
	s_wait_dscnt 0x2
	v_and_b32_e32 v78, 0xffff, v55
	v_lshrrev_b32_e32 v55, 16, v55
	v_and_b32_e32 v79, 0xffff, v56
	v_lshrrev_b32_e32 v56, 16, v56
	v_pk_fma_f16 v75, v54, v76, v75
	v_mul_u32_u24_e32 v76, 0x10001, v78
	v_mul_u32_u24_e32 v55, 0x10001, v55
	;; [unrolled: 1-line block ×4, first 2 shown]
	v_pk_fma_f16 v79, v54, v80, v52
	s_wait_dscnt 0x1
	v_pk_fma_f16 v63, v59, v76, v63
	v_pk_fma_f16 v77, v59, v55, v77
	;; [unrolled: 1-line block ×4, first 2 shown]
	v_and_b32_e32 v51, 0xffff, v57
	v_lshrrev_b32_e32 v52, 16, v57
	v_pk_fma_f16 v76, v60, v76, v53
	v_pk_fma_f16 v55, v60, v55, v65
	;; [unrolled: 1-line block ×3, first 2 shown]
	v_and_b32_e32 v65, 0xffff, v58
	v_lshrrev_b32_e32 v58, 16, v58
	v_mul_u32_u24_e32 v75, 0x10001, v51
	v_mul_u32_u24_e32 v78, 0x10001, v52
	ds_load_2addr_b64 v[51:54], v50 offset0:64 offset1:96
	v_mul_u32_u24_e32 v65, 0x10001, v65
	v_mul_u32_u24_e32 v58, 0x10001, v58
	v_pk_fma_f16 v56, v60, v56, v79
	v_pk_fma_f16 v60, v61, v75, v63
	v_pk_fma_f16 v63, v61, v78, v77
	v_pk_fma_f16 v64, v61, v65, v64
	v_pk_fma_f16 v59, v61, v58, v59
	v_pk_fma_f16 v61, v62, v75, v76
	v_pk_fma_f16 v75, v62, v78, v55
	s_wait_dscnt 0x1
	v_and_b32_e32 v55, 0xffff, v71
	v_lshrrev_b32_e32 v71, 16, v71
	v_and_b32_e32 v76, 0xffff, v72
	v_lshrrev_b32_e32 v72, 16, v72
	v_pk_fma_f16 v65, v62, v65, v57
	v_mul_u32_u24_e32 v55, 0x10001, v55
	v_mul_u32_u24_e32 v71, 0x10001, v71
	;; [unrolled: 1-line block ×4, first 2 shown]
	v_pk_fma_f16 v77, v62, v58, v56
	s_wait_dscnt 0x0
	v_pk_fma_f16 v78, v51, v55, v60
	v_pk_fma_f16 v79, v52, v55, v61
	ds_load_b128 v[55:58], v44 offset:992
	v_pk_fma_f16 v63, v51, v71, v63
	v_pk_fma_f16 v64, v51, v76, v64
	v_pk_fma_f16 v51, v51, v72, v59
	v_and_b32_e32 v59, 0xffff, v73
	v_lshrrev_b32_e32 v60, 16, v73
	v_and_b32_e32 v61, 0xffff, v74
	v_pk_fma_f16 v71, v52, v71, v75
	v_pk_fma_f16 v65, v52, v76, v65
	v_lshrrev_b32_e32 v73, 16, v74
	v_mul_u32_u24_e32 v74, 0x10001, v59
	v_mul_u32_u24_e32 v75, 0x10001, v60
	v_mul_u32_u24_e32 v76, 0x10001, v61
	ds_load_2addr_b64 v[59:62], v50 offset0:128 offset1:160
	v_mul_u32_u24_e32 v80, 0x10001, v73
	v_pk_fma_f16 v52, v52, v72, v77
	v_pk_fma_f16 v77, v53, v74, v78
	;; [unrolled: 1-line block ×7, first 2 shown]
	ds_load_b128 v[71:74], v44 offset:1008
	s_wait_dscnt 0x2
	v_and_b32_e32 v78, 0xffff, v55
	v_lshrrev_b32_e32 v55, 16, v55
	v_and_b32_e32 v79, 0xffff, v56
	v_lshrrev_b32_e32 v56, 16, v56
	v_pk_fma_f16 v65, v54, v76, v65
	v_mul_u32_u24_e32 v76, 0x10001, v78
	v_mul_u32_u24_e32 v55, 0x10001, v55
	v_mul_u32_u24_e32 v78, 0x10001, v79
	v_mul_u32_u24_e32 v79, 0x10001, v56
	v_pk_fma_f16 v52, v54, v80, v52
	s_wait_dscnt 0x1
	v_pk_fma_f16 v54, v59, v76, v77
	v_pk_fma_f16 v63, v59, v55, v63
	;; [unrolled: 1-line block ×5, first 2 shown]
	v_and_b32_e32 v55, 0xffff, v57
	v_lshrrev_b32_e32 v56, 16, v57
	v_pk_fma_f16 v53, v60, v76, v53
	v_pk_fma_f16 v65, v60, v78, v65
	v_and_b32_e32 v75, 0xffff, v58
	v_lshrrev_b32_e32 v76, 16, v58
	v_mul_u32_u24_e32 v77, 0x10001, v55
	v_mul_u32_u24_e32 v78, 0x10001, v56
	ds_load_2addr_b64 v[55:58], v50 offset0:192 offset1:224
	v_mul_u32_u24_e32 v50, 0x10001, v75
	v_mul_u32_u24_e32 v75, 0x10001, v76
	s_wait_loadcnt_dscnt 0x0
	s_barrier_signal -1
	s_barrier_wait -1
	global_inv scope:SCOPE_SE
	s_load_b32 s11, s[20:21], 0x4
	v_pk_fma_f16 v52, v60, v79, v52
	v_pk_fma_f16 v54, v61, v77, v54
	;; [unrolled: 1-line block ×5, first 2 shown]
	v_and_b32_e32 v61, 0xffff, v71
	v_lshrrev_b32_e32 v64, 16, v71
	v_and_b32_e32 v71, 0xffff, v72
	v_lshrrev_b32_e32 v72, 16, v72
	v_pk_fma_f16 v53, v62, v77, v53
	v_pk_fma_f16 v59, v62, v78, v59
	;; [unrolled: 1-line block ×3, first 2 shown]
	v_mul_u32_u24_e32 v61, 0x10001, v61
	v_mul_u32_u24_e32 v64, 0x10001, v64
	v_mul_u32_u24_e32 v65, 0x10001, v71
	v_mul_u32_u24_e32 v71, 0x10001, v72
	v_pk_fma_f16 v52, v62, v75, v52
	v_pk_fma_f16 v54, v55, v61, v54
	;; [unrolled: 1-line block ×7, first 2 shown]
	v_and_b32_e32 v59, 0xffff, v73
	v_lshrrev_b32_e32 v61, 16, v73
	v_and_b32_e32 v63, 0xffff, v74
	v_lshrrev_b32_e32 v64, 16, v74
	v_pk_fma_f16 v50, v56, v65, v50
	v_mul_u32_u24_e32 v59, 0x10001, v59
	v_mul_u32_u24_e32 v61, 0x10001, v61
	;; [unrolled: 1-line block ×4, first 2 shown]
	v_pk_fma_f16 v65, v56, v71, v52
	s_wait_kmcnt 0x0
	s_lshl_b32 s11, s11, 7
	v_pk_fma_f16 v56, v57, v59, v54
	v_pk_fma_f16 v54, v57, v61, v60
	;; [unrolled: 1-line block ×8, first 2 shown]
	s_wait_alu 0xfffe
	s_add_co_i32 s10, s11, s10
	s_wait_alu 0xfffe
	s_cmp_ge_i32 s10, s30
	s_cbranch_scc1 .LBB81_75
; %bb.74:                               ;   in Loop: Header=BB81_9 Depth=1
	v_dual_mov_b32 v65, v0 :: v_dual_mov_b32 v60, v3
	v_dual_mov_b32 v63, v1 :: v_dual_mov_b32 v64, v67
	;; [unrolled: 1-line block ×4, first 2 shown]
	s_branch .LBB81_9
.LBB81_75:
	v_mov_b32_e32 v4, v33
.LBB81_76:
	v_cmp_lt_i32_e32 vcc_lo, v66, v34
	s_cmp_lg_u64 s[12:13], 0
	s_cselect_b32 s3, -1, 0
	s_cmp_eq_u32 s4, 0
	s_wait_alu 0xfffd
	v_cndmask_b32_e32 v5, v4, v66, vcc_lo
	v_cmp_lt_i32_e32 vcc_lo, v23, v34
	s_cselect_b32 s5, -1, 0
	s_wait_alu 0xfffe
	s_and_b32 s3, s5, s3
	v_lshlrev_b32_e32 v5, 2, v5
	ds_bpermute_b32 v6, v5, v67
	s_wait_dscnt 0x0
	v_add_f32_e32 v6, v67, v6
	ds_bpermute_b32 v8, v5, v70
	s_wait_alu 0xfffd
	v_cndmask_b32_e32 v9, v4, v23, vcc_lo
	ds_bpermute_b32 v7, v5, v68
	ds_bpermute_b32 v5, v5, v69
	v_cmp_lt_i32_e32 vcc_lo, v22, v34
	s_wait_alu 0xfffd
	v_cndmask_b32_e32 v13, v4, v22, vcc_lo
	v_cmp_lt_i32_e32 vcc_lo, v21, v34
	s_wait_dscnt 0x2
	s_delay_alu instid0(VALU_DEP_2)
	v_dual_add_f32 v8, v70, v8 :: v_dual_lshlrev_b32 v13, 2, v13
	v_lshlrev_b32_e32 v9, 2, v9
	ds_bpermute_b32 v12, v9, v8
	s_wait_dscnt 0x0
	v_add_f32_e32 v8, v8, v12
	ds_bpermute_b32 v10, v9, v6
	s_wait_dscnt 0x0
	v_dual_add_f32 v5, v69, v5 :: v_dual_add_f32 v6, v6, v10
	v_add_f32_e32 v7, v68, v7
	ds_bpermute_b32 v11, v9, v7
	ds_bpermute_b32 v9, v9, v5
	s_wait_dscnt 0x0
	v_add_f32_e32 v5, v5, v9
	ds_bpermute_b32 v9, v13, v6
	ds_bpermute_b32 v12, v13, v5
	s_wait_dscnt 0x1
	v_dual_add_f32 v6, v6, v9 :: v_dual_add_f32 v7, v7, v11
	ds_bpermute_b32 v11, v13, v8
	ds_bpermute_b32 v10, v13, v7
	s_wait_alu 0xfffd
	v_cndmask_b32_e32 v13, v4, v21, vcc_lo
	v_cmp_lt_i32_e32 vcc_lo, v20, v34
	s_wait_alu 0xfffd
	s_delay_alu instid0(VALU_DEP_2)
	v_dual_cndmask_b32 v4, v4, v20 :: v_dual_lshlrev_b32 v13, 2, v13
	s_wait_alu 0xfffe
	s_and_b32 vcc_lo, exec_lo, s3
	ds_bpermute_b32 v9, v13, v6
	v_lshlrev_b32_e32 v4, 2, v4
	s_wait_dscnt 0x2
	v_add_f32_e32 v8, v8, v11
	ds_bpermute_b32 v11, v13, v8
	s_wait_dscnt 0x1
	v_add_f32_e32 v6, v6, v9
	s_wait_dscnt 0x0
	v_dual_add_f32 v8, v8, v11 :: v_dual_add_f32 v5, v5, v12
	ds_bpermute_b32 v11, v4, v8
	ds_bpermute_b32 v12, v13, v5
	s_wait_dscnt 0x0
	v_add_f32_e32 v9, v5, v12
	ds_bpermute_b32 v5, v4, v6
	v_add_f32_e32 v7, v7, v10
	ds_bpermute_b32 v12, v4, v9
	ds_bpermute_b32 v10, v13, v7
	s_wait_dscnt 0x0
	v_add_f32_e32 v7, v7, v10
	ds_bpermute_b32 v10, v4, v7
	v_add_f32_e32 v4, v6, v5
	s_wait_dscnt 0x0
	v_dual_add_f32 v6, v8, v11 :: v_dual_add_f32 v5, v7, v10
	v_add_f32_e32 v7, v9, v12
	s_wait_alu 0xfffe
	s_cbranch_vccz .LBB81_79
; %bb.77:
	s_ashr_i32 s3, s2, 31
	v_dual_mov_b32 v8, 0 :: v_dual_max_num_f32 v9, v1, v1
	s_wait_alu 0xfffe
	s_lshl_b64 s[6:7], s[2:3], 2
	v_max_num_f32_e32 v15, v3, v3
	s_add_nc_u64 s[6:7], s[12:13], s[6:7]
	global_load_b64 v[12:13], v8, s[6:7]
	s_wait_loadcnt 0x0
	v_dual_max_num_f32 v8, v0, v0 :: v_dual_max_num_f32 v11, v13, v13
	v_max_num_f32_e32 v10, v12, v12
	s_delay_alu instid0(VALU_DEP_2) | instskip(NEXT) | instid1(VALU_DEP_2)
	v_dual_max_num_f32 v14, v2, v2 :: v_dual_max_num_f32 v9, v9, v11
	v_dual_max_num_f32 v8, v8, v10 :: v_dual_max_num_f32 v11, v15, v11
	s_delay_alu instid0(VALU_DEP_2) | instskip(NEXT) | instid1(VALU_DEP_3)
	v_max_num_f32_e32 v10, v14, v10
	v_sub_f32_e32 v16, v1, v9
	s_delay_alu instid0(VALU_DEP_3) | instskip(NEXT) | instid1(VALU_DEP_3)
	v_dual_sub_f32 v14, v0, v8 :: v_dual_sub_f32 v17, v13, v9
	v_dual_sub_f32 v15, v12, v8 :: v_dual_sub_f32 v18, v2, v10
	;; [unrolled: 1-line block ×3, first 2 shown]
	v_dual_sub_f32 v19, v3, v11 :: v_dual_mov_b32 v0, v8
	v_mov_b32_e32 v3, v11
	v_dual_mov_b32 v1, v9 :: v_dual_mov_b32 v2, v10
	v_dual_mul_f32 v9, 0x3fb8aa3b, v15 :: v_dual_mul_f32 v8, 0x3fb8aa3b, v14
	v_dual_mul_f32 v11, 0x3fb8aa3b, v17 :: v_dual_mul_f32 v10, 0x3fb8aa3b, v16
	;; [unrolled: 1-line block ×3, first 2 shown]
	v_mul_f32_e32 v21, 0x3fb8aa3b, v12
	s_delay_alu instid0(VALU_DEP_4)
	v_fma_f32 v32, 0x3fb8aa3b, v14, -v8
	v_rndne_f32_e32 v33, v8
	v_fma_f32 v36, 0x3fb8aa3b, v16, -v10
	v_fma_f32 v34, 0x3fb8aa3b, v15, -v9
	;; [unrolled: 1-line block ×3, first 2 shown]
	v_rndne_f32_e32 v43, v21
	v_rndne_f32_e32 v35, v9
	v_fma_f32 v38, 0x3fb8aa3b, v17, -v11
	v_rndne_f32_e32 v39, v11
	v_fmac_f32_e32 v32, 0x32a5705f, v14
	v_sub_f32_e32 v8, v8, v33
	v_dual_fmac_f32 v36, 0x32a5705f, v16 :: v_dual_sub_f32 v21, v21, v43
	v_dual_fmac_f32 v42, 0x32a5705f, v12 :: v_dual_sub_f32 v9, v9, v35
	v_dual_fmac_f32 v38, 0x32a5705f, v17 :: v_dual_sub_f32 v11, v11, v39
	s_delay_alu instid0(VALU_DEP_2) | instskip(SKIP_2) | instid1(VALU_DEP_4)
	v_dual_add_f32 v8, v8, v32 :: v_dual_add_f32 v21, v21, v42
	v_fmac_f32_e32 v34, 0x32a5705f, v15
	v_rndne_f32_e32 v37, v10
	v_dual_add_f32 v11, v11, v38 :: v_dual_mul_f32 v22, 0x3fb8aa3b, v19
	s_delay_alu instid0(VALU_DEP_4) | instskip(NEXT) | instid1(VALU_DEP_3)
	v_exp_f32_e32 v8, v8
	v_add_f32_e32 v9, v9, v34
	v_rndne_f32_e32 v47, v23
	v_cvt_i32_f32_e32 v33, v33
	v_sub_f32_e32 v10, v10, v37
	v_fma_f32 v40, 0x3fb8aa3b, v18, -v20
	v_exp_f32_e32 v9, v9
	v_rndne_f32_e32 v41, v20
	v_fma_f32 v46, 0x3fb8aa3b, v13, -v23
	v_cvt_i32_f32_e32 v35, v35
	v_dual_sub_f32 v23, v23, v47 :: v_dual_add_f32 v10, v10, v36
	v_ldexp_f32 v8, v8, v33
	v_cmp_ngt_f32_e32 vcc_lo, 0xc2ce8ed0, v14
	v_fmac_f32_e32 v46, 0x32a5705f, v13
	v_sub_f32_e32 v20, v20, v41
	v_exp_f32_e32 v10, v10
	v_ldexp_f32 v9, v9, v35
	s_wait_alu 0xfffd
	v_cndmask_b32_e32 v8, 0, v8, vcc_lo
	v_cmp_ngt_f32_e32 vcc_lo, 0xc2ce8ed0, v15
	v_fmac_f32_e32 v40, 0x32a5705f, v18
	v_cvt_i32_f32_e32 v37, v37
	v_add_f32_e32 v23, v23, v46
	v_exp_f32_e32 v11, v11
	s_wait_alu 0xfffd
	v_dual_cndmask_b32 v9, 0, v9 :: v_dual_add_f32 v20, v20, v40
	v_cvt_i32_f32_e32 v39, v39
	v_ldexp_f32 v10, v10, v37
	v_cmp_ngt_f32_e32 vcc_lo, 0xc2ce8ed0, v16
	v_cvt_i32_f32_e32 v41, v41
	v_exp_f32_e32 v20, v20
	v_exp_f32_e32 v21, v21
	;; [unrolled: 1-line block ×3, first 2 shown]
	v_ldexp_f32 v11, v11, v39
	s_wait_alu 0xfffd
	v_cndmask_b32_e32 v10, 0, v10, vcc_lo
	v_cmp_ngt_f32_e32 vcc_lo, 0xc2ce8ed0, v17
	v_fma_f32 v44, 0x3fb8aa3b, v19, -v22
	v_rndne_f32_e32 v45, v22
	v_cvt_i32_f32_e32 v43, v43
	v_cvt_i32_f32_e32 v34, v47
	v_ldexp_f32 v20, v20, v41
	s_wait_alu 0xfffd
	v_cndmask_b32_e32 v11, 0, v11, vcc_lo
	v_cmp_ngt_f32_e32 vcc_lo, 0xc2ce8ed0, v18
	v_ldexp_f32 v21, v21, v43
	v_ldexp_f32 v23, v23, v34
	v_sub_f32_e32 v22, v22, v45
	v_cvt_i32_f32_e32 v32, v45
	s_wait_alu 0xfffd
	v_cndmask_b32_e32 v20, 0, v20, vcc_lo
	v_cmp_ngt_f32_e32 vcc_lo, 0xc2ce8ed0, v12
	s_wait_alu 0xfffd
	v_dual_fmac_f32 v44, 0x32a5705f, v19 :: v_dual_cndmask_b32 v21, 0, v21
	s_delay_alu instid0(VALU_DEP_1) | instskip(SKIP_1) | instid1(VALU_DEP_2)
	v_add_f32_e32 v22, v22, v44
	v_cmp_ngt_f32_e32 vcc_lo, 0xc2ce8ed0, v19
	v_exp_f32_e32 v22, v22
	s_delay_alu instid0(TRANS32_DEP_1) | instskip(SKIP_1) | instid1(VALU_DEP_1)
	v_ldexp_f32 v22, v22, v32
	s_wait_alu 0xfffd
	v_cndmask_b32_e32 v22, 0, v22, vcc_lo
	v_cmp_ngt_f32_e32 vcc_lo, 0xc2ce8ed0, v13
	s_wait_alu 0xfffd
	v_cndmask_b32_e32 v23, 0, v23, vcc_lo
	v_cmp_nlt_f32_e32 vcc_lo, 0x42b17218, v14
	s_wait_alu 0xfffd
	v_cndmask_b32_e32 v14, 0x7f800000, v8, vcc_lo
	v_cmp_nlt_f32_e32 vcc_lo, 0x42b17218, v15
	;; [unrolled: 3-line block ×3, first 2 shown]
	s_delay_alu instid0(VALU_DEP_2)
	v_fmac_f32_e32 v8, v4, v14
	s_wait_alu 0xfffd
	v_cndmask_b32_e32 v15, 0x7f800000, v10, vcc_lo
	v_cmp_nlt_f32_e32 vcc_lo, 0x42b17218, v17
	v_cvt_f16_f32_e32 v4, v14
	s_wait_alu 0xfffd
	v_cndmask_b32_e32 v9, 0x7f800000, v11, vcc_lo
	v_cmp_nlt_f32_e32 vcc_lo, 0x42b17218, v18
	s_wait_alu 0xfffd
	s_delay_alu instid0(VALU_DEP_2)
	v_dual_fmac_f32 v9, v5, v15 :: v_dual_cndmask_b32 v16, 0x7f800000, v20
	v_cmp_nlt_f32_e32 vcc_lo, 0x42b17218, v12
	v_cvt_f16_f32_e32 v5, v15
	s_wait_alu 0xfffd
	v_cndmask_b32_e32 v10, 0x7f800000, v21, vcc_lo
	v_cmp_nlt_f32_e32 vcc_lo, 0x42b17218, v19
	s_delay_alu instid0(VALU_DEP_2) | instskip(SKIP_4) | instid1(VALU_DEP_3)
	v_fmac_f32_e32 v10, v6, v16
	s_wait_alu 0xfffd
	v_cndmask_b32_e32 v12, 0x7f800000, v22, vcc_lo
	v_cmp_nlt_f32_e32 vcc_lo, 0x42b17218, v13
	v_cvt_f16_f32_e32 v6, v16
	v_cvt_f16_f32_e32 v13, v12
	s_wait_alu 0xfffd
	v_cndmask_b32_e32 v11, 0x7f800000, v23, vcc_lo
	s_delay_alu instid0(VALU_DEP_3) | instskip(NEXT) | instid1(VALU_DEP_3)
	v_and_b32_e32 v14, 0xffff, v6
	v_dual_mov_b32 v6, v10 :: v_dual_and_b32 v13, 0xffff, v13
	s_delay_alu instid0(VALU_DEP_3)
	v_fmac_f32_e32 v11, v7, v12
	v_and_b32_e32 v7, 0xffff, v4
	v_and_b32_e32 v12, 0xffff, v5
	v_mul_u32_u24_e32 v14, 0x10001, v14
	v_mul_u32_u24_e32 v13, 0x10001, v13
	v_mov_b32_e32 v4, v8
	v_mul_u32_u24_e32 v7, 0x10001, v7
	v_mul_u32_u24_e32 v12, 0x10001, v12
	v_mov_b32_e32 v5, v9
	v_pk_mul_f16 v52, v52, v14
	v_pk_mul_f16 v53, v53, v14
	;; [unrolled: 1-line block ×8, first 2 shown]
	v_mov_b32_e32 v7, v11
	s_mov_b32 s3, exec_lo
	v_cmpx_gt_i32_e64 s22, v30
	s_cbranch_execnz .LBB81_80
.LBB81_78:
	s_nop 0
	s_sendmsg sendmsg(MSG_DEALLOC_VGPRS)
	s_endpgm
.LBB81_79:
	s_delay_alu instid0(VALU_DEP_1)
	v_dual_mov_b32 v11, v7 :: v_dual_mov_b32 v10, v6
	v_dual_mov_b32 v9, v5 :: v_dual_mov_b32 v8, v4
	s_mov_b32 s3, exec_lo
	v_cmpx_gt_i32_e64 s22, v30
	s_cbranch_execz .LBB81_78
.LBB81_80:
	s_load_b32 s1, s[0:1], 0xd4
	v_mov_b32_e32 v14, 1.0
	s_wait_kmcnt 0x0
	s_cmp_lg_u32 s1, 1
	s_cselect_b32 s5, -1, 0
	s_cmp_eq_u32 s1, 1
	s_cselect_b32 s6, -1, 0
	s_wait_alu 0xfffe
	s_and_b32 vcc_lo, exec_lo, s5
	s_wait_alu 0xfffe
	s_cbranch_vccnz .LBB81_82
; %bb.81:
	v_div_scale_f32 v12, null, v4, v4, 1.0
	s_delay_alu instid0(VALU_DEP_1) | instskip(NEXT) | instid1(TRANS32_DEP_1)
	v_rcp_f32_e32 v13, v12
	v_fma_f32 v14, -v12, v13, 1.0
	s_delay_alu instid0(VALU_DEP_1) | instskip(SKIP_1) | instid1(VALU_DEP_1)
	v_fmac_f32_e32 v13, v14, v13
	v_div_scale_f32 v14, vcc_lo, 1.0, v4, 1.0
	v_mul_f32_e32 v15, v14, v13
	s_delay_alu instid0(VALU_DEP_1) | instskip(NEXT) | instid1(VALU_DEP_1)
	v_fma_f32 v16, -v12, v15, v14
	v_fmac_f32_e32 v15, v16, v13
	s_delay_alu instid0(VALU_DEP_1) | instskip(SKIP_1) | instid1(VALU_DEP_1)
	v_fma_f32 v12, -v12, v15, v14
	s_wait_alu 0xfffd
	v_div_fmas_f32 v12, v12, v13, v15
	s_delay_alu instid0(VALU_DEP_1)
	v_div_fixup_f32 v14, v12, v4, 1.0
.LBB81_82:
	s_mul_i32 s3, s28, s22
	v_cvt_f32_f16_e32 v18, v56
	s_wait_alu 0xfffe
	s_add_co_i32 s3, s3, s31
	v_lshrrev_b32_e32 v17, 16, v57
	s_wait_alu 0xfffe
	v_add_nc_u32_e32 v4, s3, v28
	v_cvt_f32_f16_e32 v21, v57
	v_mov_b32_e32 v16, 0
	v_cmp_eq_u32_e32 vcc_lo, 0, v31
	v_cvt_f32_f16_e32 v22, v17
	v_mul_lo_u32 v4, v4, s23
	s_delay_alu instid0(VALU_DEP_1) | instskip(NEXT) | instid1(VALU_DEP_1)
	v_dual_mul_f32 v17, v14, v21 :: v_dual_add_nc_u32 v12, s2, v4
	v_mad_co_u64_u32 v[12:13], null, s1, v12, s[4:5]
	v_lshrrev_b32_e32 v13, 16, v56
	s_and_b32 s5, vcc_lo, s5
	s_delay_alu instid0(VALU_DEP_1) | instskip(NEXT) | instid1(VALU_DEP_3)
	v_cvt_f32_f16_e32 v13, v13
	v_lshl_add_u32 v15, v12, 7, v29
	s_delay_alu instid0(VALU_DEP_1) | instskip(NEXT) | instid1(VALU_DEP_3)
	v_lshlrev_b64_e32 v[19:20], 2, v[15:16]
	v_mul_f32_e32 v16, v14, v13
	v_mul_f32_e32 v15, v14, v18
	v_mul_f32_e32 v18, v14, v22
	s_delay_alu instid0(VALU_DEP_4)
	v_add_co_u32 v13, s0, s16, v19
	s_wait_alu 0xf1ff
	v_add_co_ci_u32_e64 v14, null, s17, v20, s0
	global_store_b128 v[13:14], v[15:18], off
	s_wait_alu 0xfffe
	s_and_saveexec_b32 s0, s5
	s_cbranch_execz .LBB81_84
; %bb.83:
	v_ashrrev_i32_e32 v13, 31, v12
	v_dual_mov_b32 v14, v0 :: v_dual_mov_b32 v15, v8
	s_delay_alu instid0(VALU_DEP_2) | instskip(NEXT) | instid1(VALU_DEP_1)
	v_lshlrev_b64_e32 v[12:13], 3, v[12:13]
	v_add_co_u32 v12, vcc_lo, s18, v12
	s_wait_alu 0xfffd
	s_delay_alu instid0(VALU_DEP_2)
	v_add_co_ci_u32_e64 v13, null, s19, v13, vcc_lo
	global_store_b64 v[12:13], v[14:15], off
.LBB81_84:
	s_wait_alu 0xfffe
	s_or_b32 exec_lo, exec_lo, s0
	v_cndmask_b32_e64 v12, 0, 1, s6
	v_mov_b32_e32 v0, 1.0
	s_and_not1_b32 vcc_lo, exec_lo, s6
	s_wait_alu 0xfffe
	s_cbranch_vccnz .LBB81_86
; %bb.85:
	v_div_scale_f32 v0, null, v5, v5, 1.0
	s_delay_alu instid0(VALU_DEP_1) | instskip(NEXT) | instid1(TRANS32_DEP_1)
	v_rcp_f32_e32 v8, v0
	v_fma_f32 v13, -v0, v8, 1.0
	s_delay_alu instid0(VALU_DEP_1) | instskip(SKIP_1) | instid1(VALU_DEP_1)
	v_fmac_f32_e32 v8, v13, v8
	v_div_scale_f32 v13, vcc_lo, 1.0, v5, 1.0
	v_mul_f32_e32 v14, v13, v8
	s_delay_alu instid0(VALU_DEP_1) | instskip(NEXT) | instid1(VALU_DEP_1)
	v_fma_f32 v15, -v0, v14, v13
	v_fmac_f32_e32 v14, v15, v8
	s_delay_alu instid0(VALU_DEP_1) | instskip(SKIP_1) | instid1(VALU_DEP_1)
	v_fma_f32 v0, -v0, v14, v13
	s_wait_alu 0xfffd
	v_div_fmas_f32 v0, v0, v8, v14
	s_delay_alu instid0(VALU_DEP_1)
	v_div_fixup_f32 v0, v0, v5, 1.0
.LBB81_86:
	s_add_co_i32 s0, s2, 1
	v_cvt_f32_f16_e32 v15, v54
	s_wait_alu 0xfffe
	v_add_nc_u32_e32 v4, s0, v4
	v_cvt_f32_f16_e32 v16, v55
	v_mov_b32_e32 v14, 0
	v_lshrrev_b32_e32 v8, 16, v55
	s_delay_alu instid0(VALU_DEP_4) | instskip(SKIP_1) | instid1(VALU_DEP_3)
	v_mad_co_u64_u32 v[4:5], null, s1, v4, s[4:5]
	v_lshrrev_b32_e32 v5, 16, v54
	v_cvt_f32_f16_e32 v8, v8
	s_delay_alu instid0(VALU_DEP_2) | instskip(NEXT) | instid1(VALU_DEP_4)
	v_cvt_f32_f16_e32 v5, v5
	v_lshl_add_u32 v13, v4, 7, v29
	s_delay_alu instid0(VALU_DEP_1)
	v_lshlrev_b64_e32 v[17:18], 2, v[13:14]
	v_mul_f32_e32 v13, v0, v15
	v_mul_f32_e32 v15, v0, v16
	;; [unrolled: 1-line block ×4, first 2 shown]
	v_add_co_u32 v17, vcc_lo, s16, v17
	s_wait_alu 0xfffd
	v_add_co_ci_u32_e64 v18, null, s17, v18, vcc_lo
	global_store_b128 v[17:18], v[13:16], off
	s_and_saveexec_b32 s6, s5
	s_cbranch_execz .LBB81_88
; %bb.87:
	v_ashrrev_i32_e32 v5, 31, v4
	v_mov_b32_e32 v8, v1
	s_delay_alu instid0(VALU_DEP_2) | instskip(NEXT) | instid1(VALU_DEP_1)
	v_lshlrev_b64_e32 v[4:5], 3, v[4:5]
	v_add_co_u32 v4, vcc_lo, s18, v4
	s_wait_alu 0xfffd
	s_delay_alu instid0(VALU_DEP_2)
	v_add_co_ci_u32_e64 v5, null, s19, v5, vcc_lo
	global_store_b64 v[4:5], v[8:9], off
.LBB81_88:
	s_wait_alu 0xfffe
	s_or_b32 exec_lo, exec_lo, s6
	v_cmp_gt_i32_e32 vcc_lo, s22, v27
	s_and_b32 exec_lo, exec_lo, vcc_lo
	s_cbranch_execz .LBB81_78
; %bb.89:
	v_cmp_ne_u32_e32 vcc_lo, 1, v12
	v_mov_b32_e32 v4, 1.0
	s_cbranch_vccnz .LBB81_91
; %bb.90:
	v_div_scale_f32 v0, null, v6, v6, 1.0
	s_delay_alu instid0(VALU_DEP_1) | instskip(NEXT) | instid1(TRANS32_DEP_1)
	v_rcp_f32_e32 v1, v0
	v_fma_f32 v4, -v0, v1, 1.0
	s_delay_alu instid0(VALU_DEP_1) | instskip(SKIP_1) | instid1(VALU_DEP_1)
	v_fmac_f32_e32 v1, v4, v1
	v_div_scale_f32 v4, vcc_lo, 1.0, v6, 1.0
	v_mul_f32_e32 v5, v4, v1
	s_delay_alu instid0(VALU_DEP_1) | instskip(NEXT) | instid1(VALU_DEP_1)
	v_fma_f32 v8, -v0, v5, v4
	v_fmac_f32_e32 v5, v8, v1
	s_delay_alu instid0(VALU_DEP_1) | instskip(SKIP_1) | instid1(VALU_DEP_1)
	v_fma_f32 v0, -v0, v5, v4
	s_wait_alu 0xfffd
	v_div_fmas_f32 v0, v0, v1, v5
	s_delay_alu instid0(VALU_DEP_1)
	v_div_fixup_f32 v4, v0, v6, 1.0
.LBB81_91:
	v_cvt_f32_f16_e32 v9, v52
	v_add_nc_u32_e32 v0, s3, v26
	v_cvt_f32_f16_e32 v14, v53
	v_mov_b32_e32 v6, 0
	v_lshrrev_b32_e32 v8, 16, v53
	v_mul_f32_e32 v13, v4, v9
	v_mad_co_u64_u32 v[0:1], null, v0, s23, s[2:3]
	v_mul_f32_e32 v15, v4, v14
	s_delay_alu instid0(VALU_DEP_4) | instskip(NEXT) | instid1(VALU_DEP_1)
	v_cvt_f32_f16_e32 v8, v8
	v_mul_f32_e32 v16, v4, v8
	s_delay_alu instid0(VALU_DEP_4) | instskip(SKIP_1) | instid1(VALU_DEP_1)
	v_mad_co_u64_u32 v[0:1], null, s1, v0, s[4:5]
	v_lshrrev_b32_e32 v1, 16, v52
	v_cvt_f32_f16_e32 v1, v1
	s_delay_alu instid0(VALU_DEP_3) | instskip(NEXT) | instid1(VALU_DEP_2)
	v_lshl_add_u32 v5, v0, 7, v29
	v_mul_f32_e32 v14, v4, v1
	s_delay_alu instid0(VALU_DEP_2) | instskip(NEXT) | instid1(VALU_DEP_1)
	v_lshlrev_b64_e32 v[5:6], 2, v[5:6]
	v_add_co_u32 v4, vcc_lo, s16, v5
	s_wait_alu 0xfffd
	s_delay_alu instid0(VALU_DEP_2)
	v_add_co_ci_u32_e64 v5, null, s17, v6, vcc_lo
	global_store_b128 v[4:5], v[13:16], off
	s_and_saveexec_b32 s2, s5
	s_cbranch_execz .LBB81_93
; %bb.92:
	v_ashrrev_i32_e32 v1, 31, v0
	v_mov_b32_e32 v9, v2
	s_delay_alu instid0(VALU_DEP_2) | instskip(NEXT) | instid1(VALU_DEP_1)
	v_lshlrev_b64_e32 v[0:1], 3, v[0:1]
	v_add_co_u32 v0, vcc_lo, s18, v0
	s_wait_alu 0xfffd
	s_delay_alu instid0(VALU_DEP_2)
	v_add_co_ci_u32_e64 v1, null, s19, v1, vcc_lo
	global_store_b64 v[0:1], v[9:10], off
.LBB81_93:
	s_wait_alu 0xfffe
	s_or_b32 exec_lo, exec_lo, s2
	v_cmp_gt_i32_e32 vcc_lo, s22, v25
	s_and_b32 exec_lo, exec_lo, vcc_lo
	s_cbranch_execz .LBB81_78
; %bb.94:
	v_cmp_ne_u32_e32 vcc_lo, 1, v12
	v_mov_b32_e32 v2, 1.0
	s_cbranch_vccnz .LBB81_96
; %bb.95:
	v_div_scale_f32 v0, null, v7, v7, 1.0
	s_delay_alu instid0(VALU_DEP_1) | instskip(NEXT) | instid1(TRANS32_DEP_1)
	v_rcp_f32_e32 v1, v0
	v_fma_f32 v2, -v0, v1, 1.0
	s_delay_alu instid0(VALU_DEP_1) | instskip(SKIP_1) | instid1(VALU_DEP_1)
	v_fmac_f32_e32 v1, v2, v1
	v_div_scale_f32 v2, vcc_lo, 1.0, v7, 1.0
	v_mul_f32_e32 v4, v2, v1
	s_delay_alu instid0(VALU_DEP_1) | instskip(NEXT) | instid1(VALU_DEP_1)
	v_fma_f32 v5, -v0, v4, v2
	v_fmac_f32_e32 v4, v5, v1
	s_delay_alu instid0(VALU_DEP_1) | instskip(SKIP_1) | instid1(VALU_DEP_1)
	v_fma_f32 v0, -v0, v4, v2
	s_wait_alu 0xfffd
	v_div_fmas_f32 v0, v0, v1, v4
	s_delay_alu instid0(VALU_DEP_1)
	v_div_fixup_f32 v2, v0, v7, 1.0
.LBB81_96:
	v_dual_mov_b32 v5, 0 :: v_dual_add_nc_u32 v0, s3, v24
	v_lshrrev_b32_e32 v6, 16, v50
	v_cvt_f32_f16_e32 v7, v51
	v_cvt_f32_f16_e32 v10, v50
	s_delay_alu instid0(VALU_DEP_4) | instskip(NEXT) | instid1(VALU_DEP_4)
	v_mad_co_u64_u32 v[0:1], null, v0, s23, s[0:1]
	v_cvt_f32_f16_e32 v12, v6
	s_delay_alu instid0(VALU_DEP_3) | instskip(NEXT) | instid1(VALU_DEP_3)
	v_mul_f32_e32 v6, v2, v10
	v_mad_co_u64_u32 v[0:1], null, s1, v0, s[4:5]
	v_lshrrev_b32_e32 v1, 16, v51
	s_delay_alu instid0(VALU_DEP_1) | instskip(NEXT) | instid1(VALU_DEP_3)
	v_cvt_f32_f16_e32 v1, v1
	v_lshl_add_u32 v4, v0, 7, v29
	s_delay_alu instid0(VALU_DEP_1) | instskip(NEXT) | instid1(VALU_DEP_3)
	v_lshlrev_b64_e32 v[8:9], 2, v[4:5]
	v_mul_f32_e32 v5, v2, v1
	v_mul_f32_e32 v4, v2, v7
	;; [unrolled: 1-line block ×3, first 2 shown]
	s_delay_alu instid0(VALU_DEP_4)
	v_add_co_u32 v1, vcc_lo, s16, v8
	s_wait_alu 0xfffd
	v_add_co_ci_u32_e64 v2, null, s17, v9, vcc_lo
	global_store_b128 v[1:2], v[4:7], off
	s_and_b32 exec_lo, exec_lo, s5
	s_cbranch_execz .LBB81_78
; %bb.97:
	v_ashrrev_i32_e32 v1, 31, v0
	v_mov_b32_e32 v10, v3
	s_delay_alu instid0(VALU_DEP_2) | instskip(NEXT) | instid1(VALU_DEP_1)
	v_lshlrev_b64_e32 v[0:1], 3, v[0:1]
	v_add_co_u32 v0, vcc_lo, s18, v0
	s_wait_alu 0xfffd
	s_delay_alu instid0(VALU_DEP_2)
	v_add_co_ci_u32_e64 v1, null, s19, v1, vcc_lo
	global_store_b64 v[0:1], v[10:11], off
	s_nop 0
	s_sendmsg sendmsg(MSG_DEALLOC_VGPRS)
	s_endpgm
	.section	.rodata,"a",@progbits
	.p2align	6, 0x0
	.amdhsa_kernel _ZL15flash_attn_tileILi128ELi128ELi16ELi2ELb1EEvPKcS1_S1_S1_S1_PKiPfP15HIP_vector_typeIfLj2EEffffjfiS5_IjLj3EEiiiiiiiiiiiliiliiiiil
		.amdhsa_group_segment_fixed_size 34816
		.amdhsa_private_segment_fixed_size 0
		.amdhsa_kernarg_size 464
		.amdhsa_user_sgpr_count 2
		.amdhsa_user_sgpr_dispatch_ptr 0
		.amdhsa_user_sgpr_queue_ptr 0
		.amdhsa_user_sgpr_kernarg_segment_ptr 1
		.amdhsa_user_sgpr_dispatch_id 0
		.amdhsa_user_sgpr_private_segment_size 0
		.amdhsa_wavefront_size32 1
		.amdhsa_uses_dynamic_stack 0
		.amdhsa_enable_private_segment 0
		.amdhsa_system_sgpr_workgroup_id_x 1
		.amdhsa_system_sgpr_workgroup_id_y 1
		.amdhsa_system_sgpr_workgroup_id_z 1
		.amdhsa_system_sgpr_workgroup_info 0
		.amdhsa_system_vgpr_workitem_id 1
		.amdhsa_next_free_vgpr 217
		.amdhsa_next_free_sgpr 44
		.amdhsa_reserve_vcc 1
		.amdhsa_float_round_mode_32 0
		.amdhsa_float_round_mode_16_64 0
		.amdhsa_float_denorm_mode_32 3
		.amdhsa_float_denorm_mode_16_64 3
		.amdhsa_fp16_overflow 0
		.amdhsa_workgroup_processor_mode 1
		.amdhsa_memory_ordered 1
		.amdhsa_forward_progress 1
		.amdhsa_inst_pref_size 255
		.amdhsa_round_robin_scheduling 0
		.amdhsa_exception_fp_ieee_invalid_op 0
		.amdhsa_exception_fp_denorm_src 0
		.amdhsa_exception_fp_ieee_div_zero 0
		.amdhsa_exception_fp_ieee_overflow 0
		.amdhsa_exception_fp_ieee_underflow 0
		.amdhsa_exception_fp_ieee_inexact 0
		.amdhsa_exception_int_div_zero 0
	.end_amdhsa_kernel
	.section	.text._ZL15flash_attn_tileILi128ELi128ELi16ELi2ELb1EEvPKcS1_S1_S1_S1_PKiPfP15HIP_vector_typeIfLj2EEffffjfiS5_IjLj3EEiiiiiiiiiiiliiliiiiil,"axG",@progbits,_ZL15flash_attn_tileILi128ELi128ELi16ELi2ELb1EEvPKcS1_S1_S1_S1_PKiPfP15HIP_vector_typeIfLj2EEffffjfiS5_IjLj3EEiiiiiiiiiiiliiliiiiil,comdat
.Lfunc_end81:
	.size	_ZL15flash_attn_tileILi128ELi128ELi16ELi2ELb1EEvPKcS1_S1_S1_S1_PKiPfP15HIP_vector_typeIfLj2EEffffjfiS5_IjLj3EEiiiiiiiiiiiliiliiiiil, .Lfunc_end81-_ZL15flash_attn_tileILi128ELi128ELi16ELi2ELb1EEvPKcS1_S1_S1_S1_PKiPfP15HIP_vector_typeIfLj2EEffffjfiS5_IjLj3EEiiiiiiiiiiiliiliiiiil
                                        ; -- End function
	.set _ZL15flash_attn_tileILi128ELi128ELi16ELi2ELb1EEvPKcS1_S1_S1_S1_PKiPfP15HIP_vector_typeIfLj2EEffffjfiS5_IjLj3EEiiiiiiiiiiiliiliiiiil.num_vgpr, 175
	.set _ZL15flash_attn_tileILi128ELi128ELi16ELi2ELb1EEvPKcS1_S1_S1_S1_PKiPfP15HIP_vector_typeIfLj2EEffffjfiS5_IjLj3EEiiiiiiiiiiiliiliiiiil.num_agpr, 0
	.set _ZL15flash_attn_tileILi128ELi128ELi16ELi2ELb1EEvPKcS1_S1_S1_S1_PKiPfP15HIP_vector_typeIfLj2EEffffjfiS5_IjLj3EEiiiiiiiiiiiliiliiiiil.numbered_sgpr, 44
	.set _ZL15flash_attn_tileILi128ELi128ELi16ELi2ELb1EEvPKcS1_S1_S1_S1_PKiPfP15HIP_vector_typeIfLj2EEffffjfiS5_IjLj3EEiiiiiiiiiiiliiliiiiil.num_named_barrier, 0
	.set _ZL15flash_attn_tileILi128ELi128ELi16ELi2ELb1EEvPKcS1_S1_S1_S1_PKiPfP15HIP_vector_typeIfLj2EEffffjfiS5_IjLj3EEiiiiiiiiiiiliiliiiiil.private_seg_size, 0
	.set _ZL15flash_attn_tileILi128ELi128ELi16ELi2ELb1EEvPKcS1_S1_S1_S1_PKiPfP15HIP_vector_typeIfLj2EEffffjfiS5_IjLj3EEiiiiiiiiiiiliiliiiiil.uses_vcc, 1
	.set _ZL15flash_attn_tileILi128ELi128ELi16ELi2ELb1EEvPKcS1_S1_S1_S1_PKiPfP15HIP_vector_typeIfLj2EEffffjfiS5_IjLj3EEiiiiiiiiiiiliiliiiiil.uses_flat_scratch, 0
	.set _ZL15flash_attn_tileILi128ELi128ELi16ELi2ELb1EEvPKcS1_S1_S1_S1_PKiPfP15HIP_vector_typeIfLj2EEffffjfiS5_IjLj3EEiiiiiiiiiiiliiliiiiil.has_dyn_sized_stack, 0
	.set _ZL15flash_attn_tileILi128ELi128ELi16ELi2ELb1EEvPKcS1_S1_S1_S1_PKiPfP15HIP_vector_typeIfLj2EEffffjfiS5_IjLj3EEiiiiiiiiiiiliiliiiiil.has_recursion, 0
	.set _ZL15flash_attn_tileILi128ELi128ELi16ELi2ELb1EEvPKcS1_S1_S1_S1_PKiPfP15HIP_vector_typeIfLj2EEffffjfiS5_IjLj3EEiiiiiiiiiiiliiliiiiil.has_indirect_call, 0
	.section	.AMDGPU.csdata,"",@progbits
; Kernel info:
; codeLenInByte = 32616
; TotalNumSgprs: 46
; NumVgprs: 175
; ScratchSize: 0
; MemoryBound: 0
; FloatMode: 240
; IeeeMode: 1
; LDSByteSize: 34816 bytes/workgroup (compile time only)
; SGPRBlocks: 0
; VGPRBlocks: 27
; NumSGPRsForWavesPerEU: 46
; NumVGPRsForWavesPerEU: 217
; Occupancy: 6
; WaveLimiterHint : 1
; COMPUTE_PGM_RSRC2:SCRATCH_EN: 0
; COMPUTE_PGM_RSRC2:USER_SGPR: 2
; COMPUTE_PGM_RSRC2:TRAP_HANDLER: 0
; COMPUTE_PGM_RSRC2:TGID_X_EN: 1
; COMPUTE_PGM_RSRC2:TGID_Y_EN: 1
; COMPUTE_PGM_RSRC2:TGID_Z_EN: 1
; COMPUTE_PGM_RSRC2:TIDIG_COMP_CNT: 1
	.section	.text._ZL15flash_attn_tileILi128ELi128ELi8ELi2ELb1EEvPKcS1_S1_S1_S1_PKiPfP15HIP_vector_typeIfLj2EEffffjfiS5_IjLj3EEiiiiiiiiiiiliiliiiiil,"axG",@progbits,_ZL15flash_attn_tileILi128ELi128ELi8ELi2ELb1EEvPKcS1_S1_S1_S1_PKiPfP15HIP_vector_typeIfLj2EEffffjfiS5_IjLj3EEiiiiiiiiiiiliiliiiiil,comdat
	.globl	_ZL15flash_attn_tileILi128ELi128ELi8ELi2ELb1EEvPKcS1_S1_S1_S1_PKiPfP15HIP_vector_typeIfLj2EEffffjfiS5_IjLj3EEiiiiiiiiiiiliiliiiiil ; -- Begin function _ZL15flash_attn_tileILi128ELi128ELi8ELi2ELb1EEvPKcS1_S1_S1_S1_PKiPfP15HIP_vector_typeIfLj2EEffffjfiS5_IjLj3EEiiiiiiiiiiiliiliiiiil
	.p2align	8
	.type	_ZL15flash_attn_tileILi128ELi128ELi8ELi2ELb1EEvPKcS1_S1_S1_S1_PKiPfP15HIP_vector_typeIfLj2EEffffjfiS5_IjLj3EEiiiiiiiiiiiliiliiiiil,@function
_ZL15flash_attn_tileILi128ELi128ELi8ELi2ELb1EEvPKcS1_S1_S1_S1_PKiPfP15HIP_vector_typeIfLj2EEffffjfiS5_IjLj3EEiiiiiiiiiiiliiliiiiil: ; @_ZL15flash_attn_tileILi128ELi128ELi8ELi2ELb1EEvPKcS1_S1_S1_S1_PKiPfP15HIP_vector_typeIfLj2EEffffjfiS5_IjLj3EEiiiiiiiiiiiliiliiiiil
; %bb.0:
	s_clause 0x1
	s_load_b128 s[20:23], s[0:1], 0x5c
	s_load_b64 s[30:31], s[0:1], 0x80
	s_lshr_b32 s5, ttmp7, 16
	s_load_b64 s[38:39], s[0:1], 0xb8
	s_mov_b32 s37, 0
	s_mov_b64 s[34:35], 0
	s_wait_kmcnt 0x0
	s_lshr_b32 s2, s23, 31
	s_delay_alu instid0(SALU_CYCLE_1) | instskip(NEXT) | instid1(SALU_CYCLE_1)
	s_add_co_i32 s2, s23, s2
	s_ashr_i32 s2, s2, 1
	s_delay_alu instid0(SALU_CYCLE_1) | instskip(SKIP_1) | instid1(SALU_CYCLE_2)
	s_cvt_f32_u32 s3, s2
	s_sub_co_i32 s4, 0, s2
	v_rcp_iflag_f32_e32 v1, s3
	s_delay_alu instid0(TRANS32_DEP_1) | instskip(SKIP_2) | instid1(SALU_CYCLE_2)
	v_readfirstlane_b32 s3, v1
	s_mul_f32 s3, s3, 0x4f7ffffe
	s_wait_alu 0xfffe
	s_cvt_u32_f32 s3, s3
	s_wait_alu 0xfffe
	s_delay_alu instid0(SALU_CYCLE_2) | instskip(NEXT) | instid1(SALU_CYCLE_1)
	s_mul_i32 s4, s4, s3
	s_mul_hi_u32 s4, s3, s4
	s_delay_alu instid0(SALU_CYCLE_1)
	s_add_co_i32 s3, s3, s4
	s_wait_alu 0xfffe
	s_mul_hi_u32 s3, s5, s3
	s_wait_alu 0xfffe
	s_mul_i32 s4, s3, s2
	s_add_co_i32 s6, s3, 1
	s_sub_co_i32 s4, s5, s4
	s_delay_alu instid0(SALU_CYCLE_1)
	s_sub_co_i32 s7, s4, s2
	s_cmp_ge_u32 s4, s2
	s_cselect_b32 s3, s6, s3
	s_cselect_b32 s4, s7, s4
	s_wait_alu 0xfffe
	s_add_co_i32 s6, s3, 1
	s_cmp_ge_u32 s4, s2
	s_cselect_b32 s2, s6, s3
	s_abs_i32 s3, s31
	s_abs_i32 s8, s23
	s_wait_alu 0xfffe
	s_cvt_f32_u32 s4, s3
	s_sub_co_i32 s6, 0, s3
	s_lshl_b32 s5, s5, 1
	s_mul_i32 s7, s2, s23
	v_rcp_iflag_f32_e32 v1, s4
	s_sub_co_i32 s28, s5, s7
	s_xor_b32 s5, s23, s31
	s_wait_alu 0xfffe
	s_ashr_i32 s24, s5, 31
	s_delay_alu instid0(TRANS32_DEP_1) | instskip(SKIP_2) | instid1(SALU_CYCLE_2)
	v_readfirstlane_b32 s4, v1
	s_mul_f32 s4, s4, 0x4f7ffffe
	s_wait_alu 0xfffe
	s_cvt_u32_f32 s4, s4
	s_wait_alu 0xfffe
	s_delay_alu instid0(SALU_CYCLE_2) | instskip(NEXT) | instid1(SALU_CYCLE_1)
	s_mul_i32 s6, s6, s4
	s_mul_hi_u32 s6, s4, s6
	s_delay_alu instid0(SALU_CYCLE_1) | instskip(SKIP_4) | instid1(SALU_CYCLE_1)
	s_add_co_i32 s4, s4, s6
	s_wait_alu 0xfffe
	s_mul_hi_u32 s4, s8, s4
	s_wait_alu 0xfffe
	s_mul_i32 s6, s4, s3
	s_sub_co_i32 s5, s8, s6
	s_add_co_i32 s6, s4, 1
	s_wait_alu 0xfffe
	s_sub_co_i32 s7, s5, s3
	s_cmp_ge_u32 s5, s3
	s_cselect_b32 s4, s6, s4
	s_cselect_b32 s5, s7, s5
	s_wait_alu 0xfffe
	s_add_co_i32 s6, s4, 1
	s_cmp_ge_u32 s5, s3
	s_cselect_b32 s3, s6, s4
	s_load_b512 s[4:19], s[0:1], 0x0
	s_xor_b32 s3, s3, s24
	s_wait_alu 0xfffe
	s_sub_co_i32 s31, s3, s24
	s_delay_alu instid0(SALU_CYCLE_1) | instskip(NEXT) | instid1(SALU_CYCLE_1)
	s_abs_i32 s29, s31
	s_cvt_f32_u32 s3, s29
	s_wait_alu 0xfffe
	s_delay_alu instid0(SALU_CYCLE_2) | instskip(SKIP_2) | instid1(TRANS32_DEP_1)
	v_rcp_iflag_f32_e32 v1, s3
	s_wait_kmcnt 0x0
	s_cmp_eq_u64 s[10:11], 0
	v_readfirstlane_b32 s27, v1
	s_cbranch_scc1 .LBB82_2
; %bb.1:
	s_abs_i32 s3, s38
	s_wait_alu 0xfffe
	s_cvt_f32_u32 s24, s3
	s_delay_alu instid0(SALU_CYCLE_3) | instskip(NEXT) | instid1(TRANS32_DEP_1)
	v_rcp_iflag_f32_e32 v1, s24
	v_readfirstlane_b32 s24, v1
	s_mul_f32 s24, s24, 0x4f7ffffe
	s_wait_alu 0xfffe
	s_delay_alu instid0(SALU_CYCLE_2) | instskip(SKIP_2) | instid1(SALU_CYCLE_1)
	s_cvt_u32_f32 s26, s24
	s_sub_co_i32 s24, 0, s3
	s_wait_alu 0xfffe
	s_mul_i32 s24, s24, s26
	s_wait_alu 0xfffe
	s_mul_hi_u32 s33, s26, s24
	s_load_b64 s[24:25], s[0:1], 0xc8
	s_add_co_i32 s26, s26, s33
	s_delay_alu instid0(SALU_CYCLE_1) | instskip(NEXT) | instid1(SALU_CYCLE_1)
	s_mul_hi_u32 s26, s2, s26
	s_mul_i32 s26, s26, s3
	s_delay_alu instid0(SALU_CYCLE_1) | instskip(NEXT) | instid1(SALU_CYCLE_1)
	s_sub_co_i32 s26, s2, s26
	s_sub_co_i32 s33, s26, s3
	s_cmp_ge_u32 s26, s3
	s_cselect_b32 s26, s33, s26
	s_delay_alu instid0(SALU_CYCLE_1) | instskip(SKIP_2) | instid1(SALU_CYCLE_1)
	s_sub_co_i32 s33, s26, s3
	s_cmp_ge_u32 s26, s3
	s_cselect_b32 s34, s33, s26
	s_ashr_i32 s35, s34, 31
	s_wait_kmcnt 0x0
	s_mul_u64 s[24:25], s[24:25], s[34:35]
	s_wait_alu 0xfffe
	s_add_nc_u64 s[34:35], s[10:11], s[24:25]
.LBB82_2:
	v_bfe_u32 v3, v0, 10, 10
	s_load_b96 s[24:26], s[0:1], 0x70
	v_and_b32_e32 v0, 0x3ff, v0
	s_delay_alu instid0(VALU_DEP_2) | instskip(NEXT) | instid1(VALU_DEP_2)
	v_lshl_add_u32 v1, ttmp9, 3, v3
	v_lshlrev_b32_e32 v38, 3, v0
	s_delay_alu instid0(VALU_DEP_2) | instskip(NEXT) | instid1(VALU_DEP_1)
	v_mul_hi_u32 v2, s20, v1
	v_add_nc_u32_e32 v2, v1, v2
	s_wait_kmcnt 0x0
	s_ashr_i32 s11, s24, 31
	s_mov_b32 s10, s24
	s_delay_alu instid0(VALU_DEP_1) | instskip(SKIP_3) | instid1(SALU_CYCLE_1)
	v_lshrrev_b32_e32 v2, s21, v2
	s_lshr_b64 s[20:21], s[10:11], 2
	s_lshr_b32 s3, s11, 2
	s_mul_i32 s10, s2, s26
	s_ashr_i32 s11, s10, 31
	v_mul_lo_u32 v2, v2, s22
	s_add_nc_u64 s[4:5], s[4:5], s[10:11]
	s_delay_alu instid0(VALU_DEP_1) | instskip(SKIP_1) | instid1(VALU_DEP_1)
	v_sub_nc_u32_e32 v2, v1, v2
	s_wait_alu 0xfffe
	v_mad_co_u64_u32 v[4:5], null, s20, v2, 0
	s_mul_i32 s20, s28, s25
	s_wait_alu 0xfffe
	s_ashr_i32 s21, s20, 31
	s_wait_alu 0xfffe
	s_add_nc_u64 s[4:5], s[4:5], s[20:21]
	v_mad_co_u64_u32 v[5:6], null, s3, v2, v[5:6]
	v_lshlrev_b32_e32 v6, 4, v0
	s_ashr_i32 s3, s25, 31
	s_delay_alu instid0(VALU_DEP_2) | instskip(SKIP_1) | instid1(VALU_DEP_1)
	v_lshlrev_b64_e32 v[4:5], 2, v[4:5]
	s_wait_alu 0xfffe
	v_add_co_u32 v4, vcc_lo, s4, v4
	s_delay_alu instid0(VALU_DEP_1)
	v_add_co_ci_u32_e64 v5, null, s5, v5, vcc_lo
	s_and_b32 s4, s25, -4
	v_add_co_u32 v9, vcc_lo, v4, v6
	s_wait_alu 0xfffd
	v_add_co_ci_u32_e64 v10, null, 0, v5, vcc_lo
	v_lshlrev_b32_e32 v4, 9, v3
	s_cmp_eq_u64 s[14:15], 0
	global_load_b128 v[5:8], v[9:10], off
	s_wait_alu 0xfffe
	v_add_co_u32 v9, vcc_lo, v9, s4
	s_wait_alu 0xfffd
	v_add_co_ci_u32_e64 v10, null, s3, v10, vcc_lo
	s_load_b32 s3, s[0:1], 0x40
	v_add_nc_u32_e32 v39, 0x9800, v4
	global_load_b128 v[9:12], v[9:10], off
	s_wait_loadcnt 0x1
	s_wait_kmcnt 0x0
	v_fma_mixlo_f16 v6, s3, v6, 0
	v_fma_mixlo_f16 v5, s3, v5, 0
	;; [unrolled: 1-line block ×4, first 2 shown]
	s_delay_alu instid0(VALU_DEP_4) | instskip(NEXT) | instid1(VALU_DEP_4)
	v_lshlrev_b32_e32 v6, 16, v6
	v_and_b32_e32 v5, 0xffff, v5
	s_delay_alu instid0(VALU_DEP_4)
	v_and_b32_e32 v7, 0xffff, v7
	s_wait_loadcnt 0x0
	v_fma_mixlo_f16 v10, s3, v10, 0
	v_fma_mixlo_f16 v9, s3, v9, 0
	;; [unrolled: 1-line block ×4, first 2 shown]
	v_lshlrev_b32_e32 v8, 16, v8
	v_lshlrev_b32_e32 v10, 16, v10
	v_and_b32_e32 v9, 0xffff, v9
	v_or_b32_e32 v5, v6, v5
	v_lshlrev_b32_e32 v12, 16, v12
	v_and_b32_e32 v11, 0xffff, v11
	v_or3_b32 v6, v8, v7, 0
	v_or_b32_e32 v9, v10, v9
	v_add_nc_u32_e32 v10, v39, v38
	v_or3_b32 v5, 0, 0, v5
	v_or3_b32 v8, v12, v11, 0
	s_delay_alu instid0(VALU_DEP_4)
	v_or3_b32 v7, 0, 0, v9
	ds_store_2addr_b64 v10, v[5:6], v[7:8] offset1:32
	s_wait_dscnt 0x0
	s_barrier_signal -1
	s_barrier_wait -1
	global_inv scope:SCOPE_SE
	s_cbranch_scc1 .LBB82_4
; %bb.3:
	s_load_b32 s3, s[0:1], 0xd0
	s_mov_b32 s5, 0
	s_wait_kmcnt 0x0
	s_mul_i32 s3, s3, s2
	s_wait_alu 0xfffe
	s_add_co_i32 s4, s3, ttmp9
	s_wait_alu 0xfffe
	s_lshl_b64 s[4:5], s[4:5], 2
	s_wait_alu 0xfffe
	s_add_nc_u64 s[4:5], s[14:15], s[4:5]
	s_load_b32 s30, s[4:5], 0x0
.LBB82_4:
	s_and_b32 s4, ttmp7, 0xffff
	v_mbcnt_lo_u32_b32 v40, -1, 0
	s_wait_alu 0xfffe
	s_lshl_b32 s10, s4, 7
	s_wait_kmcnt 0x0
	s_cmp_lt_i32 s10, s30
	s_cbranch_scc1 .LBB82_7
; %bb.5:
	v_mbcnt_lo_u32_b32 v5, -1, 0
	v_mov_b32_e32 v41, 32
	s_delay_alu instid0(VALU_DEP_2)
	v_xor_b32_e32 v73, 16, v5
	v_xor_b32_e32 v69, 8, v5
	;; [unrolled: 1-line block ×5, first 2 shown]
	v_lshlrev_b32_e32 v37, 2, v0
	s_mov_b32 s3, 0
	s_cbranch_execz .LBB82_8
; %bb.6:
	v_dual_mov_b32 v64, 0 :: v_dual_mov_b32 v75, 0
	v_dual_mov_b32 v36, 0xfeffffff :: v_dual_mov_b32 v35, 0xfeffffff
	;; [unrolled: 1-line block ×4, first 2 shown]
	s_branch .LBB82_44
.LBB82_7:
                                        ; implicit-def: $vgpr5
                                        ; implicit-def: $vgpr41
                                        ; implicit-def: $vgpr73
                                        ; implicit-def: $vgpr69
                                        ; implicit-def: $vgpr70
                                        ; implicit-def: $vgpr71
                                        ; implicit-def: $vgpr72
	v_lshlrev_b32_e32 v37, 2, v0
	s_mov_b32 s3, 0
.LBB82_8:
	s_mul_f32 s5, s27, 0x4f7ffffe
	s_clause 0x1
	s_load_b128 s[24:27], s[0:1], 0x98
	s_load_b64 s[20:21], s[0:1], 0x8c
	s_sub_co_i32 s14, 0, s29
	s_abs_i32 s36, s28
	s_cvt_u32_f32 s11, s5
	s_clause 0x1
	s_load_b32 s5, s[0:1], 0x54
	s_load_b64 s[40:41], s[0:1], 0xa8
	s_mov_b32 s15, s37
	s_mul_i32 s14, s14, s11
	s_ashr_i32 s33, s28, 31
	s_mul_hi_u32 s14, s11, s14
	v_lshrrev_b32_e32 v5, 4, v0
	s_add_co_i32 s14, s11, s14
	s_ashr_i32 s11, s31, 31
	s_mul_u64 s[14:15], s[36:37], s[14:15]
	s_xor_b32 s11, s33, s11
	s_mul_i32 s33, s15, s29
	s_ashr_i32 s31, s39, 1
	s_add_co_i32 s37, s15, 1
	v_lshl_add_u32 v3, v3, 1, v5
	s_wait_kmcnt 0x0
	s_ashr_i32 s14, s26, 2
	s_sub_co_i32 s26, s36, s33
	s_ashr_i32 s20, s20, 2
	s_sub_co_i32 s33, s26, s29
	s_cmp_ge_u32 s26, s29
	s_wait_alu 0xfffe
	v_mul_lo_u32 v5, s20, v3
	s_cselect_b32 s15, s37, s15
	s_cselect_b32 s26, s33, s26
	s_add_co_i32 s33, s15, 1
	s_cmp_ge_u32 s26, s29
	v_mul_lo_u32 v19, s14, v3
	s_cselect_b32 s15, s33, s15
	s_mul_u64 s[24:25], s[24:25], s[2:3]
	s_wait_alu 0xfffe
	s_xor_b32 s15, s15, s11
	s_mul_u64 s[36:37], s[40:41], s[2:3]
	s_wait_alu 0xfffe
	s_sub_co_i32 s3, s15, s11
	s_add_nc_u64 s[6:7], s[6:7], s[24:25]
	s_wait_alu 0xfffe
	s_mul_i32 s24, s3, s21
	s_lshl_b32 s11, s20, 4
	s_mul_i32 s26, s3, s27
	s_lshl_b32 s3, s14, 4
	v_dual_mov_b32 v68, 0xfeffffff :: v_dual_add_nc_u32 v7, s11, v5
	s_wait_alu 0xfffe
	v_dual_mov_b32 v64, 0 :: v_dual_add_nc_u32 v21, s3, v19
	s_delay_alu instid0(VALU_DEP_2) | instskip(SKIP_1) | instid1(VALU_DEP_3)
	v_dual_mov_b32 v66, 0 :: v_dual_add_nc_u32 v9, s11, v7
	v_dual_mov_b32 v62, 0 :: v_dual_and_b32 v41, 60, v37
	v_add_nc_u32_e32 v23, s3, v21
	v_ashrrev_i32_e32 v6, 31, v5
	s_delay_alu instid0(VALU_DEP_4) | instskip(NEXT) | instid1(VALU_DEP_4)
	v_add_nc_u32_e32 v11, s11, v9
	v_lshlrev_b32_e32 v20, 2, v41
	v_ashrrev_i32_e32 v8, 31, v7
	v_add_nc_u32_e32 v27, s3, v23
	v_ashrrev_i32_e32 v10, 31, v9
	v_add_nc_u32_e32 v13, s11, v11
	v_ashrrev_i32_e32 v12, 31, v11
	v_ashrrev_i32_e32 v22, 31, v21
	v_add_nc_u32_e32 v29, s3, v27
	v_ashrrev_i32_e32 v24, 31, v23
	v_add_nc_u32_e32 v15, s11, v13
	v_ashrrev_i32_e32 v14, 31, v13
	;; [unrolled: 5-line block ×3, first 2 shown]
	v_dual_mov_b32 v67, 0xfeffffff :: v_dual_lshlrev_b32 v60, 2, v41
	v_add_nc_u32_e32 v33, s3, v31
	s_delay_alu instid0(VALU_DEP_4)
	v_add_nc_u32_e32 v25, s11, v17
	v_ashrrev_i32_e32 v18, 31, v17
	v_ashrrev_i32_e32 v32, 31, v31
	v_mov_b32_e32 v41, 32
	v_add_nc_u32_e32 v35, s3, v33
	v_mad_u32_u24 v42, 0x110, v3, v20
	v_ashrrev_i32_e32 v26, 31, v25
	v_lshl_or_b32 v51, v3, 8, v20
	v_ashrrev_i32_e32 v20, 31, v19
	v_ashrrev_i32_e32 v34, 31, v33
	;; [unrolled: 1-line block ×3, first 2 shown]
	v_mad_co_u64_u32 v[2:3], null, v2, s31, v[0:1]
	v_add_nc_u32_e32 v52, 0x8800, v4
	v_lshlrev_b64_e32 v[3:4], 2, v[5:6]
	v_lshlrev_b64_e32 v[5:6], 2, v[7:8]
	;; [unrolled: 1-line block ×16, first 2 shown]
	v_add_nc_u32_e32 v43, 0x1100, v42
	v_dual_mov_b32 v63, 0 :: v_dual_add_nc_u32 v44, 0x2200, v42
	v_add_nc_u32_e32 v45, 0x3300, v42
	v_dual_mov_b32 v65, 0 :: v_dual_add_nc_u32 v46, 0x4400, v42
	;; [unrolled: 2-line block ×3, first 2 shown]
	v_add_nc_u32_e32 v49, 0x7700, v42
	v_mul_u32_u24_e32 v50, 0x110, v0
	v_add_nc_u32_e32 v53, 0x1000, v51
	v_add_nc_u32_e32 v54, 0x2000, v51
	;; [unrolled: 1-line block ×7, first 2 shown]
	s_ashr_i32 s25, s24, 31
	s_add_nc_u64 s[8:9], s[8:9], s[36:37]
	s_ashr_i32 s27, s26, 31
	s_wait_alu 0xfffe
	s_add_nc_u64 s[6:7], s[6:7], s[24:25]
	s_add_nc_u64 s[8:9], s[8:9], s[26:27]
	s_ashr_i32 s21, s20, 31
	s_ashr_i32 s15, s14, 31
	s_add_nc_u64 s[24:25], s[0:1], 0xd0
	s_mov_b32 s3, 0xbbbac73d
.LBB82_9:                               ; =>This Inner Loop Header: Depth=1
	s_ashr_i32 s11, s10, 31
	s_wait_alu 0xfffe
	s_mul_u64 s[26:27], s[10:11], s[20:21]
	s_wait_alu 0xfffe
	s_lshl_b64 s[26:27], s[26:27], 2
	s_wait_alu 0xfffe
	s_add_nc_u64 s[26:27], s[6:7], s[26:27]
	s_wait_alu 0xfffe
	v_add_co_u32 v35, vcc_lo, s26, v3
	s_wait_alu 0xfffd
	v_add_co_ci_u32_e64 v36, null, s27, v4, vcc_lo
	v_add_co_u32 v69, vcc_lo, s26, v5
	s_wait_alu 0xfffd
	v_add_co_ci_u32_e64 v70, null, s27, v6, vcc_lo
	;; [unrolled: 3-line block ×4, first 2 shown]
	s_clause 0x1
	global_load_b128 v[69:72], v[35:36], off
	global_load_b128 v[73:76], v[73:74], off
	v_add_co_u32 v35, vcc_lo, s26, v7
	s_wait_alu 0xfffd
	v_add_co_ci_u32_e64 v36, null, s27, v8, vcc_lo
	v_add_co_u32 v77, vcc_lo, s26, v9
	s_wait_alu 0xfffd
	v_add_co_ci_u32_e64 v78, null, s27, v10, vcc_lo
	;; [unrolled: 3-line block ×12, first 2 shown]
	s_clause 0x5
	global_load_b128 v[77:80], v[35:36], off
	global_load_b128 v[81:84], v[81:82], off
	;; [unrolled: 1-line block ×6, first 2 shown]
	s_wait_loadcnt 0x7
	ds_store_b128 v42, v[69:72]
	s_wait_loadcnt 0x6
	ds_store_b128 v43, v[73:76]
	s_wait_loadcnt 0x5
	ds_store_b128 v44, v[77:80]
	s_wait_loadcnt 0x4
	ds_store_b128 v45, v[81:84]
	s_wait_loadcnt 0x3
	ds_store_b128 v46, v[85:88]
	s_wait_loadcnt 0x2
	ds_store_b128 v47, v[89:92]
	s_wait_loadcnt 0x1
	ds_store_b128 v48, v[93:96]
	s_wait_loadcnt 0x0
	ds_store_b128 v49, v[97:100]
	s_wait_dscnt 0x0
	s_barrier_signal -1
	s_barrier_wait -1
	global_inv scope:SCOPE_SE
	ds_load_b128 v[78:81], v50
	ds_load_b128 v[82:85], v39
	ds_load_b128 v[86:89], v39 offset:256
	ds_load_b128 v[90:93], v50 offset:8704
	v_dual_mov_b32 v69, 0 :: v_dual_mov_b32 v74, 0
	ds_load_b128 v[94:97], v50 offset:17408
	ds_load_b128 v[98:101], v50 offset:26112
	s_wait_dscnt 0x4
	;;#ASMSTART
	v_dot2_f32_f16 v69, v78, v82, v69
	;;#ASMEND
	;;#ASMSTART
	v_dot2_f32_f16 v69, v79, v83, v69
	;;#ASMEND
	;; [unrolled: 3-line block ×4, first 2 shown]
	s_wait_dscnt 0x3
	;;#ASMSTART
	v_dot2_f32_f16 v74, v78, v86, v74
	;;#ASMEND
	;;#ASMSTART
	v_dot2_f32_f16 v74, v79, v87, v74
	;;#ASMEND
	v_dual_mov_b32 v70, 0 :: v_dual_mov_b32 v75, 0
	;;#ASMSTART
	v_dot2_f32_f16 v74, v80, v88, v74
	;;#ASMEND
	;;#ASMSTART
	v_dot2_f32_f16 v74, v81, v89, v74
	;;#ASMEND
	s_wait_dscnt 0x2
	;;#ASMSTART
	v_dot2_f32_f16 v70, v90, v82, v70
	;;#ASMEND
	;;#ASMSTART
	v_dot2_f32_f16 v70, v91, v83, v70
	;;#ASMEND
	;;#ASMSTART
	v_dot2_f32_f16 v70, v92, v84, v70
	;;#ASMEND
	;;#ASMSTART
	v_dot2_f32_f16 v70, v93, v85, v70
	;;#ASMEND
	;;#ASMSTART
	v_dot2_f32_f16 v75, v90, v86, v75
	;;#ASMEND
	;;#ASMSTART
	v_dot2_f32_f16 v75, v91, v87, v75
	;;#ASMEND
	v_dual_mov_b32 v71, 0 :: v_dual_mov_b32 v76, 0
	;;#ASMSTART
	v_dot2_f32_f16 v75, v92, v88, v75
	;;#ASMEND
	;;#ASMSTART
	v_dot2_f32_f16 v75, v93, v89, v75
	;;#ASMEND
	s_wait_dscnt 0x1
	;;#ASMSTART
	v_dot2_f32_f16 v71, v94, v82, v71
	;;#ASMEND
	;;#ASMSTART
	v_dot2_f32_f16 v71, v95, v83, v71
	;;#ASMEND
	;;#ASMSTART
	v_dot2_f32_f16 v71, v96, v84, v71
	;;#ASMEND
	;;#ASMSTART
	v_dot2_f32_f16 v71, v97, v85, v71
	;;#ASMEND
	;;#ASMSTART
	v_dot2_f32_f16 v76, v94, v86, v76
	;;#ASMEND
	;;#ASMSTART
	v_dot2_f32_f16 v76, v95, v87, v76
	;;#ASMEND
	v_dual_mov_b32 v72, 0 :: v_dual_mov_b32 v77, 0
	;;#ASMSTART
	v_dot2_f32_f16 v76, v96, v88, v76
	;;#ASMEND
	;;#ASMSTART
	v_dot2_f32_f16 v76, v97, v89, v76
	;;#ASMEND
	s_wait_dscnt 0x0
	;;#ASMSTART
	v_dot2_f32_f16 v72, v98, v82, v72
	;;#ASMEND
	;;#ASMSTART
	v_dot2_f32_f16 v72, v99, v83, v72
	;;#ASMEND
	;;#ASMSTART
	v_dot2_f32_f16 v72, v100, v84, v72
	;;#ASMEND
	;;#ASMSTART
	v_dot2_f32_f16 v72, v101, v85, v72
	;;#ASMEND
	;;#ASMSTART
	v_dot2_f32_f16 v77, v98, v86, v77
	;;#ASMEND
	;;#ASMSTART
	v_dot2_f32_f16 v77, v99, v87, v77
	;;#ASMEND
	;;#ASMSTART
	v_dot2_f32_f16 v77, v100, v88, v77
	;;#ASMEND
	;;#ASMSTART
	v_dot2_f32_f16 v77, v101, v89, v77
	;;#ASMEND
	ds_load_b128 v[78:81], v50 offset:16
	ds_load_b128 v[82:85], v39 offset:16
	;; [unrolled: 1-line block ×6, first 2 shown]
	s_wait_dscnt 0x4
	;;#ASMSTART
	v_dot2_f32_f16 v69, v78, v82, v69
	;;#ASMEND
	;;#ASMSTART
	v_dot2_f32_f16 v69, v79, v83, v69
	;;#ASMEND
	;;#ASMSTART
	v_dot2_f32_f16 v69, v80, v84, v69
	;;#ASMEND
	;;#ASMSTART
	v_dot2_f32_f16 v69, v81, v85, v69
	;;#ASMEND
	s_wait_dscnt 0x3
	;;#ASMSTART
	v_dot2_f32_f16 v74, v78, v86, v74
	;;#ASMEND
	;;#ASMSTART
	v_dot2_f32_f16 v74, v79, v87, v74
	;;#ASMEND
	;;#ASMSTART
	v_dot2_f32_f16 v74, v80, v88, v74
	;;#ASMEND
	;;#ASMSTART
	v_dot2_f32_f16 v74, v81, v89, v74
	;;#ASMEND
	;; [unrolled: 13-line block ×3, first 2 shown]
	;;#ASMSTART
	v_dot2_f32_f16 v75, v90, v86, v75
	;;#ASMEND
	;;#ASMSTART
	v_dot2_f32_f16 v75, v91, v87, v75
	;;#ASMEND
	;; [unrolled: 3-line block ×4, first 2 shown]
	s_wait_dscnt 0x1
	;;#ASMSTART
	v_dot2_f32_f16 v71, v94, v82, v71
	;;#ASMEND
	;;#ASMSTART
	v_dot2_f32_f16 v71, v95, v83, v71
	;;#ASMEND
	;; [unrolled: 3-line block ×8, first 2 shown]
	s_wait_dscnt 0x0
	;;#ASMSTART
	v_dot2_f32_f16 v72, v98, v82, v72
	;;#ASMEND
	;;#ASMSTART
	v_dot2_f32_f16 v72, v99, v83, v72
	;;#ASMEND
	;; [unrolled: 3-line block ×8, first 2 shown]
	ds_load_b128 v[78:81], v50 offset:32
	ds_load_b128 v[82:85], v39 offset:32
	;; [unrolled: 1-line block ×6, first 2 shown]
	s_wait_dscnt 0x4
	;;#ASMSTART
	v_dot2_f32_f16 v69, v78, v82, v69
	;;#ASMEND
	;;#ASMSTART
	v_dot2_f32_f16 v69, v79, v83, v69
	;;#ASMEND
	;;#ASMSTART
	v_dot2_f32_f16 v69, v80, v84, v69
	;;#ASMEND
	;;#ASMSTART
	v_dot2_f32_f16 v69, v81, v85, v69
	;;#ASMEND
	s_wait_dscnt 0x3
	;;#ASMSTART
	v_dot2_f32_f16 v74, v78, v86, v74
	;;#ASMEND
	;;#ASMSTART
	v_dot2_f32_f16 v74, v79, v87, v74
	;;#ASMEND
	;;#ASMSTART
	v_dot2_f32_f16 v74, v80, v88, v74
	;;#ASMEND
	;;#ASMSTART
	v_dot2_f32_f16 v74, v81, v89, v74
	;;#ASMEND
	s_wait_dscnt 0x2
	;;#ASMSTART
	v_dot2_f32_f16 v70, v90, v82, v70
	;;#ASMEND
	;;#ASMSTART
	v_dot2_f32_f16 v70, v91, v83, v70
	;;#ASMEND
	;;#ASMSTART
	v_dot2_f32_f16 v70, v92, v84, v70
	;;#ASMEND
	;;#ASMSTART
	v_dot2_f32_f16 v70, v93, v85, v70
	;;#ASMEND
	;;#ASMSTART
	v_dot2_f32_f16 v75, v90, v86, v75
	;;#ASMEND
	;;#ASMSTART
	v_dot2_f32_f16 v75, v91, v87, v75
	;;#ASMEND
	;; [unrolled: 3-line block ×4, first 2 shown]
	s_wait_dscnt 0x1
	;;#ASMSTART
	v_dot2_f32_f16 v71, v94, v82, v71
	;;#ASMEND
	;;#ASMSTART
	v_dot2_f32_f16 v71, v95, v83, v71
	;;#ASMEND
	;;#ASMSTART
	v_dot2_f32_f16 v71, v96, v84, v71
	;;#ASMEND
	;;#ASMSTART
	v_dot2_f32_f16 v71, v97, v85, v71
	;;#ASMEND
	;;#ASMSTART
	v_dot2_f32_f16 v76, v94, v86, v76
	;;#ASMEND
	;;#ASMSTART
	v_dot2_f32_f16 v76, v95, v87, v76
	;;#ASMEND
	;;#ASMSTART
	v_dot2_f32_f16 v76, v96, v88, v76
	;;#ASMEND
	;;#ASMSTART
	v_dot2_f32_f16 v76, v97, v89, v76
	;;#ASMEND
	s_wait_dscnt 0x0
	;;#ASMSTART
	v_dot2_f32_f16 v72, v98, v82, v72
	;;#ASMEND
	;;#ASMSTART
	v_dot2_f32_f16 v72, v99, v83, v72
	;;#ASMEND
	;; [unrolled: 3-line block ×8, first 2 shown]
	ds_load_b128 v[78:81], v50 offset:48
	ds_load_b128 v[82:85], v39 offset:48
	;; [unrolled: 1-line block ×6, first 2 shown]
	s_wait_dscnt 0x4
	;;#ASMSTART
	v_dot2_f32_f16 v69, v78, v82, v69
	;;#ASMEND
	;;#ASMSTART
	v_dot2_f32_f16 v69, v79, v83, v69
	;;#ASMEND
	;;#ASMSTART
	v_dot2_f32_f16 v69, v80, v84, v69
	;;#ASMEND
	;;#ASMSTART
	v_dot2_f32_f16 v69, v81, v85, v69
	;;#ASMEND
	s_wait_dscnt 0x3
	;;#ASMSTART
	v_dot2_f32_f16 v74, v78, v86, v74
	;;#ASMEND
	;;#ASMSTART
	v_dot2_f32_f16 v74, v79, v87, v74
	;;#ASMEND
	;;#ASMSTART
	v_dot2_f32_f16 v74, v80, v88, v74
	;;#ASMEND
	;;#ASMSTART
	v_dot2_f32_f16 v74, v81, v89, v74
	;;#ASMEND
	;; [unrolled: 13-line block ×3, first 2 shown]
	;;#ASMSTART
	v_dot2_f32_f16 v75, v90, v86, v75
	;;#ASMEND
	;;#ASMSTART
	v_dot2_f32_f16 v75, v91, v87, v75
	;;#ASMEND
	;; [unrolled: 3-line block ×4, first 2 shown]
	s_wait_dscnt 0x1
	;;#ASMSTART
	v_dot2_f32_f16 v71, v94, v82, v71
	;;#ASMEND
	;;#ASMSTART
	v_dot2_f32_f16 v71, v95, v83, v71
	;;#ASMEND
	;; [unrolled: 3-line block ×8, first 2 shown]
	s_wait_dscnt 0x0
	;;#ASMSTART
	v_dot2_f32_f16 v72, v98, v82, v72
	;;#ASMEND
	;;#ASMSTART
	v_dot2_f32_f16 v72, v99, v83, v72
	;;#ASMEND
	;; [unrolled: 3-line block ×8, first 2 shown]
	ds_load_b128 v[78:81], v50 offset:64
	ds_load_b128 v[82:85], v39 offset:64
	;; [unrolled: 1-line block ×6, first 2 shown]
	s_wait_dscnt 0x4
	;;#ASMSTART
	v_dot2_f32_f16 v69, v78, v82, v69
	;;#ASMEND
	;;#ASMSTART
	v_dot2_f32_f16 v69, v79, v83, v69
	;;#ASMEND
	;;#ASMSTART
	v_dot2_f32_f16 v69, v80, v84, v69
	;;#ASMEND
	;;#ASMSTART
	v_dot2_f32_f16 v69, v81, v85, v69
	;;#ASMEND
	s_wait_dscnt 0x3
	;;#ASMSTART
	v_dot2_f32_f16 v74, v78, v86, v74
	;;#ASMEND
	;;#ASMSTART
	v_dot2_f32_f16 v74, v79, v87, v74
	;;#ASMEND
	;;#ASMSTART
	v_dot2_f32_f16 v74, v80, v88, v74
	;;#ASMEND
	;;#ASMSTART
	v_dot2_f32_f16 v74, v81, v89, v74
	;;#ASMEND
	;; [unrolled: 13-line block ×3, first 2 shown]
	;;#ASMSTART
	v_dot2_f32_f16 v75, v90, v86, v75
	;;#ASMEND
	;;#ASMSTART
	v_dot2_f32_f16 v75, v91, v87, v75
	;;#ASMEND
	;; [unrolled: 3-line block ×4, first 2 shown]
	s_wait_dscnt 0x1
	;;#ASMSTART
	v_dot2_f32_f16 v71, v94, v82, v71
	;;#ASMEND
	;;#ASMSTART
	v_dot2_f32_f16 v71, v95, v83, v71
	;;#ASMEND
	;; [unrolled: 3-line block ×8, first 2 shown]
	s_wait_dscnt 0x0
	;;#ASMSTART
	v_dot2_f32_f16 v72, v98, v82, v72
	;;#ASMEND
	;;#ASMSTART
	v_dot2_f32_f16 v72, v99, v83, v72
	;;#ASMEND
	;; [unrolled: 3-line block ×8, first 2 shown]
	ds_load_b128 v[78:81], v50 offset:80
	ds_load_b128 v[82:85], v39 offset:80
	;; [unrolled: 1-line block ×6, first 2 shown]
	s_wait_dscnt 0x4
	;;#ASMSTART
	v_dot2_f32_f16 v69, v78, v82, v69
	;;#ASMEND
	;;#ASMSTART
	v_dot2_f32_f16 v69, v79, v83, v69
	;;#ASMEND
	;;#ASMSTART
	v_dot2_f32_f16 v69, v80, v84, v69
	;;#ASMEND
	;;#ASMSTART
	v_dot2_f32_f16 v69, v81, v85, v69
	;;#ASMEND
	s_wait_dscnt 0x3
	;;#ASMSTART
	v_dot2_f32_f16 v74, v78, v86, v74
	;;#ASMEND
	;;#ASMSTART
	v_dot2_f32_f16 v74, v79, v87, v74
	;;#ASMEND
	;;#ASMSTART
	v_dot2_f32_f16 v74, v80, v88, v74
	;;#ASMEND
	;;#ASMSTART
	v_dot2_f32_f16 v74, v81, v89, v74
	;;#ASMEND
	;; [unrolled: 13-line block ×3, first 2 shown]
	;;#ASMSTART
	v_dot2_f32_f16 v75, v90, v86, v75
	;;#ASMEND
	;;#ASMSTART
	v_dot2_f32_f16 v75, v91, v87, v75
	;;#ASMEND
	;; [unrolled: 3-line block ×4, first 2 shown]
	s_wait_dscnt 0x1
	;;#ASMSTART
	v_dot2_f32_f16 v71, v94, v82, v71
	;;#ASMEND
	;;#ASMSTART
	v_dot2_f32_f16 v71, v95, v83, v71
	;;#ASMEND
	;; [unrolled: 3-line block ×8, first 2 shown]
	s_wait_dscnt 0x0
	;;#ASMSTART
	v_dot2_f32_f16 v72, v98, v82, v72
	;;#ASMEND
	;;#ASMSTART
	v_dot2_f32_f16 v72, v99, v83, v72
	;;#ASMEND
	;;#ASMSTART
	v_dot2_f32_f16 v72, v100, v84, v72
	;;#ASMEND
	;;#ASMSTART
	v_dot2_f32_f16 v72, v101, v85, v72
	;;#ASMEND
	;;#ASMSTART
	v_dot2_f32_f16 v77, v98, v86, v77
	;;#ASMEND
	;;#ASMSTART
	v_dot2_f32_f16 v77, v99, v87, v77
	;;#ASMEND
	;;#ASMSTART
	v_dot2_f32_f16 v77, v100, v88, v77
	;;#ASMEND
	;;#ASMSTART
	v_dot2_f32_f16 v77, v101, v89, v77
	;;#ASMEND
	ds_load_b128 v[78:81], v50 offset:96
	ds_load_b128 v[82:85], v39 offset:96
	;; [unrolled: 1-line block ×6, first 2 shown]
	s_wait_dscnt 0x4
	;;#ASMSTART
	v_dot2_f32_f16 v69, v78, v82, v69
	;;#ASMEND
	;;#ASMSTART
	v_dot2_f32_f16 v69, v79, v83, v69
	;;#ASMEND
	;;#ASMSTART
	v_dot2_f32_f16 v69, v80, v84, v69
	;;#ASMEND
	;;#ASMSTART
	v_dot2_f32_f16 v69, v81, v85, v69
	;;#ASMEND
	s_wait_dscnt 0x3
	;;#ASMSTART
	v_dot2_f32_f16 v74, v78, v86, v74
	;;#ASMEND
	;;#ASMSTART
	v_dot2_f32_f16 v74, v79, v87, v74
	;;#ASMEND
	;;#ASMSTART
	v_dot2_f32_f16 v74, v80, v88, v74
	;;#ASMEND
	;;#ASMSTART
	v_dot2_f32_f16 v74, v81, v89, v74
	;;#ASMEND
	;; [unrolled: 13-line block ×3, first 2 shown]
	;;#ASMSTART
	v_dot2_f32_f16 v75, v90, v86, v75
	;;#ASMEND
	;;#ASMSTART
	v_dot2_f32_f16 v75, v91, v87, v75
	;;#ASMEND
	;; [unrolled: 3-line block ×4, first 2 shown]
	s_wait_dscnt 0x1
	;;#ASMSTART
	v_dot2_f32_f16 v71, v94, v82, v71
	;;#ASMEND
	;;#ASMSTART
	v_dot2_f32_f16 v71, v95, v83, v71
	;;#ASMEND
	;; [unrolled: 3-line block ×8, first 2 shown]
	s_wait_dscnt 0x0
	;;#ASMSTART
	v_dot2_f32_f16 v72, v98, v82, v72
	;;#ASMEND
	;;#ASMSTART
	v_dot2_f32_f16 v72, v99, v83, v72
	;;#ASMEND
	;; [unrolled: 3-line block ×8, first 2 shown]
	ds_load_b128 v[78:81], v50 offset:112
	ds_load_b128 v[82:85], v39 offset:112
	;; [unrolled: 1-line block ×6, first 2 shown]
	s_wait_dscnt 0x4
	;;#ASMSTART
	v_dot2_f32_f16 v69, v78, v82, v69
	;;#ASMEND
	;;#ASMSTART
	v_dot2_f32_f16 v69, v79, v83, v69
	;;#ASMEND
	;;#ASMSTART
	v_dot2_f32_f16 v69, v80, v84, v69
	;;#ASMEND
	;;#ASMSTART
	v_dot2_f32_f16 v69, v81, v85, v69
	;;#ASMEND
	s_wait_dscnt 0x3
	;;#ASMSTART
	v_dot2_f32_f16 v74, v78, v86, v74
	;;#ASMEND
	;;#ASMSTART
	v_dot2_f32_f16 v74, v79, v87, v74
	;;#ASMEND
	;;#ASMSTART
	v_dot2_f32_f16 v74, v80, v88, v74
	;;#ASMEND
	;;#ASMSTART
	v_dot2_f32_f16 v74, v81, v89, v74
	;;#ASMEND
	;; [unrolled: 13-line block ×3, first 2 shown]
	;;#ASMSTART
	v_dot2_f32_f16 v75, v90, v86, v75
	;;#ASMEND
	;;#ASMSTART
	v_dot2_f32_f16 v75, v91, v87, v75
	;;#ASMEND
	;; [unrolled: 3-line block ×4, first 2 shown]
	s_wait_dscnt 0x1
	;;#ASMSTART
	v_dot2_f32_f16 v71, v94, v82, v71
	;;#ASMEND
	;;#ASMSTART
	v_dot2_f32_f16 v71, v95, v83, v71
	;;#ASMEND
	;; [unrolled: 3-line block ×8, first 2 shown]
	s_wait_dscnt 0x0
	;;#ASMSTART
	v_dot2_f32_f16 v72, v98, v82, v72
	;;#ASMEND
	;;#ASMSTART
	v_dot2_f32_f16 v72, v99, v83, v72
	;;#ASMEND
	;;#ASMSTART
	v_dot2_f32_f16 v72, v100, v84, v72
	;;#ASMEND
	;;#ASMSTART
	v_dot2_f32_f16 v72, v101, v85, v72
	;;#ASMEND
	;;#ASMSTART
	v_dot2_f32_f16 v77, v98, v86, v77
	;;#ASMEND
	;;#ASMSTART
	v_dot2_f32_f16 v77, v99, v87, v77
	;;#ASMEND
	;;#ASMSTART
	v_dot2_f32_f16 v77, v100, v88, v77
	;;#ASMEND
	;;#ASMSTART
	v_dot2_f32_f16 v77, v101, v89, v77
	;;#ASMEND
	ds_load_b128 v[78:81], v50 offset:128
	ds_load_b128 v[82:85], v39 offset:128
	;; [unrolled: 1-line block ×6, first 2 shown]
	s_wait_dscnt 0x4
	;;#ASMSTART
	v_dot2_f32_f16 v69, v78, v82, v69
	;;#ASMEND
	;;#ASMSTART
	v_dot2_f32_f16 v69, v79, v83, v69
	;;#ASMEND
	;;#ASMSTART
	v_dot2_f32_f16 v69, v80, v84, v69
	;;#ASMEND
	;;#ASMSTART
	v_dot2_f32_f16 v69, v81, v85, v69
	;;#ASMEND
	s_wait_dscnt 0x3
	;;#ASMSTART
	v_dot2_f32_f16 v74, v78, v86, v74
	;;#ASMEND
	;;#ASMSTART
	v_dot2_f32_f16 v74, v79, v87, v74
	;;#ASMEND
	;;#ASMSTART
	v_dot2_f32_f16 v74, v80, v88, v74
	;;#ASMEND
	;;#ASMSTART
	v_dot2_f32_f16 v74, v81, v89, v74
	;;#ASMEND
	;; [unrolled: 13-line block ×3, first 2 shown]
	;;#ASMSTART
	v_dot2_f32_f16 v75, v90, v86, v75
	;;#ASMEND
	;;#ASMSTART
	v_dot2_f32_f16 v75, v91, v87, v75
	;;#ASMEND
	;;#ASMSTART
	v_dot2_f32_f16 v75, v92, v88, v75
	;;#ASMEND
	;;#ASMSTART
	v_dot2_f32_f16 v75, v93, v89, v75
	;;#ASMEND
	s_wait_dscnt 0x1
	;;#ASMSTART
	v_dot2_f32_f16 v71, v94, v82, v71
	;;#ASMEND
	;;#ASMSTART
	v_dot2_f32_f16 v71, v95, v83, v71
	;;#ASMEND
	;; [unrolled: 3-line block ×8, first 2 shown]
	s_wait_dscnt 0x0
	;;#ASMSTART
	v_dot2_f32_f16 v72, v98, v82, v72
	;;#ASMEND
	;;#ASMSTART
	v_dot2_f32_f16 v72, v99, v83, v72
	;;#ASMEND
	;; [unrolled: 3-line block ×8, first 2 shown]
	ds_load_b128 v[78:81], v50 offset:144
	ds_load_b128 v[82:85], v39 offset:144
	;; [unrolled: 1-line block ×6, first 2 shown]
	s_wait_dscnt 0x4
	;;#ASMSTART
	v_dot2_f32_f16 v69, v78, v82, v69
	;;#ASMEND
	;;#ASMSTART
	v_dot2_f32_f16 v69, v79, v83, v69
	;;#ASMEND
	;;#ASMSTART
	v_dot2_f32_f16 v69, v80, v84, v69
	;;#ASMEND
	;;#ASMSTART
	v_dot2_f32_f16 v69, v81, v85, v69
	;;#ASMEND
	s_wait_dscnt 0x3
	;;#ASMSTART
	v_dot2_f32_f16 v74, v78, v86, v74
	;;#ASMEND
	;;#ASMSTART
	v_dot2_f32_f16 v74, v79, v87, v74
	;;#ASMEND
	;;#ASMSTART
	v_dot2_f32_f16 v74, v80, v88, v74
	;;#ASMEND
	;;#ASMSTART
	v_dot2_f32_f16 v74, v81, v89, v74
	;;#ASMEND
	;; [unrolled: 13-line block ×3, first 2 shown]
	;;#ASMSTART
	v_dot2_f32_f16 v75, v90, v86, v75
	;;#ASMEND
	;;#ASMSTART
	v_dot2_f32_f16 v75, v91, v87, v75
	;;#ASMEND
	;; [unrolled: 3-line block ×4, first 2 shown]
	s_wait_dscnt 0x1
	;;#ASMSTART
	v_dot2_f32_f16 v71, v94, v82, v71
	;;#ASMEND
	;;#ASMSTART
	v_dot2_f32_f16 v71, v95, v83, v71
	;;#ASMEND
	;; [unrolled: 3-line block ×8, first 2 shown]
	s_wait_dscnt 0x0
	;;#ASMSTART
	v_dot2_f32_f16 v72, v98, v82, v72
	;;#ASMEND
	;;#ASMSTART
	v_dot2_f32_f16 v72, v99, v83, v72
	;;#ASMEND
	;; [unrolled: 3-line block ×8, first 2 shown]
	ds_load_b128 v[78:81], v50 offset:160
	ds_load_b128 v[82:85], v39 offset:160
	;; [unrolled: 1-line block ×6, first 2 shown]
	s_wait_dscnt 0x4
	;;#ASMSTART
	v_dot2_f32_f16 v69, v78, v82, v69
	;;#ASMEND
	;;#ASMSTART
	v_dot2_f32_f16 v69, v79, v83, v69
	;;#ASMEND
	;;#ASMSTART
	v_dot2_f32_f16 v69, v80, v84, v69
	;;#ASMEND
	;;#ASMSTART
	v_dot2_f32_f16 v69, v81, v85, v69
	;;#ASMEND
	s_wait_dscnt 0x3
	;;#ASMSTART
	v_dot2_f32_f16 v74, v78, v86, v74
	;;#ASMEND
	;;#ASMSTART
	v_dot2_f32_f16 v74, v79, v87, v74
	;;#ASMEND
	;;#ASMSTART
	v_dot2_f32_f16 v74, v80, v88, v74
	;;#ASMEND
	;;#ASMSTART
	v_dot2_f32_f16 v74, v81, v89, v74
	;;#ASMEND
	;; [unrolled: 13-line block ×3, first 2 shown]
	;;#ASMSTART
	v_dot2_f32_f16 v75, v90, v86, v75
	;;#ASMEND
	;;#ASMSTART
	v_dot2_f32_f16 v75, v91, v87, v75
	;;#ASMEND
	;; [unrolled: 3-line block ×4, first 2 shown]
	s_wait_dscnt 0x1
	;;#ASMSTART
	v_dot2_f32_f16 v71, v94, v82, v71
	;;#ASMEND
	;;#ASMSTART
	v_dot2_f32_f16 v71, v95, v83, v71
	;;#ASMEND
	;; [unrolled: 3-line block ×8, first 2 shown]
	s_wait_dscnt 0x0
	;;#ASMSTART
	v_dot2_f32_f16 v72, v98, v82, v72
	;;#ASMEND
	;;#ASMSTART
	v_dot2_f32_f16 v72, v99, v83, v72
	;;#ASMEND
	;; [unrolled: 3-line block ×8, first 2 shown]
	ds_load_b128 v[78:81], v50 offset:176
	ds_load_b128 v[82:85], v39 offset:176
	;; [unrolled: 1-line block ×6, first 2 shown]
	s_wait_dscnt 0x4
	;;#ASMSTART
	v_dot2_f32_f16 v69, v78, v82, v69
	;;#ASMEND
	;;#ASMSTART
	v_dot2_f32_f16 v69, v79, v83, v69
	;;#ASMEND
	;;#ASMSTART
	v_dot2_f32_f16 v69, v80, v84, v69
	;;#ASMEND
	;;#ASMSTART
	v_dot2_f32_f16 v69, v81, v85, v69
	;;#ASMEND
	s_wait_dscnt 0x3
	;;#ASMSTART
	v_dot2_f32_f16 v74, v78, v86, v74
	;;#ASMEND
	;;#ASMSTART
	v_dot2_f32_f16 v74, v79, v87, v74
	;;#ASMEND
	;;#ASMSTART
	v_dot2_f32_f16 v74, v80, v88, v74
	;;#ASMEND
	;;#ASMSTART
	v_dot2_f32_f16 v74, v81, v89, v74
	;;#ASMEND
	;; [unrolled: 13-line block ×3, first 2 shown]
	;;#ASMSTART
	v_dot2_f32_f16 v75, v90, v86, v75
	;;#ASMEND
	;;#ASMSTART
	v_dot2_f32_f16 v75, v91, v87, v75
	;;#ASMEND
	;; [unrolled: 3-line block ×4, first 2 shown]
	s_wait_dscnt 0x1
	;;#ASMSTART
	v_dot2_f32_f16 v71, v94, v82, v71
	;;#ASMEND
	;;#ASMSTART
	v_dot2_f32_f16 v71, v95, v83, v71
	;;#ASMEND
	;; [unrolled: 3-line block ×8, first 2 shown]
	s_wait_dscnt 0x0
	;;#ASMSTART
	v_dot2_f32_f16 v72, v98, v82, v72
	;;#ASMEND
	;;#ASMSTART
	v_dot2_f32_f16 v72, v99, v83, v72
	;;#ASMEND
	;; [unrolled: 3-line block ×8, first 2 shown]
	ds_load_b128 v[78:81], v50 offset:192
	ds_load_b128 v[82:85], v39 offset:192
	;; [unrolled: 1-line block ×6, first 2 shown]
	s_wait_dscnt 0x4
	;;#ASMSTART
	v_dot2_f32_f16 v69, v78, v82, v69
	;;#ASMEND
	;;#ASMSTART
	v_dot2_f32_f16 v69, v79, v83, v69
	;;#ASMEND
	;;#ASMSTART
	v_dot2_f32_f16 v69, v80, v84, v69
	;;#ASMEND
	;;#ASMSTART
	v_dot2_f32_f16 v69, v81, v85, v69
	;;#ASMEND
	s_wait_dscnt 0x3
	;;#ASMSTART
	v_dot2_f32_f16 v74, v78, v86, v74
	;;#ASMEND
	;;#ASMSTART
	v_dot2_f32_f16 v74, v79, v87, v74
	;;#ASMEND
	;;#ASMSTART
	v_dot2_f32_f16 v74, v80, v88, v74
	;;#ASMEND
	;;#ASMSTART
	v_dot2_f32_f16 v74, v81, v89, v74
	;;#ASMEND
	;; [unrolled: 13-line block ×3, first 2 shown]
	;;#ASMSTART
	v_dot2_f32_f16 v75, v90, v86, v75
	;;#ASMEND
	;;#ASMSTART
	v_dot2_f32_f16 v75, v91, v87, v75
	;;#ASMEND
	;; [unrolled: 3-line block ×4, first 2 shown]
	s_wait_dscnt 0x1
	;;#ASMSTART
	v_dot2_f32_f16 v71, v94, v82, v71
	;;#ASMEND
	;;#ASMSTART
	v_dot2_f32_f16 v71, v95, v83, v71
	;;#ASMEND
	;; [unrolled: 3-line block ×8, first 2 shown]
	s_wait_dscnt 0x0
	;;#ASMSTART
	v_dot2_f32_f16 v72, v98, v82, v72
	;;#ASMEND
	;;#ASMSTART
	v_dot2_f32_f16 v72, v99, v83, v72
	;;#ASMEND
	;; [unrolled: 3-line block ×8, first 2 shown]
	ds_load_b128 v[78:81], v50 offset:208
	ds_load_b128 v[82:85], v39 offset:208
	;; [unrolled: 1-line block ×6, first 2 shown]
	s_wait_dscnt 0x4
	;;#ASMSTART
	v_dot2_f32_f16 v69, v78, v82, v69
	;;#ASMEND
	;;#ASMSTART
	v_dot2_f32_f16 v69, v79, v83, v69
	;;#ASMEND
	;;#ASMSTART
	v_dot2_f32_f16 v69, v80, v84, v69
	;;#ASMEND
	;;#ASMSTART
	v_dot2_f32_f16 v69, v81, v85, v69
	;;#ASMEND
	s_wait_dscnt 0x3
	;;#ASMSTART
	v_dot2_f32_f16 v74, v78, v86, v74
	;;#ASMEND
	;;#ASMSTART
	v_dot2_f32_f16 v74, v79, v87, v74
	;;#ASMEND
	;;#ASMSTART
	v_dot2_f32_f16 v74, v80, v88, v74
	;;#ASMEND
	;;#ASMSTART
	v_dot2_f32_f16 v74, v81, v89, v74
	;;#ASMEND
	;; [unrolled: 13-line block ×3, first 2 shown]
	;;#ASMSTART
	v_dot2_f32_f16 v75, v90, v86, v75
	;;#ASMEND
	;;#ASMSTART
	v_dot2_f32_f16 v75, v91, v87, v75
	;;#ASMEND
	;; [unrolled: 3-line block ×4, first 2 shown]
	s_wait_dscnt 0x1
	;;#ASMSTART
	v_dot2_f32_f16 v71, v94, v82, v71
	;;#ASMEND
	;;#ASMSTART
	v_dot2_f32_f16 v71, v95, v83, v71
	;;#ASMEND
	;; [unrolled: 3-line block ×8, first 2 shown]
	s_wait_dscnt 0x0
	;;#ASMSTART
	v_dot2_f32_f16 v72, v98, v82, v72
	;;#ASMEND
	;;#ASMSTART
	v_dot2_f32_f16 v72, v99, v83, v72
	;;#ASMEND
	;; [unrolled: 3-line block ×8, first 2 shown]
	ds_load_b128 v[78:81], v50 offset:224
	ds_load_b128 v[82:85], v39 offset:224
	;; [unrolled: 1-line block ×6, first 2 shown]
	s_wait_dscnt 0x4
	;;#ASMSTART
	v_dot2_f32_f16 v69, v78, v82, v69
	;;#ASMEND
	;;#ASMSTART
	v_dot2_f32_f16 v69, v79, v83, v69
	;;#ASMEND
	;;#ASMSTART
	v_dot2_f32_f16 v69, v80, v84, v69
	;;#ASMEND
	;;#ASMSTART
	v_dot2_f32_f16 v69, v81, v85, v69
	;;#ASMEND
	s_wait_dscnt 0x3
	;;#ASMSTART
	v_dot2_f32_f16 v74, v78, v86, v74
	;;#ASMEND
	;;#ASMSTART
	v_dot2_f32_f16 v74, v79, v87, v74
	;;#ASMEND
	;;#ASMSTART
	v_dot2_f32_f16 v74, v80, v88, v74
	;;#ASMEND
	;;#ASMSTART
	v_dot2_f32_f16 v74, v81, v89, v74
	;;#ASMEND
	;; [unrolled: 13-line block ×3, first 2 shown]
	;;#ASMSTART
	v_dot2_f32_f16 v75, v90, v86, v75
	;;#ASMEND
	;;#ASMSTART
	v_dot2_f32_f16 v75, v91, v87, v75
	;;#ASMEND
	;; [unrolled: 3-line block ×4, first 2 shown]
	s_wait_dscnt 0x1
	;;#ASMSTART
	v_dot2_f32_f16 v71, v94, v82, v71
	;;#ASMEND
	;;#ASMSTART
	v_dot2_f32_f16 v71, v95, v83, v71
	;;#ASMEND
	;; [unrolled: 3-line block ×8, first 2 shown]
	s_wait_dscnt 0x0
	;;#ASMSTART
	v_dot2_f32_f16 v72, v98, v82, v72
	;;#ASMEND
	;;#ASMSTART
	v_dot2_f32_f16 v72, v99, v83, v72
	;;#ASMEND
	;; [unrolled: 3-line block ×8, first 2 shown]
	ds_load_b128 v[78:81], v50 offset:240
	ds_load_b128 v[82:85], v39 offset:240
	;; [unrolled: 1-line block ×6, first 2 shown]
	s_wait_dscnt 0x4
	;;#ASMSTART
	v_dot2_f32_f16 v69, v78, v82, v69
	;;#ASMEND
	;;#ASMSTART
	v_dot2_f32_f16 v69, v79, v83, v69
	;;#ASMEND
	;;#ASMSTART
	v_dot2_f32_f16 v69, v80, v84, v69
	;;#ASMEND
	;;#ASMSTART
	v_dot2_f32_f16 v69, v81, v85, v69
	;;#ASMEND
	s_wait_dscnt 0x3
	;;#ASMSTART
	v_dot2_f32_f16 v74, v78, v86, v74
	;;#ASMEND
	;;#ASMSTART
	v_dot2_f32_f16 v74, v79, v87, v74
	;;#ASMEND
	;;#ASMSTART
	v_dot2_f32_f16 v74, v80, v88, v74
	;;#ASMEND
	;;#ASMSTART
	v_dot2_f32_f16 v74, v81, v89, v74
	;;#ASMEND
	;; [unrolled: 13-line block ×3, first 2 shown]
	;;#ASMSTART
	v_dot2_f32_f16 v75, v90, v86, v75
	;;#ASMEND
	;;#ASMSTART
	v_dot2_f32_f16 v75, v91, v87, v75
	;;#ASMEND
	;; [unrolled: 3-line block ×4, first 2 shown]
	s_wait_dscnt 0x1
	;;#ASMSTART
	v_dot2_f32_f16 v71, v94, v82, v71
	;;#ASMEND
	;;#ASMSTART
	v_dot2_f32_f16 v71, v95, v83, v71
	;;#ASMEND
	;; [unrolled: 3-line block ×8, first 2 shown]
	s_wait_dscnt 0x0
	;;#ASMSTART
	v_dot2_f32_f16 v72, v98, v82, v72
	;;#ASMEND
	v_cmp_ngt_f32_e64 s26, 0x3f200000, |v69|
	;;#ASMSTART
	v_dot2_f32_f16 v72, v99, v83, v72
	;;#ASMEND
	;;#ASMSTART
	v_dot2_f32_f16 v72, v100, v84, v72
	;;#ASMEND
	;; [unrolled: 3-line block ×7, first 2 shown]
                                        ; implicit-def: $vgpr73
	s_and_saveexec_b32 s27, s26
	s_wait_alu 0xfffe
	s_xor_b32 s26, exec_lo, s27
	s_cbranch_execz .LBB82_11
; %bb.10:                               ;   in Loop: Header=BB82_9 Depth=1
	v_add_f32_e64 v35, |v69|, |v69|
	s_delay_alu instid0(VALU_DEP_1) | instskip(SKIP_1) | instid1(VALU_DEP_2)
	v_mul_f32_e32 v36, 0x3fb8aa3b, v35
	v_cmp_ngt_f32_e32 vcc_lo, 0xc2ce8ed0, v35
	v_rndne_f32_e32 v73, v36
	v_fma_f32 v78, 0x3fb8aa3b, v35, -v36
	s_delay_alu instid0(VALU_DEP_2) | instskip(NEXT) | instid1(VALU_DEP_2)
	v_sub_f32_e32 v36, v36, v73
	v_fmac_f32_e32 v78, 0x32a5705f, v35
	v_cvt_i32_f32_e32 v73, v73
	s_delay_alu instid0(VALU_DEP_2) | instskip(NEXT) | instid1(VALU_DEP_1)
	v_add_f32_e32 v36, v36, v78
	v_exp_f32_e32 v36, v36
	s_delay_alu instid0(TRANS32_DEP_1) | instskip(SKIP_1) | instid1(VALU_DEP_1)
	v_ldexp_f32 v36, v36, v73
	s_wait_alu 0xfffd
	v_cndmask_b32_e32 v36, 0, v36, vcc_lo
	v_cmp_nlt_f32_e32 vcc_lo, 0x42b17218, v35
	s_wait_alu 0xfffd
	s_delay_alu instid0(VALU_DEP_2) | instskip(NEXT) | instid1(VALU_DEP_1)
	v_cndmask_b32_e32 v35, 0x7f800000, v36, vcc_lo
	v_add_f32_e32 v35, 1.0, v35
	s_delay_alu instid0(VALU_DEP_1) | instskip(NEXT) | instid1(TRANS32_DEP_1)
	v_rcp_f32_e32 v35, v35
	v_fma_f32 v73, v35, -2.0, 1.0
.LBB82_11:                              ;   in Loop: Header=BB82_9 Depth=1
	s_wait_alu 0xfffe
	s_and_not1_saveexec_b32 s26, s26
	s_cbranch_execz .LBB82_13
; %bb.12:                               ;   in Loop: Header=BB82_9 Depth=1
	v_mul_f32_e32 v35, v69, v69
	s_delay_alu instid0(VALU_DEP_1) | instskip(NEXT) | instid1(VALU_DEP_1)
	v_fmaak_f32 v36, s3, v35, 0x3ca908c9
	v_fmaak_f32 v36, v35, v36, 0xbd5c1c4e
	s_delay_alu instid0(VALU_DEP_1) | instskip(NEXT) | instid1(VALU_DEP_1)
	v_fmaak_f32 v36, v35, v36, 0x3e088382
	v_fmaak_f32 v36, v35, v36, 0xbeaaaa99
	s_delay_alu instid0(VALU_DEP_1) | instskip(NEXT) | instid1(VALU_DEP_1)
	v_mul_f32_e64 v36, |v69|, v36
	v_fma_f32 v73, v35, v36, |v69|
.LBB82_13:                              ;   in Loop: Header=BB82_9 Depth=1
	s_wait_alu 0xfffe
	s_or_b32 exec_lo, exec_lo, s26
	v_add_nc_u32_e32 v35, s10, v2
	v_cmp_ngt_f32_e64 s26, 0x3f200000, |v70|
                                        ; implicit-def: $vgpr78
	s_delay_alu instid0(VALU_DEP_2) | instskip(NEXT) | instid1(VALU_DEP_1)
	v_ashrrev_i32_e32 v36, 31, v35
	v_lshlrev_b64_e32 v[35:36], 1, v[35:36]
	s_delay_alu instid0(VALU_DEP_1) | instskip(SKIP_1) | instid1(VALU_DEP_2)
	v_add_co_u32 v35, vcc_lo, s34, v35
	s_wait_alu 0xfffd
	v_add_co_ci_u32_e64 v36, null, s35, v36, vcc_lo
	global_load_u16 v83, v[35:36], off
	s_and_saveexec_b32 s27, s26
	s_wait_alu 0xfffe
	s_xor_b32 s26, exec_lo, s27
	s_cbranch_execz .LBB82_15
; %bb.14:                               ;   in Loop: Header=BB82_9 Depth=1
	v_add_f32_e64 v78, |v70|, |v70|
	s_delay_alu instid0(VALU_DEP_1) | instskip(SKIP_1) | instid1(VALU_DEP_2)
	v_mul_f32_e32 v79, 0x3fb8aa3b, v78
	v_cmp_ngt_f32_e32 vcc_lo, 0xc2ce8ed0, v78
	v_rndne_f32_e32 v80, v79
	v_fma_f32 v81, 0x3fb8aa3b, v78, -v79
	s_delay_alu instid0(VALU_DEP_2) | instskip(NEXT) | instid1(VALU_DEP_2)
	v_sub_f32_e32 v79, v79, v80
	v_fmac_f32_e32 v81, 0x32a5705f, v78
	v_cvt_i32_f32_e32 v80, v80
	s_delay_alu instid0(VALU_DEP_2) | instskip(NEXT) | instid1(VALU_DEP_1)
	v_add_f32_e32 v79, v79, v81
	v_exp_f32_e32 v79, v79
	s_delay_alu instid0(TRANS32_DEP_1) | instskip(SKIP_1) | instid1(VALU_DEP_1)
	v_ldexp_f32 v79, v79, v80
	s_wait_alu 0xfffd
	v_cndmask_b32_e32 v79, 0, v79, vcc_lo
	v_cmp_nlt_f32_e32 vcc_lo, 0x42b17218, v78
	s_wait_alu 0xfffd
	s_delay_alu instid0(VALU_DEP_2) | instskip(NEXT) | instid1(VALU_DEP_1)
	v_cndmask_b32_e32 v78, 0x7f800000, v79, vcc_lo
	v_add_f32_e32 v78, 1.0, v78
	s_delay_alu instid0(VALU_DEP_1) | instskip(NEXT) | instid1(TRANS32_DEP_1)
	v_rcp_f32_e32 v78, v78
	v_fma_f32 v78, v78, -2.0, 1.0
.LBB82_15:                              ;   in Loop: Header=BB82_9 Depth=1
	s_wait_alu 0xfffe
	s_and_not1_saveexec_b32 s26, s26
	s_cbranch_execz .LBB82_17
; %bb.16:                               ;   in Loop: Header=BB82_9 Depth=1
	v_mul_f32_e32 v78, v70, v70
	s_delay_alu instid0(VALU_DEP_1) | instskip(NEXT) | instid1(VALU_DEP_1)
	v_fmaak_f32 v79, s3, v78, 0x3ca908c9
	v_fmaak_f32 v79, v78, v79, 0xbd5c1c4e
	s_delay_alu instid0(VALU_DEP_1) | instskip(NEXT) | instid1(VALU_DEP_1)
	v_fmaak_f32 v79, v78, v79, 0x3e088382
	v_fmaak_f32 v79, v78, v79, 0xbeaaaa99
	s_delay_alu instid0(VALU_DEP_1) | instskip(NEXT) | instid1(VALU_DEP_1)
	v_mul_f32_e64 v79, |v70|, v79
	v_fma_f32 v78, v78, v79, |v70|
.LBB82_17:                              ;   in Loop: Header=BB82_9 Depth=1
	s_wait_alu 0xfffe
	s_or_b32 exec_lo, exec_lo, s26
	global_load_u16 v84, v[35:36], off offset:64
	v_cmp_ngt_f32_e64 s26, 0x3f200000, |v71|
                                        ; implicit-def: $vgpr80
	s_and_saveexec_b32 s27, s26
	s_wait_alu 0xfffe
	s_xor_b32 s26, exec_lo, s27
	s_cbranch_execz .LBB82_19
; %bb.18:                               ;   in Loop: Header=BB82_9 Depth=1
	v_add_f32_e64 v79, |v71|, |v71|
	s_delay_alu instid0(VALU_DEP_1) | instskip(SKIP_1) | instid1(VALU_DEP_2)
	v_mul_f32_e32 v80, 0x3fb8aa3b, v79
	v_cmp_ngt_f32_e32 vcc_lo, 0xc2ce8ed0, v79
	v_rndne_f32_e32 v81, v80
	v_fma_f32 v82, 0x3fb8aa3b, v79, -v80
	s_delay_alu instid0(VALU_DEP_2) | instskip(NEXT) | instid1(VALU_DEP_2)
	v_sub_f32_e32 v80, v80, v81
	v_fmac_f32_e32 v82, 0x32a5705f, v79
	v_cvt_i32_f32_e32 v81, v81
	s_delay_alu instid0(VALU_DEP_2) | instskip(NEXT) | instid1(VALU_DEP_1)
	v_add_f32_e32 v80, v80, v82
	v_exp_f32_e32 v80, v80
	s_delay_alu instid0(TRANS32_DEP_1) | instskip(SKIP_1) | instid1(VALU_DEP_1)
	v_ldexp_f32 v80, v80, v81
	s_wait_alu 0xfffd
	v_cndmask_b32_e32 v80, 0, v80, vcc_lo
	v_cmp_nlt_f32_e32 vcc_lo, 0x42b17218, v79
	s_wait_alu 0xfffd
	s_delay_alu instid0(VALU_DEP_2) | instskip(NEXT) | instid1(VALU_DEP_1)
	v_cndmask_b32_e32 v79, 0x7f800000, v80, vcc_lo
	v_add_f32_e32 v79, 1.0, v79
	s_delay_alu instid0(VALU_DEP_1) | instskip(NEXT) | instid1(TRANS32_DEP_1)
	v_rcp_f32_e32 v79, v79
	v_fma_f32 v80, v79, -2.0, 1.0
.LBB82_19:                              ;   in Loop: Header=BB82_9 Depth=1
	s_wait_alu 0xfffe
	s_and_not1_saveexec_b32 s26, s26
	s_cbranch_execz .LBB82_21
; %bb.20:                               ;   in Loop: Header=BB82_9 Depth=1
	v_mul_f32_e32 v79, v71, v71
	s_delay_alu instid0(VALU_DEP_1) | instskip(NEXT) | instid1(VALU_DEP_1)
	v_fmaak_f32 v80, s3, v79, 0x3ca908c9
	v_fmaak_f32 v80, v79, v80, 0xbd5c1c4e
	s_delay_alu instid0(VALU_DEP_1) | instskip(NEXT) | instid1(VALU_DEP_1)
	v_fmaak_f32 v80, v79, v80, 0x3e088382
	v_fmaak_f32 v80, v79, v80, 0xbeaaaa99
	s_delay_alu instid0(VALU_DEP_1) | instskip(NEXT) | instid1(VALU_DEP_1)
	v_mul_f32_e64 v80, |v71|, v80
	v_fma_f32 v80, v79, v80, |v71|
.LBB82_21:                              ;   in Loop: Header=BB82_9 Depth=1
	s_wait_alu 0xfffe
	s_or_b32 exec_lo, exec_lo, s26
	global_load_u16 v85, v[35:36], off offset:128
	v_cmp_ngt_f32_e64 s26, 0x3f200000, |v72|
                                        ; implicit-def: $vgpr81
	s_and_saveexec_b32 s27, s26
	s_wait_alu 0xfffe
	s_xor_b32 s26, exec_lo, s27
	s_cbranch_execz .LBB82_23
; %bb.22:                               ;   in Loop: Header=BB82_9 Depth=1
	v_add_f32_e64 v79, |v72|, |v72|
	s_delay_alu instid0(VALU_DEP_1) | instskip(SKIP_1) | instid1(VALU_DEP_2)
	v_mul_f32_e32 v81, 0x3fb8aa3b, v79
	v_cmp_ngt_f32_e32 vcc_lo, 0xc2ce8ed0, v79
	v_rndne_f32_e32 v82, v81
	v_fma_f32 v86, 0x3fb8aa3b, v79, -v81
	s_delay_alu instid0(VALU_DEP_1) | instskip(SKIP_1) | instid1(VALU_DEP_2)
	v_dual_sub_f32 v81, v81, v82 :: v_dual_fmac_f32 v86, 0x32a5705f, v79
	v_cvt_i32_f32_e32 v82, v82
	v_add_f32_e32 v81, v81, v86
	s_delay_alu instid0(VALU_DEP_1) | instskip(NEXT) | instid1(TRANS32_DEP_1)
	v_exp_f32_e32 v81, v81
	v_ldexp_f32 v81, v81, v82
	s_wait_alu 0xfffd
	s_delay_alu instid0(VALU_DEP_1) | instskip(SKIP_2) | instid1(VALU_DEP_2)
	v_cndmask_b32_e32 v81, 0, v81, vcc_lo
	v_cmp_nlt_f32_e32 vcc_lo, 0x42b17218, v79
	s_wait_alu 0xfffd
	v_cndmask_b32_e32 v79, 0x7f800000, v81, vcc_lo
	s_delay_alu instid0(VALU_DEP_1) | instskip(NEXT) | instid1(VALU_DEP_1)
	v_add_f32_e32 v79, 1.0, v79
	v_rcp_f32_e32 v79, v79
	s_delay_alu instid0(TRANS32_DEP_1)
	v_fma_f32 v81, v79, -2.0, 1.0
.LBB82_23:                              ;   in Loop: Header=BB82_9 Depth=1
	s_wait_alu 0xfffe
	s_and_not1_saveexec_b32 s26, s26
	s_cbranch_execz .LBB82_25
; %bb.24:                               ;   in Loop: Header=BB82_9 Depth=1
	v_mul_f32_e32 v79, v72, v72
	s_delay_alu instid0(VALU_DEP_1) | instskip(NEXT) | instid1(VALU_DEP_1)
	v_fmaak_f32 v81, s3, v79, 0x3ca908c9
	v_fmaak_f32 v81, v79, v81, 0xbd5c1c4e
	s_delay_alu instid0(VALU_DEP_1) | instskip(NEXT) | instid1(VALU_DEP_1)
	v_fmaak_f32 v81, v79, v81, 0x3e088382
	v_fmaak_f32 v81, v79, v81, 0xbeaaaa99
	s_delay_alu instid0(VALU_DEP_1) | instskip(NEXT) | instid1(VALU_DEP_1)
	v_mul_f32_e64 v81, |v72|, v81
	v_fma_f32 v81, v79, v81, |v72|
.LBB82_25:                              ;   in Loop: Header=BB82_9 Depth=1
	s_wait_alu 0xfffe
	s_or_b32 exec_lo, exec_lo, s26
	global_load_u16 v35, v[35:36], off offset:192
	v_bfi_b32 v36, 0x7fffffff, v73, v69
	v_bfi_b32 v69, 0x7fffffff, v78, v70
	v_xor_b32_e32 v73, 16, v40
	v_bfi_b32 v70, 0x7fffffff, v81, v72
	v_cmp_ngt_f32_e64 s26, 0x3f200000, |v74|
	s_wait_loadcnt 0x3
	v_fma_mix_f32 v78, s5, v36, v83 op_sel_hi:[0,0,1]
	s_wait_loadcnt 0x2
	v_fma_mix_f32 v79, s5, v69, v84 op_sel_hi:[0,0,1]
	v_bfi_b32 v36, 0x7fffffff, v80, v71
	v_cmp_gt_i32_e32 vcc_lo, 32, v73
	v_add_f32_e32 v69, 0x40051340, v78
	s_wait_loadcnt 0x1
	s_delay_alu instid0(VALU_DEP_3) | instskip(SKIP_4) | instid1(VALU_DEP_1)
	v_fma_mix_f32 v80, s5, v36, v85 op_sel_hi:[0,0,1]
	s_wait_loadcnt 0x0
	v_fma_mix_f32 v81, s5, v70, v35 op_sel_hi:[0,0,1]
	s_wait_alu 0xfffd
	v_dual_cndmask_b32 v70, v40, v73 :: v_dual_add_f32 v71, 0x40051340, v79
	v_lshlrev_b32_e32 v86, 2, v70
	s_delay_alu instid0(VALU_DEP_2) | instskip(SKIP_2) | instid1(VALU_DEP_1)
	v_max3_num_f32 v36, v68, v69, v71
	v_add_f32_e32 v69, 0x40051340, v80
	v_add_f32_e32 v71, 0x40051340, v81
	v_max3_num_f32 v36, v36, v69, v71
	v_xor_b32_e32 v69, 8, v40
	ds_bpermute_b32 v70, v86, v36
	v_cmp_gt_i32_e32 vcc_lo, 32, v69
	s_wait_dscnt 0x0
	s_wait_alu 0xfffd
	v_dual_cndmask_b32 v71, v40, v69 :: v_dual_max_num_f32 v70, v70, v70
	s_delay_alu instid0(VALU_DEP_1) | instskip(SKIP_1) | instid1(VALU_DEP_1)
	v_max_num_f32_e32 v36, v36, v70
	v_xor_b32_e32 v70, 4, v40
	v_cmp_gt_i32_e32 vcc_lo, 32, v70
	s_wait_alu 0xfffd
	v_cndmask_b32_e32 v72, v40, v70, vcc_lo
	s_delay_alu instid0(VALU_DEP_1) | instskip(SKIP_4) | instid1(VALU_DEP_1)
	v_lshlrev_b32_e32 v88, 2, v72
	v_lshlrev_b32_e32 v87, 2, v71
	ds_bpermute_b32 v71, v87, v36
	s_wait_dscnt 0x0
	v_max_num_f32_e32 v71, v71, v71
	v_max_num_f32_e32 v36, v36, v71
	v_xor_b32_e32 v71, 2, v40
	ds_bpermute_b32 v72, v88, v36
	v_cmp_gt_i32_e32 vcc_lo, 32, v71
	s_wait_alu 0xfffd
	v_cndmask_b32_e32 v82, v40, v71, vcc_lo
	s_wait_dscnt 0x0
	v_max_num_f32_e32 v72, v72, v72
	s_delay_alu instid0(VALU_DEP_1)
	v_dual_max_num_f32 v89, v36, v72 :: v_dual_lshlrev_b32 v82, 2, v82
	v_xor_b32_e32 v72, 1, v40
	ds_bpermute_b32 v36, v82, v89
	v_cmp_gt_i32_e32 vcc_lo, 32, v72
	s_wait_dscnt 0x0
	v_max_num_f32_e32 v91, v36, v36
	s_wait_alu 0xfffd
	s_delay_alu instid0(VALU_DEP_1) | instskip(NEXT) | instid1(VALU_DEP_1)
	v_dual_cndmask_b32 v90, v40, v72 :: v_dual_max_num_f32 v89, v89, v91
	v_lshlrev_b32_e32 v36, 2, v90
                                        ; implicit-def: $vgpr91
	ds_bpermute_b32 v90, v36, v89
	s_and_saveexec_b32 s27, s26
	s_wait_alu 0xfffe
	s_xor_b32 s26, exec_lo, s27
	s_cbranch_execz .LBB82_27
; %bb.26:                               ;   in Loop: Header=BB82_9 Depth=1
	v_add_f32_e64 v91, |v74|, |v74|
	s_delay_alu instid0(VALU_DEP_1) | instskip(SKIP_1) | instid1(VALU_DEP_2)
	v_mul_f32_e32 v92, 0x3fb8aa3b, v91
	v_cmp_ngt_f32_e32 vcc_lo, 0xc2ce8ed0, v91
	v_rndne_f32_e32 v93, v92
	v_fma_f32 v94, 0x3fb8aa3b, v91, -v92
	s_delay_alu instid0(VALU_DEP_2) | instskip(NEXT) | instid1(VALU_DEP_2)
	v_sub_f32_e32 v92, v92, v93
	v_fmac_f32_e32 v94, 0x32a5705f, v91
	v_cvt_i32_f32_e32 v93, v93
	s_delay_alu instid0(VALU_DEP_2) | instskip(NEXT) | instid1(VALU_DEP_1)
	v_add_f32_e32 v92, v92, v94
	v_exp_f32_e32 v92, v92
	s_delay_alu instid0(TRANS32_DEP_1) | instskip(SKIP_1) | instid1(VALU_DEP_1)
	v_ldexp_f32 v92, v92, v93
	s_wait_alu 0xfffd
	v_cndmask_b32_e32 v92, 0, v92, vcc_lo
	v_cmp_nlt_f32_e32 vcc_lo, 0x42b17218, v91
	s_wait_alu 0xfffd
	s_delay_alu instid0(VALU_DEP_2) | instskip(NEXT) | instid1(VALU_DEP_1)
	v_cndmask_b32_e32 v91, 0x7f800000, v92, vcc_lo
	v_add_f32_e32 v91, 1.0, v91
	s_delay_alu instid0(VALU_DEP_1) | instskip(NEXT) | instid1(TRANS32_DEP_1)
	v_rcp_f32_e32 v91, v91
	v_fma_f32 v91, v91, -2.0, 1.0
.LBB82_27:                              ;   in Loop: Header=BB82_9 Depth=1
	s_wait_alu 0xfffe
	s_and_not1_saveexec_b32 s26, s26
	s_cbranch_execz .LBB82_29
; %bb.28:                               ;   in Loop: Header=BB82_9 Depth=1
	v_mul_f32_e32 v91, v74, v74
	s_delay_alu instid0(VALU_DEP_1) | instskip(NEXT) | instid1(VALU_DEP_1)
	v_fmaak_f32 v92, s3, v91, 0x3ca908c9
	v_fmaak_f32 v92, v91, v92, 0xbd5c1c4e
	s_delay_alu instid0(VALU_DEP_1) | instskip(NEXT) | instid1(VALU_DEP_1)
	v_fmaak_f32 v92, v91, v92, 0x3e088382
	v_fmaak_f32 v92, v91, v92, 0xbeaaaa99
	s_delay_alu instid0(VALU_DEP_1) | instskip(NEXT) | instid1(VALU_DEP_1)
	v_mul_f32_e64 v92, |v74|, v92
	v_fma_f32 v91, v91, v92, |v74|
.LBB82_29:                              ;   in Loop: Header=BB82_9 Depth=1
	s_wait_alu 0xfffe
	s_or_b32 exec_lo, exec_lo, s26
	v_cmp_ngt_f32_e64 s26, 0x3f200000, |v75|
                                        ; implicit-def: $vgpr92
	s_and_saveexec_b32 s27, s26
	s_wait_alu 0xfffe
	s_xor_b32 s26, exec_lo, s27
	s_cbranch_execz .LBB82_31
; %bb.30:                               ;   in Loop: Header=BB82_9 Depth=1
	v_add_f32_e64 v92, |v75|, |v75|
	s_delay_alu instid0(VALU_DEP_1) | instskip(SKIP_1) | instid1(VALU_DEP_2)
	v_mul_f32_e32 v93, 0x3fb8aa3b, v92
	v_cmp_ngt_f32_e32 vcc_lo, 0xc2ce8ed0, v92
	v_rndne_f32_e32 v94, v93
	v_fma_f32 v95, 0x3fb8aa3b, v92, -v93
	s_delay_alu instid0(VALU_DEP_2) | instskip(NEXT) | instid1(VALU_DEP_2)
	v_sub_f32_e32 v93, v93, v94
	v_fmac_f32_e32 v95, 0x32a5705f, v92
	v_cvt_i32_f32_e32 v94, v94
	s_delay_alu instid0(VALU_DEP_2) | instskip(NEXT) | instid1(VALU_DEP_1)
	v_add_f32_e32 v93, v93, v95
	v_exp_f32_e32 v93, v93
	s_delay_alu instid0(TRANS32_DEP_1) | instskip(SKIP_1) | instid1(VALU_DEP_1)
	v_ldexp_f32 v93, v93, v94
	s_wait_alu 0xfffd
	v_cndmask_b32_e32 v93, 0, v93, vcc_lo
	v_cmp_nlt_f32_e32 vcc_lo, 0x42b17218, v92
	s_wait_alu 0xfffd
	s_delay_alu instid0(VALU_DEP_2) | instskip(NEXT) | instid1(VALU_DEP_1)
	v_cndmask_b32_e32 v92, 0x7f800000, v93, vcc_lo
	v_add_f32_e32 v92, 1.0, v92
	s_delay_alu instid0(VALU_DEP_1) | instskip(NEXT) | instid1(TRANS32_DEP_1)
	v_rcp_f32_e32 v92, v92
	v_fma_f32 v92, v92, -2.0, 1.0
.LBB82_31:                              ;   in Loop: Header=BB82_9 Depth=1
	s_wait_alu 0xfffe
	s_and_not1_saveexec_b32 s26, s26
	s_cbranch_execz .LBB82_33
; %bb.32:                               ;   in Loop: Header=BB82_9 Depth=1
	v_mul_f32_e32 v92, v75, v75
	s_delay_alu instid0(VALU_DEP_1) | instskip(NEXT) | instid1(VALU_DEP_1)
	v_fmaak_f32 v93, s3, v92, 0x3ca908c9
	v_fmaak_f32 v93, v92, v93, 0xbd5c1c4e
	s_delay_alu instid0(VALU_DEP_1) | instskip(NEXT) | instid1(VALU_DEP_1)
	v_fmaak_f32 v93, v92, v93, 0x3e088382
	v_fmaak_f32 v93, v92, v93, 0xbeaaaa99
	s_delay_alu instid0(VALU_DEP_1) | instskip(NEXT) | instid1(VALU_DEP_1)
	v_mul_f32_e64 v93, |v75|, v93
	v_fma_f32 v92, v92, v93, |v75|
.LBB82_33:                              ;   in Loop: Header=BB82_9 Depth=1
	s_wait_alu 0xfffe
	s_or_b32 exec_lo, exec_lo, s26
	v_cmp_ngt_f32_e64 s26, 0x3f200000, |v76|
                                        ; implicit-def: $vgpr93
	s_and_saveexec_b32 s27, s26
	s_wait_alu 0xfffe
	s_xor_b32 s26, exec_lo, s27
	s_cbranch_execz .LBB82_35
; %bb.34:                               ;   in Loop: Header=BB82_9 Depth=1
	v_add_f32_e64 v93, |v76|, |v76|
	s_delay_alu instid0(VALU_DEP_1) | instskip(SKIP_1) | instid1(VALU_DEP_2)
	v_mul_f32_e32 v94, 0x3fb8aa3b, v93
	v_cmp_ngt_f32_e32 vcc_lo, 0xc2ce8ed0, v93
	v_rndne_f32_e32 v95, v94
	v_fma_f32 v96, 0x3fb8aa3b, v93, -v94
	s_delay_alu instid0(VALU_DEP_2) | instskip(NEXT) | instid1(VALU_DEP_2)
	v_sub_f32_e32 v94, v94, v95
	v_fmac_f32_e32 v96, 0x32a5705f, v93
	v_cvt_i32_f32_e32 v95, v95
	s_delay_alu instid0(VALU_DEP_2) | instskip(NEXT) | instid1(VALU_DEP_1)
	v_add_f32_e32 v94, v94, v96
	v_exp_f32_e32 v94, v94
	s_delay_alu instid0(TRANS32_DEP_1) | instskip(SKIP_1) | instid1(VALU_DEP_1)
	v_ldexp_f32 v94, v94, v95
	s_wait_alu 0xfffd
	v_cndmask_b32_e32 v94, 0, v94, vcc_lo
	v_cmp_nlt_f32_e32 vcc_lo, 0x42b17218, v93
	s_wait_alu 0xfffd
	s_delay_alu instid0(VALU_DEP_2) | instskip(NEXT) | instid1(VALU_DEP_1)
	v_cndmask_b32_e32 v93, 0x7f800000, v94, vcc_lo
	v_add_f32_e32 v93, 1.0, v93
	s_delay_alu instid0(VALU_DEP_1) | instskip(NEXT) | instid1(TRANS32_DEP_1)
	v_rcp_f32_e32 v93, v93
	v_fma_f32 v93, v93, -2.0, 1.0
.LBB82_35:                              ;   in Loop: Header=BB82_9 Depth=1
	s_wait_alu 0xfffe
	s_and_not1_saveexec_b32 s26, s26
	s_cbranch_execz .LBB82_37
; %bb.36:                               ;   in Loop: Header=BB82_9 Depth=1
	v_mul_f32_e32 v93, v76, v76
	s_delay_alu instid0(VALU_DEP_1) | instskip(NEXT) | instid1(VALU_DEP_1)
	v_fmaak_f32 v94, s3, v93, 0x3ca908c9
	v_fmaak_f32 v94, v93, v94, 0xbd5c1c4e
	s_delay_alu instid0(VALU_DEP_1) | instskip(NEXT) | instid1(VALU_DEP_1)
	v_fmaak_f32 v94, v93, v94, 0x3e088382
	v_fmaak_f32 v94, v93, v94, 0xbeaaaa99
	s_delay_alu instid0(VALU_DEP_1) | instskip(NEXT) | instid1(VALU_DEP_1)
	v_mul_f32_e64 v94, |v76|, v94
	v_fma_f32 v93, v93, v94, |v76|
.LBB82_37:                              ;   in Loop: Header=BB82_9 Depth=1
	s_wait_alu 0xfffe
	s_or_b32 exec_lo, exec_lo, s26
	v_cmp_ngt_f32_e64 s26, 0x3f200000, |v77|
                                        ; implicit-def: $vgpr94
	s_and_saveexec_b32 s27, s26
	s_wait_alu 0xfffe
	s_xor_b32 s26, exec_lo, s27
	s_cbranch_execz .LBB82_39
; %bb.38:                               ;   in Loop: Header=BB82_9 Depth=1
	v_add_f32_e64 v94, |v77|, |v77|
	s_delay_alu instid0(VALU_DEP_1) | instskip(SKIP_1) | instid1(VALU_DEP_2)
	v_mul_f32_e32 v95, 0x3fb8aa3b, v94
	v_cmp_ngt_f32_e32 vcc_lo, 0xc2ce8ed0, v94
	v_rndne_f32_e32 v96, v95
	v_fma_f32 v97, 0x3fb8aa3b, v94, -v95
	s_delay_alu instid0(VALU_DEP_2) | instskip(NEXT) | instid1(VALU_DEP_2)
	v_sub_f32_e32 v95, v95, v96
	v_fmac_f32_e32 v97, 0x32a5705f, v94
	v_cvt_i32_f32_e32 v96, v96
	s_delay_alu instid0(VALU_DEP_2) | instskip(NEXT) | instid1(VALU_DEP_1)
	v_add_f32_e32 v95, v95, v97
	v_exp_f32_e32 v95, v95
	s_delay_alu instid0(TRANS32_DEP_1) | instskip(SKIP_1) | instid1(VALU_DEP_1)
	v_ldexp_f32 v95, v95, v96
	s_wait_alu 0xfffd
	v_cndmask_b32_e32 v95, 0, v95, vcc_lo
	v_cmp_nlt_f32_e32 vcc_lo, 0x42b17218, v94
	s_wait_alu 0xfffd
	s_delay_alu instid0(VALU_DEP_2) | instskip(NEXT) | instid1(VALU_DEP_1)
	v_cndmask_b32_e32 v94, 0x7f800000, v95, vcc_lo
	v_add_f32_e32 v94, 1.0, v94
	s_delay_alu instid0(VALU_DEP_1) | instskip(NEXT) | instid1(TRANS32_DEP_1)
	v_rcp_f32_e32 v94, v94
	v_fma_f32 v94, v94, -2.0, 1.0
.LBB82_39:                              ;   in Loop: Header=BB82_9 Depth=1
	s_wait_alu 0xfffe
	s_and_not1_saveexec_b32 s26, s26
	s_cbranch_execz .LBB82_41
; %bb.40:                               ;   in Loop: Header=BB82_9 Depth=1
	v_mul_f32_e32 v94, v77, v77
	s_delay_alu instid0(VALU_DEP_1) | instskip(NEXT) | instid1(VALU_DEP_1)
	v_fmaak_f32 v95, s3, v94, 0x3ca908c9
	v_fmaak_f32 v95, v94, v95, 0xbd5c1c4e
	s_delay_alu instid0(VALU_DEP_1) | instskip(NEXT) | instid1(VALU_DEP_1)
	v_fmaak_f32 v95, v94, v95, 0x3e088382
	v_fmaak_f32 v95, v94, v95, 0xbeaaaa99
	s_delay_alu instid0(VALU_DEP_1) | instskip(NEXT) | instid1(VALU_DEP_1)
	v_mul_f32_e64 v95, |v77|, v95
	v_fma_f32 v94, v94, v95, |v77|
.LBB82_41:                              ;   in Loop: Header=BB82_9 Depth=1
	s_wait_alu 0xfffe
	s_or_b32 exec_lo, exec_lo, s26
	v_cvt_f32_f16_e32 v83, v83
	v_bfi_b32 v74, 0x7fffffff, v91, v74
	v_cvt_f32_f16_e32 v84, v84
	v_bfi_b32 v75, 0x7fffffff, v92, v75
	s_mul_u64 s[26:27], s[10:11], s[14:15]
	v_cvt_f32_f16_e32 v85, v85
	s_wait_alu 0xfffe
	s_lshl_b64 s[26:27], s[26:27], 2
	v_cvt_f32_f16_e32 v91, v35
	s_wait_alu 0xfffe
	s_add_nc_u64 s[26:27], s[8:9], s[26:27]
	v_dual_fmac_f32 v83, s5, v74 :: v_dual_fmac_f32 v84, s5, v75
	v_bfi_b32 v35, 0x7fffffff, v93, v76
	v_bfi_b32 v74, 0x7fffffff, v94, v77
	s_wait_alu 0xfffe
	v_add_co_u32 v95, vcc_lo, s26, v19
	s_wait_alu 0xfffd
	v_add_co_ci_u32_e64 v96, null, s27, v20, vcc_lo
	v_add_co_u32 v97, vcc_lo, s26, v21
	v_fmac_f32_e32 v85, s5, v35
	v_add_f32_e32 v75, 0x40051340, v83
	v_fmac_f32_e32 v91, s5, v74
	v_add_f32_e32 v35, 0x40051340, v84
	s_wait_alu 0xfffd
	v_add_co_ci_u32_e64 v98, null, s27, v22, vcc_lo
	v_add_co_u32 v95, vcc_lo, v95, v60
	s_wait_alu 0xfffd
	v_add_co_ci_u32_e64 v96, null, 0, v96, vcc_lo
	v_add_co_u32 v99, vcc_lo, v97, v60
	v_add_f32_e32 v74, 0x40051340, v85
	v_add_f32_e32 v76, 0x40051340, v91
	v_max3_num_f32 v35, v67, v75, v35
	s_wait_alu 0xfffd
	v_add_co_ci_u32_e64 v100, null, 0, v98, vcc_lo
	v_add_co_u32 v97, vcc_lo, s26, v23
	s_wait_alu 0xfffd
	v_add_co_ci_u32_e64 v98, null, s27, v24, vcc_lo
	v_add_co_u32 v101, vcc_lo, s26, v25
	s_wait_alu 0xfffd
	v_add_co_ci_u32_e64 v102, null, s27, v26, vcc_lo
	v_max3_num_f32 v35, v35, v74, v76
	v_add_co_u32 v103, vcc_lo, v97, v60
	s_wait_alu 0xfffd
	v_add_co_ci_u32_e64 v104, null, 0, v98, vcc_lo
	v_add_co_u32 v107, vcc_lo, v101, v60
	s_wait_alu 0xfffd
	v_add_co_ci_u32_e64 v108, null, 0, v102, vcc_lo
	v_add_co_u32 v97, vcc_lo, s26, v27
	ds_bpermute_b32 v74, v86, v35
	s_wait_alu 0xfffd
	v_add_co_ci_u32_e64 v98, null, s27, v28, vcc_lo
	v_add_co_u32 v101, vcc_lo, s26, v29
	s_wait_alu 0xfffd
	v_add_co_ci_u32_e64 v102, null, s27, v30, vcc_lo
	v_add_co_u32 v111, vcc_lo, v97, v60
	s_wait_alu 0xfffd
	v_add_co_ci_u32_e64 v112, null, 0, v98, vcc_lo
	v_add_co_u32 v115, vcc_lo, v101, v60
	s_wait_alu 0xfffd
	v_add_co_ci_u32_e64 v116, null, 0, v102, vcc_lo
	v_add_co_u32 v97, vcc_lo, s26, v31
	s_wait_alu 0xfffd
	v_add_co_ci_u32_e64 v98, null, s27, v32, vcc_lo
	v_add_co_u32 v101, vcc_lo, s26, v33
	s_wait_alu 0xfffd
	v_add_co_ci_u32_e64 v102, null, s27, v34, vcc_lo
	v_add_co_u32 v119, vcc_lo, v97, v60
	s_wait_alu 0xfffd
	v_add_co_ci_u32_e64 v120, null, 0, v98, vcc_lo
	v_add_co_u32 v123, vcc_lo, v101, v60
	s_wait_alu 0xfffd
	v_add_co_ci_u32_e64 v124, null, 0, v102, vcc_lo
	s_wait_dscnt 0x0
	s_barrier_signal -1
	s_barrier_wait -1
	global_inv scope:SCOPE_SE
	s_clause 0x7
	global_load_b128 v[95:98], v[95:96], off
	global_load_b128 v[99:102], v[99:100], off
	;; [unrolled: 1-line block ×8, first 2 shown]
	v_max_num_f32_e32 v74, v74, v74
	v_dual_max_num_f32 v75, v90, v90 :: v_dual_max_num_f32 v76, v89, v89
	s_delay_alu instid0(VALU_DEP_2) | instskip(SKIP_3) | instid1(VALU_DEP_1)
	v_max_num_f32_e32 v35, v35, v74
	ds_bpermute_b32 v74, v87, v35
	s_wait_dscnt 0x0
	v_max_num_f32_e32 v74, v74, v74
	v_dual_max_num_f32 v74, v35, v74 :: v_dual_max_num_f32 v35, v76, v75
	v_add_nc_u32_e32 v75, v52, v37
	v_add_nc_u32_e32 v127, 0x800, v38
	;; [unrolled: 1-line block ×3, first 2 shown]
	ds_bpermute_b32 v76, v88, v74
	v_sub_f32_e32 v77, v78, v35
	v_sub_f32_e32 v78, v79, v35
	;; [unrolled: 1-line block ×3, first 2 shown]
	s_delay_alu instid0(VALU_DEP_2) | instskip(NEXT) | instid1(VALU_DEP_4)
	v_dual_mul_f32 v86, 0x3fb8aa3b, v78 :: v_dual_sub_f32 v79, v80, v35
	v_dual_sub_f32 v80, v81, v35 :: v_dual_mul_f32 v81, 0x3fb8aa3b, v77
	v_cmp_ngt_f32_e32 vcc_lo, 0xc2ce8ed0, v77
	s_delay_alu instid0(VALU_DEP_3) | instskip(SKIP_1) | instid1(VALU_DEP_4)
	v_rndne_f32_e32 v94, v86
	v_mul_f32_e32 v89, 0x3fb8aa3b, v68
	v_mul_f32_e32 v88, 0x3fb8aa3b, v80
	v_fma_f32 v93, 0x3fb8aa3b, v78, -v86
	s_delay_alu instid0(VALU_DEP_4) | instskip(NEXT) | instid1(VALU_DEP_4)
	v_sub_f32_e32 v86, v86, v94
	v_rndne_f32_e32 v133, v89
	s_delay_alu instid0(VALU_DEP_4)
	v_fma_f32 v130, 0x3fb8aa3b, v80, -v88
	s_wait_dscnt 0x0
	v_max_num_f32_e32 v76, v76, v76
	v_fma_f32 v90, 0x3fb8aa3b, v77, -v81
	v_rndne_f32_e32 v92, v81
	v_fma_f32 v132, 0x3fb8aa3b, v68, -v89
	s_delay_alu instid0(VALU_DEP_4) | instskip(NEXT) | instid1(VALU_DEP_4)
	v_dual_fmac_f32 v93, 0x32a5705f, v78 :: v_dual_max_num_f32 v74, v74, v76
	v_fmac_f32_e32 v90, 0x32a5705f, v77
	s_delay_alu instid0(VALU_DEP_4)
	v_dual_mul_f32 v87, 0x3fb8aa3b, v79 :: v_dual_sub_f32 v76, v81, v92
	v_dual_fmac_f32 v130, 0x32a5705f, v80 :: v_dual_sub_f32 v89, v89, v133
	ds_bpermute_b32 v82, v82, v74
	v_add_f32_e32 v86, v86, v93
	v_add_f32_e32 v76, v76, v90
	v_fma_f32 v128, 0x3fb8aa3b, v79, -v87
	v_rndne_f32_e32 v129, v87
	v_cvt_i32_f32_e32 v81, v92
	v_exp_f32_e32 v86, v86
	v_exp_f32_e32 v76, v76
	v_rndne_f32_e32 v131, v88
	v_dual_fmac_f32 v128, 0x32a5705f, v79 :: v_dual_sub_f32 v87, v87, v129
	v_cvt_i32_f32_e32 v90, v94
	v_cvt_i32_f32_e32 v92, v129
	s_delay_alu instid0(VALU_DEP_4) | instskip(SKIP_3) | instid1(TRANS32_DEP_1)
	v_sub_f32_e32 v88, v88, v131
	v_cvt_i32_f32_e32 v93, v131
	v_add_f32_e32 v87, v87, v128
	v_cvt_i32_f32_e32 v94, v133
	v_ldexp_f32 v76, v76, v81
	v_ldexp_f32 v81, v86, v90
	s_wait_dscnt 0x0
	v_max_num_f32_e32 v82, v82, v82
	v_exp_f32_e32 v87, v87
	s_wait_alu 0xfffd
	v_cndmask_b32_e32 v76, 0, v76, vcc_lo
	v_cmp_ngt_f32_e32 vcc_lo, 0xc2ce8ed0, v78
	v_fmac_f32_e32 v132, 0x32a5705f, v68
	s_wait_alu 0xfffd
	v_dual_max_num_f32 v74, v74, v82 :: v_dual_cndmask_b32 v81, 0, v81
	v_add_f32_e32 v88, v88, v130
	ds_bpermute_b32 v36, v36, v74
	v_add_f32_e32 v89, v89, v132
	v_ldexp_f32 v86, v87, v92
	v_cmp_ngt_f32_e32 vcc_lo, 0xc2ce8ed0, v79
	v_exp_f32_e32 v88, v88
	s_delay_alu instid0(VALU_DEP_3) | instskip(NEXT) | instid1(TRANS32_DEP_2)
	v_exp_f32_e32 v89, v89
	v_ldexp_f32 v82, v88, v93
	s_delay_alu instid0(TRANS32_DEP_1) | instskip(SKIP_2) | instid1(VALU_DEP_1)
	v_ldexp_f32 v87, v89, v94
	s_wait_dscnt 0x0
	v_max_num_f32_e32 v36, v36, v36
	v_max_num_f32_e32 v36, v74, v36
	s_wait_alu 0xfffd
	v_cndmask_b32_e32 v86, 0, v86, vcc_lo
	v_cmp_ngt_f32_e32 vcc_lo, 0xc2ce8ed0, v80
	s_wait_alu 0xfffd
	v_dual_sub_f32 v67, v67, v36 :: v_dual_cndmask_b32 v82, 0, v82
	v_cmp_ngt_f32_e32 vcc_lo, 0xc2ce8ed0, v68
	s_delay_alu instid0(VALU_DEP_2) | instskip(SKIP_3) | instid1(VALU_DEP_3)
	v_mul_f32_e32 v89, 0x3fb8aa3b, v67
	s_wait_alu 0xfffd
	v_cndmask_b32_e32 v87, 0, v87, vcc_lo
	v_cmp_nlt_f32_e32 vcc_lo, 0x42b17218, v77
	v_fma_f32 v131, 0x3fb8aa3b, v67, -v89
	v_rndne_f32_e32 v132, v89
	s_wait_alu 0xfffd
	v_cndmask_b32_e32 v76, 0x7f800000, v76, vcc_lo
	v_cmp_nlt_f32_e32 vcc_lo, 0x42b17218, v78
	v_fmac_f32_e32 v131, 0x32a5705f, v67
	v_sub_f32_e32 v89, v89, v132
	s_wait_alu 0xfffd
	v_cndmask_b32_e32 v77, 0x7f800000, v81, vcc_lo
	v_cmp_nlt_f32_e32 vcc_lo, 0x42b17218, v79
	s_wait_alu 0xfffd
	v_dual_add_f32 v89, v89, v131 :: v_dual_cndmask_b32 v78, 0x7f800000, v86
	v_cmp_nlt_f32_e32 vcc_lo, 0x42b17218, v80
	s_delay_alu instid0(VALU_DEP_2)
	v_exp_f32_e32 v89, v89
	s_wait_alu 0xfffd
	v_cndmask_b32_e32 v79, 0x7f800000, v82, vcc_lo
	v_cmp_nlt_f32_e32 vcc_lo, 0x42b17218, v68
	v_add_f32_e32 v68, v76, v77
	v_cvt_f16_f32_e32 v77, v77
	s_delay_alu instid0(VALU_DEP_4) | instskip(SKIP_3) | instid1(VALU_DEP_2)
	v_cvt_f16_f32_e32 v82, v79
	s_wait_alu 0xfffd
	v_cndmask_b32_e32 v80, 0x7f800000, v87, vcc_lo
	v_add_f32_e32 v68, v78, v68
	v_cvt_f16_f32_e32 v81, v80
	s_delay_alu instid0(VALU_DEP_2) | instskip(SKIP_3) | instid1(VALU_DEP_4)
	v_add_f32_e32 v74, v79, v68
	v_sub_f32_e32 v68, v83, v36
	v_sub_f32_e32 v83, v85, v36
	;; [unrolled: 1-line block ×3, first 2 shown]
	v_dual_fmac_f32 v74, v66, v80 :: v_dual_and_b32 v81, 0xffff, v81
	s_delay_alu instid0(VALU_DEP_4) | instskip(NEXT) | instid1(VALU_DEP_4)
	v_mul_f32_e32 v85, 0x3fb8aa3b, v68
	v_mul_f32_e32 v87, 0x3fb8aa3b, v83
	s_delay_alu instid0(VALU_DEP_4)
	v_mul_f32_e32 v86, 0x3fb8aa3b, v79
	v_cmp_ngt_f32_e32 vcc_lo, 0xc2ce8ed0, v68
	v_mul_u32_u24_e32 v140, 0x10001, v81
	v_fma_f32 v90, 0x3fb8aa3b, v68, -v85
	v_fma_f32 v94, 0x3fb8aa3b, v83, -v87
	v_rndne_f32_e32 v128, v87
	v_fma_f32 v92, 0x3fb8aa3b, v79, -v86
	v_rndne_f32_e32 v93, v86
	v_pk_mul_f16 v66, v65, v140
	s_delay_alu instid0(VALU_DEP_4)
	v_dual_fmac_f32 v94, 0x32a5705f, v83 :: v_dual_sub_f32 v87, v87, v128
	v_fmac_f32_e32 v90, 0x32a5705f, v68
	v_fmac_f32_e32 v92, 0x32a5705f, v79
	v_sub_f32_e32 v86, v86, v93
	v_cvt_f16_f32_e32 v78, v78
	v_add_f32_e32 v87, v87, v94
	v_cvt_i32_f32_e32 v94, v132
	s_delay_alu instid0(VALU_DEP_4) | instskip(SKIP_1) | instid1(VALU_DEP_4)
	v_add_f32_e32 v86, v86, v92
	v_cvt_i32_f32_e32 v92, v128
	v_exp_f32_e32 v87, v87
	s_delay_alu instid0(VALU_DEP_3) | instskip(NEXT) | instid1(VALU_DEP_3)
	v_ldexp_f32 v89, v89, v94
	v_exp_f32_e32 v86, v86
	s_delay_alu instid0(TRANS32_DEP_2) | instskip(SKIP_2) | instid1(VALU_DEP_1)
	v_ldexp_f32 v87, v87, v92
	v_sub_f32_e32 v84, v91, v36
	v_rndne_f32_e32 v91, v85
	v_sub_f32_e32 v85, v85, v91
	v_cvt_f16_f32_e32 v76, v76
	s_delay_alu instid0(VALU_DEP_2) | instskip(SKIP_2) | instid1(VALU_DEP_3)
	v_add_f32_e32 v85, v85, v90
	v_cvt_i32_f32_e32 v90, v91
	v_cvt_i32_f32_e32 v91, v93
	v_exp_f32_e32 v85, v85
	s_delay_alu instid0(VALU_DEP_1) | instskip(NEXT) | instid1(TRANS32_DEP_1)
	v_ldexp_f32 v86, v86, v91
	v_ldexp_f32 v85, v85, v90
	s_wait_alu 0xfffd
	s_delay_alu instid0(VALU_DEP_1)
	v_cndmask_b32_e32 v85, 0, v85, vcc_lo
	v_cmp_ngt_f32_e32 vcc_lo, 0xc2ce8ed0, v79
	s_wait_alu 0xfffd
	v_cndmask_b32_e32 v86, 0, v86, vcc_lo
	v_cmp_ngt_f32_e32 vcc_lo, 0xc2ce8ed0, v83
	s_wait_alu 0xfffd
	v_dual_cndmask_b32 v87, 0, v87 :: v_dual_mul_f32 v88, 0x3fb8aa3b, v84
	v_cmp_ngt_f32_e32 vcc_lo, 0xc2ce8ed0, v84
	s_delay_alu instid0(VALU_DEP_2) | instskip(SKIP_1) | instid1(VALU_DEP_1)
	v_fma_f32 v129, 0x3fb8aa3b, v84, -v88
	v_rndne_f32_e32 v130, v88
	v_dual_fmac_f32 v129, 0x32a5705f, v84 :: v_dual_sub_f32 v88, v88, v130
	v_cvt_i32_f32_e32 v93, v130
	s_delay_alu instid0(VALU_DEP_2) | instskip(NEXT) | instid1(VALU_DEP_1)
	v_add_f32_e32 v88, v88, v129
	v_exp_f32_e32 v88, v88
	s_delay_alu instid0(TRANS32_DEP_1) | instskip(SKIP_1) | instid1(VALU_DEP_1)
	v_ldexp_f32 v88, v88, v93
	s_wait_alu 0xfffd
	v_cndmask_b32_e32 v88, 0, v88, vcc_lo
	v_cmp_ngt_f32_e32 vcc_lo, 0xc2ce8ed0, v67
	s_wait_alu 0xfffd
	v_cndmask_b32_e32 v89, 0, v89, vcc_lo
	v_cmp_nlt_f32_e32 vcc_lo, 0x42b17218, v68
	s_wait_alu 0xfffd
	v_cndmask_b32_e32 v85, 0x7f800000, v85, vcc_lo
	v_cmp_nlt_f32_e32 vcc_lo, 0x42b17218, v79
	;; [unrolled: 3-line block ×3, first 2 shown]
	v_cvt_f16_f32_e32 v86, v85
	s_wait_alu 0xfffd
	v_cndmask_b32_e32 v67, 0x7f800000, v89, vcc_lo
	v_cmp_nlt_f32_e32 vcc_lo, 0x42b17218, v83
	s_delay_alu instid0(VALU_DEP_3)
	v_pack_b32_f16 v76, v76, v86
	s_wait_alu 0xfffd
	v_cndmask_b32_e32 v83, 0x7f800000, v87, vcc_lo
	v_cmp_nlt_f32_e32 vcc_lo, 0x42b17218, v84
	v_cvt_f16_f32_e32 v87, v79
	v_add_f32_e32 v79, v85, v79
	v_cvt_f16_f32_e32 v84, v67
	s_delay_alu instid0(VALU_DEP_3) | instskip(SKIP_1) | instid1(VALU_DEP_3)
	v_pack_b32_f16 v77, v77, v87
	s_wait_alu 0xfffd
	v_dual_add_f32 v65, v83, v79 :: v_dual_cndmask_b32 v68, 0x7f800000, v88
	v_cvt_f16_f32_e32 v88, v83
	v_and_b32_e32 v84, 0xffff, v84
	s_delay_alu instid0(VALU_DEP_3) | instskip(NEXT) | instid1(VALU_DEP_3)
	v_cvt_f16_f32_e32 v89, v68
	v_pack_b32_f16 v78, v78, v88
	s_delay_alu instid0(VALU_DEP_3) | instskip(NEXT) | instid1(VALU_DEP_3)
	v_mul_u32_u24_e32 v141, 0x10001, v84
	v_pack_b32_f16 v82, v82, v89
	ds_store_2addr_b32 v75, v76, v77 offset1:32
	ds_store_2addr_b32 v75, v78, v82 offset0:64 offset1:96
	s_wait_loadcnt 0x7
	ds_store_b128 v51, v[95:98]
	s_wait_loadcnt 0x6
	ds_store_b128 v53, v[99:102]
	s_wait_loadcnt 0x5
	ds_store_b128 v54, v[103:106]
	s_wait_loadcnt 0x4
	ds_store_b128 v55, v[107:110]
	s_wait_loadcnt 0x3
	ds_store_b128 v56, v[111:114]
	s_wait_loadcnt 0x2
	ds_store_b128 v57, v[115:118]
	s_wait_loadcnt 0x1
	ds_store_b128 v58, v[119:122]
	s_wait_loadcnt 0x0
	ds_store_b128 v59, v[123:126]
	s_wait_dscnt 0x0
	s_barrier_signal -1
	s_barrier_wait -1
	global_inv scope:SCOPE_SE
	ds_load_b128 v[75:78], v52
	ds_load_2addr_b64 v[79:82], v38 offset1:32
	ds_load_2addr_b64 v[83:86], v38 offset0:64 offset1:96
	ds_load_2addr_b64 v[87:90], v38 offset0:128 offset1:160
	ds_load_b128 v[91:94], v52 offset:16
	ds_load_2addr_b64 v[95:98], v38 offset0:192 offset1:224
	ds_load_2addr_b64 v[99:102], v127 offset1:32
	ds_load_2addr_b64 v[103:106], v127 offset0:64 offset1:96
	ds_load_2addr_b64 v[107:110], v127 offset0:128 offset1:160
	ds_load_b128 v[111:114], v52 offset:32
	ds_load_b128 v[115:118], v52 offset:48
	ds_load_2addr_b64 v[119:122], v127 offset0:192 offset1:224
	ds_load_2addr_b64 v[123:126], v139 offset1:32
	ds_load_2addr_b64 v[127:130], v139 offset0:64 offset1:96
	ds_load_b128 v[131:134], v52 offset:64
	ds_load_b128 v[135:138], v52 offset:80
	v_pk_mul_f16 v62, v62, v141
	s_wait_dscnt 0xb
	v_lshrrev_b32_e32 v146, 16, v91
	v_and_b32_e32 v91, 0xffff, v91
	v_lshrrev_b32_e32 v147, 16, v92
	v_and_b32_e32 v92, 0xffff, v92
	v_lshrrev_b32_e32 v148, 16, v93
	v_mul_u32_u24_e32 v146, 0x10001, v146
	v_mul_u32_u24_e32 v91, 0x10001, v91
	v_and_b32_e32 v93, 0xffff, v93
	v_mul_u32_u24_e32 v92, 0x10001, v92
	v_mul_u32_u24_e32 v147, 0x10001, v147
	v_lshrrev_b32_e32 v142, 16, v75
	v_and_b32_e32 v75, 0xffff, v75
	v_lshrrev_b32_e32 v143, 16, v76
	v_and_b32_e32 v76, 0xffff, v76
	v_lshrrev_b32_e32 v144, 16, v77
	v_mul_u32_u24_e32 v142, 0x10001, v142
	v_mul_u32_u24_e32 v75, 0x10001, v75
	v_and_b32_e32 v77, 0xffff, v77
	v_mul_u32_u24_e32 v76, 0x10001, v76
	v_mul_u32_u24_e32 v143, 0x10001, v143
	v_pk_fma_f16 v62, v80, v142, v62
	v_pk_mul_f16 v161, v79, v75
	v_pk_mul_f16 v79, v79, v142
	v_pk_fma_f16 v66, v80, v75, v66
	v_lshrrev_b32_e32 v145, 16, v78
	v_and_b32_e32 v78, 0xffff, v78
	v_pk_fma_f16 v64, v64, v140, v161
	v_pk_fma_f16 v63, v63, v141, v79
	v_mul_u32_u24_e32 v77, 0x10001, v77
	v_mul_u32_u24_e32 v144, 0x10001, v144
	v_pk_fma_f16 v66, v82, v76, v66
	v_pk_fma_f16 v64, v81, v76, v64
	;; [unrolled: 1-line block ×4, first 2 shown]
	v_mul_u32_u24_e32 v78, 0x10001, v78
	v_mul_u32_u24_e32 v145, 0x10001, v145
	v_pk_fma_f16 v64, v83, v77, v64
	v_pk_fma_f16 v63, v83, v144, v63
	;; [unrolled: 1-line block ×4, first 2 shown]
	v_lshrrev_b32_e32 v149, 16, v94
	v_pk_fma_f16 v64, v85, v78, v64
	v_pk_fma_f16 v63, v85, v145, v63
	;; [unrolled: 1-line block ×4, first 2 shown]
	v_and_b32_e32 v94, 0xffff, v94
	v_pk_fma_f16 v64, v87, v91, v64
	v_pk_fma_f16 v63, v87, v146, v63
	;; [unrolled: 1-line block ×4, first 2 shown]
	v_mul_u32_u24_e32 v93, 0x10001, v93
	v_mul_u32_u24_e32 v148, 0x10001, v148
	v_pk_fma_f16 v64, v89, v92, v64
	v_pk_fma_f16 v63, v89, v147, v63
	;; [unrolled: 1-line block ×4, first 2 shown]
	s_wait_dscnt 0x6
	v_lshrrev_b32_e32 v150, 16, v111
	v_and_b32_e32 v111, 0xffff, v111
	v_mul_u32_u24_e32 v94, 0x10001, v94
	v_mul_u32_u24_e32 v149, 0x10001, v149
	v_pk_fma_f16 v64, v95, v93, v64
	v_pk_fma_f16 v63, v95, v148, v63
	v_pk_fma_f16 v66, v96, v93, v66
	v_pk_fma_f16 v62, v96, v148, v62
	v_lshrrev_b32_e32 v151, 16, v112
	v_and_b32_e32 v112, 0xffff, v112
	v_mul_u32_u24_e32 v111, 0x10001, v111
	v_mul_u32_u24_e32 v150, 0x10001, v150
	v_pk_fma_f16 v64, v97, v94, v64
	v_pk_fma_f16 v63, v97, v149, v63
	v_pk_fma_f16 v66, v98, v94, v66
	v_pk_fma_f16 v62, v98, v149, v62
	v_lshrrev_b32_e32 v152, 16, v113
	v_and_b32_e32 v113, 0xffff, v113
	v_mul_u32_u24_e32 v112, 0x10001, v112
	v_mul_u32_u24_e32 v151, 0x10001, v151
	v_pk_fma_f16 v64, v99, v111, v64
	v_pk_fma_f16 v63, v99, v150, v63
	v_pk_fma_f16 v66, v100, v111, v66
	v_pk_fma_f16 v62, v100, v150, v62
	v_lshrrev_b32_e32 v153, 16, v114
	v_and_b32_e32 v114, 0xffff, v114
	v_mul_u32_u24_e32 v75, 0x10001, v113
	v_mul_u32_u24_e32 v76, 0x10001, v152
	v_pk_fma_f16 v64, v101, v112, v64
	v_pk_fma_f16 v63, v101, v151, v63
	v_pk_fma_f16 v66, v102, v112, v66
	v_pk_fma_f16 v62, v102, v151, v62
	s_wait_dscnt 0x5
	v_lshrrev_b32_e32 v154, 16, v115
	v_and_b32_e32 v115, 0xffff, v115
	v_mul_u32_u24_e32 v77, 0x10001, v114
	v_mul_u32_u24_e32 v78, 0x10001, v153
	v_pk_fma_f16 v64, v103, v75, v64
	v_pk_fma_f16 v63, v103, v76, v63
	v_pk_fma_f16 v66, v104, v75, v66
	v_pk_fma_f16 v62, v104, v76, v62
	v_lshrrev_b32_e32 v155, 16, v116
	v_and_b32_e32 v116, 0xffff, v116
	v_mul_u32_u24_e32 v79, 0x10001, v115
	v_mul_u32_u24_e32 v80, 0x10001, v154
	v_pk_fma_f16 v64, v105, v77, v64
	v_pk_fma_f16 v63, v105, v78, v63
	v_pk_fma_f16 v66, v106, v77, v66
	v_pk_fma_f16 v62, v106, v78, v62
	;; [unrolled: 8-line block ×4, first 2 shown]
	s_wait_dscnt 0x1
	v_lshrrev_b32_e32 v158, 16, v131
	v_and_b32_e32 v131, 0xffff, v131
	v_mul_u32_u24_e32 v75, 0x10001, v118
	v_mul_u32_u24_e32 v76, 0x10001, v157
	v_pk_fma_f16 v64, v119, v83, v64
	v_pk_fma_f16 v63, v119, v84, v63
	;; [unrolled: 1-line block ×4, first 2 shown]
	v_lshrrev_b32_e32 v159, 16, v132
	v_and_b32_e32 v132, 0xffff, v132
	v_mul_u32_u24_e32 v77, 0x10001, v131
	v_mul_u32_u24_e32 v78, 0x10001, v158
	v_pk_fma_f16 v64, v121, v75, v64
	v_pk_fma_f16 v63, v121, v76, v63
	;; [unrolled: 1-line block ×4, first 2 shown]
	v_mul_u32_u24_e32 v79, 0x10001, v132
	v_mul_u32_u24_e32 v75, 0x10001, v159
	v_pk_fma_f16 v64, v123, v77, v64
	v_pk_fma_f16 v63, v123, v78, v63
	;; [unrolled: 1-line block ×4, first 2 shown]
	v_and_b32_e32 v76, 0xffff, v133
	v_lshrrev_b32_e32 v160, 16, v133
	v_pk_fma_f16 v64, v125, v79, v64
	v_pk_fma_f16 v63, v125, v75, v63
	;; [unrolled: 1-line block ×4, first 2 shown]
	v_mul_u32_u24_e32 v79, 0x10001, v76
	ds_load_2addr_b64 v[75:78], v139 offset0:128 offset1:160
	v_mul_u32_u24_e32 v80, 0x10001, v160
	v_and_b32_e32 v81, 0xffff, v134
	v_lshrrev_b32_e32 v82, 16, v134
	v_pk_fma_f16 v64, v127, v79, v64
	v_pk_fma_f16 v66, v128, v79, v66
	;; [unrolled: 1-line block ×3, first 2 shown]
	v_mul_u32_u24_e32 v79, 0x10001, v81
	v_mul_u32_u24_e32 v83, 0x10001, v82
	v_pk_fma_f16 v62, v128, v80, v62
	s_wait_dscnt 0x1
	v_and_b32_e32 v80, 0xffff, v135
	v_lshrrev_b32_e32 v81, 16, v135
	v_pk_fma_f16 v64, v129, v79, v64
	v_pk_fma_f16 v63, v129, v83, v63
	;; [unrolled: 1-line block ×3, first 2 shown]
	v_mul_u32_u24_e32 v84, 0x10001, v80
	v_mul_u32_u24_e32 v87, 0x10001, v81
	v_pk_fma_f16 v62, v130, v83, v62
	v_and_b32_e32 v83, 0xffff, v136
	v_lshrrev_b32_e32 v85, 16, v136
	ds_load_2addr_b64 v[79:82], v139 offset0:192 offset1:224
	s_wait_dscnt 0x1
	v_pk_fma_f16 v64, v75, v84, v64
	v_pk_fma_f16 v63, v75, v87, v63
	;; [unrolled: 1-line block ×3, first 2 shown]
	v_mul_u32_u24_e32 v75, 0x10001, v83
	v_mul_u32_u24_e32 v88, 0x10001, v85
	ds_load_b128 v[83:86], v52 offset:96
	v_pk_fma_f16 v62, v76, v87, v62
	v_lshrrev_b32_e32 v76, 16, v137
	v_add_nc_u32_e32 v95, 0x1800, v38
	v_and_b32_e32 v89, 0xffff, v137
	v_pk_fma_f16 v64, v77, v75, v64
	v_pk_fma_f16 v63, v77, v88, v63
	;; [unrolled: 1-line block ×4, first 2 shown]
	v_mul_u32_u24_e32 v88, 0x10001, v76
	ds_load_2addr_b64 v[75:78], v95 offset1:32
	v_mul_u32_u24_e32 v87, 0x10001, v89
	v_and_b32_e32 v89, 0xffff, v138
	v_lshrrev_b32_e32 v90, 16, v138
	s_wait_dscnt 0x2
	v_pk_fma_f16 v63, v79, v88, v63
	v_pk_fma_f16 v62, v80, v88, v62
	;; [unrolled: 1-line block ×4, first 2 shown]
	v_mul_u32_u24_e32 v79, 0x10001, v89
	v_mul_u32_u24_e32 v80, 0x10001, v90
	ds_load_b128 v[87:90], v52 offset:112
	s_wait_dscnt 0x2
	v_and_b32_e32 v91, 0xffff, v83
	v_lshrrev_b32_e32 v83, 16, v83
	v_pk_fma_f16 v64, v81, v79, v64
	v_pk_fma_f16 v63, v81, v80, v63
	;; [unrolled: 1-line block ×3, first 2 shown]
	v_mul_u32_u24_e32 v79, 0x10001, v91
	v_mul_u32_u24_e32 v81, 0x10001, v83
	v_and_b32_e32 v83, 0xffff, v84
	ds_load_2addr_b64 v[91:94], v95 offset0:64 offset1:96
	v_pk_fma_f16 v62, v82, v80, v62
	v_lshrrev_b32_e32 v80, 16, v84
	s_wait_dscnt 0x2
	v_pk_fma_f16 v64, v75, v79, v64
	v_mul_u32_u24_e32 v82, 0x10001, v83
	v_pk_fma_f16 v63, v75, v81, v63
	v_pk_fma_f16 v66, v76, v79, v66
	v_mul_u32_u24_e32 v75, 0x10001, v80
	v_pk_fma_f16 v62, v76, v81, v62
	v_and_b32_e32 v76, 0xffff, v85
	v_pk_fma_f16 v64, v77, v82, v64
	v_lshrrev_b32_e32 v79, 16, v85
	v_pk_fma_f16 v63, v77, v75, v63
	v_pk_fma_f16 v66, v78, v82, v66
	;; [unrolled: 1-line block ×3, first 2 shown]
	v_mul_u32_u24_e32 v80, 0x10001, v76
	ds_load_2addr_b64 v[75:78], v95 offset0:128 offset1:160
	v_mul_u32_u24_e32 v79, 0x10001, v79
	v_and_b32_e32 v81, 0xffff, v86
	v_lshrrev_b32_e32 v82, 16, v86
	s_wait_dscnt 0x1
	v_pk_fma_f16 v64, v91, v80, v64
	v_pk_fma_f16 v66, v92, v80, v66
	v_pk_fma_f16 v63, v91, v79, v63
	v_mul_u32_u24_e32 v80, 0x10001, v81
	v_mul_u32_u24_e32 v83, 0x10001, v82
	v_pk_fma_f16 v62, v92, v79, v62
	v_and_b32_e32 v79, 0xffff, v87
	v_lshrrev_b32_e32 v81, 16, v87
	v_pk_fma_f16 v64, v93, v80, v64
	v_pk_fma_f16 v63, v93, v83, v63
	;; [unrolled: 1-line block ×3, first 2 shown]
	v_mul_u32_u24_e32 v84, 0x10001, v79
	v_mul_u32_u24_e32 v87, 0x10001, v81
	v_pk_fma_f16 v62, v94, v83, v62
	v_and_b32_e32 v83, 0xffff, v88
	v_lshrrev_b32_e32 v85, 16, v88
	ds_load_2addr_b64 v[79:82], v95 offset0:192 offset1:224
	s_wait_dscnt 0x1
	v_pk_fma_f16 v64, v75, v84, v64
	v_pk_fma_f16 v63, v75, v87, v63
	;; [unrolled: 1-line block ×3, first 2 shown]
	v_mul_u32_u24_e32 v75, 0x10001, v83
	v_mul_u32_u24_e32 v88, 0x10001, v85
	ds_load_b128 v[83:86], v52 offset:128
	v_pk_fma_f16 v62, v76, v87, v62
	v_lshrrev_b32_e32 v76, 16, v89
	v_add_nc_u32_e32 v95, 0x2000, v38
	v_and_b32_e32 v91, 0xffff, v89
	v_pk_fma_f16 v64, v77, v75, v64
	v_pk_fma_f16 v63, v77, v88, v63
	;; [unrolled: 1-line block ×4, first 2 shown]
	v_mul_u32_u24_e32 v88, 0x10001, v76
	ds_load_2addr_b64 v[75:78], v95 offset1:32
	v_mul_u32_u24_e32 v87, 0x10001, v91
	v_and_b32_e32 v89, 0xffff, v90
	v_lshrrev_b32_e32 v90, 16, v90
	s_wait_dscnt 0x2
	v_pk_fma_f16 v63, v79, v88, v63
	v_pk_fma_f16 v62, v80, v88, v62
	;; [unrolled: 1-line block ×4, first 2 shown]
	v_mul_u32_u24_e32 v79, 0x10001, v89
	v_mul_u32_u24_e32 v80, 0x10001, v90
	ds_load_b128 v[87:90], v52 offset:144
	s_wait_dscnt 0x2
	v_and_b32_e32 v91, 0xffff, v83
	v_lshrrev_b32_e32 v83, 16, v83
	v_pk_fma_f16 v64, v81, v79, v64
	v_pk_fma_f16 v63, v81, v80, v63
	;; [unrolled: 1-line block ×3, first 2 shown]
	v_mul_u32_u24_e32 v79, 0x10001, v91
	v_mul_u32_u24_e32 v81, 0x10001, v83
	v_and_b32_e32 v83, 0xffff, v84
	ds_load_2addr_b64 v[91:94], v95 offset0:64 offset1:96
	v_pk_fma_f16 v62, v82, v80, v62
	v_lshrrev_b32_e32 v80, 16, v84
	s_wait_dscnt 0x2
	v_pk_fma_f16 v64, v75, v79, v64
	v_mul_u32_u24_e32 v82, 0x10001, v83
	v_pk_fma_f16 v63, v75, v81, v63
	v_pk_fma_f16 v66, v76, v79, v66
	v_mul_u32_u24_e32 v75, 0x10001, v80
	v_pk_fma_f16 v62, v76, v81, v62
	v_and_b32_e32 v76, 0xffff, v85
	v_pk_fma_f16 v64, v77, v82, v64
	v_lshrrev_b32_e32 v79, 16, v85
	v_pk_fma_f16 v63, v77, v75, v63
	v_pk_fma_f16 v66, v78, v82, v66
	;; [unrolled: 1-line block ×3, first 2 shown]
	v_mul_u32_u24_e32 v80, 0x10001, v76
	ds_load_2addr_b64 v[75:78], v95 offset0:128 offset1:160
	v_mul_u32_u24_e32 v79, 0x10001, v79
	v_and_b32_e32 v81, 0xffff, v86
	v_lshrrev_b32_e32 v82, 16, v86
	s_wait_dscnt 0x1
	v_pk_fma_f16 v64, v91, v80, v64
	v_pk_fma_f16 v66, v92, v80, v66
	;; [unrolled: 1-line block ×3, first 2 shown]
	v_mul_u32_u24_e32 v80, 0x10001, v81
	v_mul_u32_u24_e32 v83, 0x10001, v82
	v_pk_fma_f16 v62, v92, v79, v62
	v_and_b32_e32 v79, 0xffff, v87
	v_lshrrev_b32_e32 v81, 16, v87
	v_pk_fma_f16 v64, v93, v80, v64
	v_pk_fma_f16 v63, v93, v83, v63
	;; [unrolled: 1-line block ×3, first 2 shown]
	v_mul_u32_u24_e32 v84, 0x10001, v79
	v_mul_u32_u24_e32 v87, 0x10001, v81
	v_pk_fma_f16 v62, v94, v83, v62
	v_and_b32_e32 v83, 0xffff, v88
	v_lshrrev_b32_e32 v85, 16, v88
	ds_load_2addr_b64 v[79:82], v95 offset0:192 offset1:224
	s_wait_dscnt 0x1
	v_pk_fma_f16 v64, v75, v84, v64
	v_pk_fma_f16 v63, v75, v87, v63
	;; [unrolled: 1-line block ×3, first 2 shown]
	v_mul_u32_u24_e32 v75, 0x10001, v83
	v_mul_u32_u24_e32 v88, 0x10001, v85
	ds_load_b128 v[83:86], v52 offset:160
	v_pk_fma_f16 v62, v76, v87, v62
	v_lshrrev_b32_e32 v76, 16, v89
	v_add_nc_u32_e32 v95, 0x2800, v38
	v_and_b32_e32 v91, 0xffff, v89
	v_pk_fma_f16 v64, v77, v75, v64
	v_pk_fma_f16 v63, v77, v88, v63
	;; [unrolled: 1-line block ×4, first 2 shown]
	v_mul_u32_u24_e32 v88, 0x10001, v76
	ds_load_2addr_b64 v[75:78], v95 offset1:32
	v_mul_u32_u24_e32 v87, 0x10001, v91
	v_and_b32_e32 v89, 0xffff, v90
	v_lshrrev_b32_e32 v90, 16, v90
	s_wait_dscnt 0x2
	v_pk_fma_f16 v63, v79, v88, v63
	v_pk_fma_f16 v62, v80, v88, v62
	;; [unrolled: 1-line block ×4, first 2 shown]
	v_mul_u32_u24_e32 v79, 0x10001, v89
	v_mul_u32_u24_e32 v80, 0x10001, v90
	ds_load_b128 v[87:90], v52 offset:176
	s_wait_dscnt 0x2
	v_and_b32_e32 v91, 0xffff, v83
	v_lshrrev_b32_e32 v83, 16, v83
	v_pk_fma_f16 v64, v81, v79, v64
	v_pk_fma_f16 v63, v81, v80, v63
	;; [unrolled: 1-line block ×3, first 2 shown]
	v_mul_u32_u24_e32 v79, 0x10001, v91
	v_mul_u32_u24_e32 v81, 0x10001, v83
	v_and_b32_e32 v83, 0xffff, v84
	ds_load_2addr_b64 v[91:94], v95 offset0:64 offset1:96
	v_pk_fma_f16 v62, v82, v80, v62
	v_lshrrev_b32_e32 v80, 16, v84
	s_wait_dscnt 0x2
	v_pk_fma_f16 v64, v75, v79, v64
	v_mul_u32_u24_e32 v82, 0x10001, v83
	v_pk_fma_f16 v63, v75, v81, v63
	v_pk_fma_f16 v66, v76, v79, v66
	v_mul_u32_u24_e32 v75, 0x10001, v80
	v_pk_fma_f16 v62, v76, v81, v62
	v_and_b32_e32 v76, 0xffff, v85
	v_pk_fma_f16 v64, v77, v82, v64
	v_lshrrev_b32_e32 v79, 16, v85
	v_pk_fma_f16 v63, v77, v75, v63
	v_pk_fma_f16 v66, v78, v82, v66
	;; [unrolled: 1-line block ×3, first 2 shown]
	v_mul_u32_u24_e32 v80, 0x10001, v76
	ds_load_2addr_b64 v[75:78], v95 offset0:128 offset1:160
	v_mul_u32_u24_e32 v79, 0x10001, v79
	v_and_b32_e32 v81, 0xffff, v86
	v_lshrrev_b32_e32 v82, 16, v86
	s_wait_dscnt 0x1
	v_pk_fma_f16 v64, v91, v80, v64
	v_pk_fma_f16 v66, v92, v80, v66
	;; [unrolled: 1-line block ×3, first 2 shown]
	v_mul_u32_u24_e32 v80, 0x10001, v81
	v_mul_u32_u24_e32 v83, 0x10001, v82
	v_pk_fma_f16 v62, v92, v79, v62
	v_and_b32_e32 v79, 0xffff, v87
	v_lshrrev_b32_e32 v81, 16, v87
	v_pk_fma_f16 v64, v93, v80, v64
	v_pk_fma_f16 v63, v93, v83, v63
	;; [unrolled: 1-line block ×3, first 2 shown]
	v_mul_u32_u24_e32 v84, 0x10001, v79
	v_mul_u32_u24_e32 v87, 0x10001, v81
	v_pk_fma_f16 v62, v94, v83, v62
	v_and_b32_e32 v83, 0xffff, v88
	v_lshrrev_b32_e32 v85, 16, v88
	ds_load_2addr_b64 v[79:82], v95 offset0:192 offset1:224
	s_wait_dscnt 0x1
	v_pk_fma_f16 v64, v75, v84, v64
	v_pk_fma_f16 v63, v75, v87, v63
	;; [unrolled: 1-line block ×3, first 2 shown]
	v_mul_u32_u24_e32 v75, 0x10001, v83
	v_mul_u32_u24_e32 v88, 0x10001, v85
	ds_load_b128 v[83:86], v52 offset:192
	v_pk_fma_f16 v62, v76, v87, v62
	v_lshrrev_b32_e32 v76, 16, v89
	v_add_nc_u32_e32 v95, 0x3000, v38
	v_and_b32_e32 v91, 0xffff, v89
	v_pk_fma_f16 v64, v77, v75, v64
	v_pk_fma_f16 v63, v77, v88, v63
	;; [unrolled: 1-line block ×4, first 2 shown]
	v_mul_u32_u24_e32 v88, 0x10001, v76
	ds_load_2addr_b64 v[75:78], v95 offset1:32
	v_mul_u32_u24_e32 v87, 0x10001, v91
	v_and_b32_e32 v89, 0xffff, v90
	v_lshrrev_b32_e32 v90, 16, v90
	s_wait_dscnt 0x2
	v_pk_fma_f16 v63, v79, v88, v63
	v_pk_fma_f16 v62, v80, v88, v62
	;; [unrolled: 1-line block ×4, first 2 shown]
	v_mul_u32_u24_e32 v79, 0x10001, v89
	v_mul_u32_u24_e32 v80, 0x10001, v90
	ds_load_b128 v[87:90], v52 offset:208
	s_wait_dscnt 0x2
	v_and_b32_e32 v91, 0xffff, v83
	v_lshrrev_b32_e32 v83, 16, v83
	v_pk_fma_f16 v64, v81, v79, v64
	v_pk_fma_f16 v63, v81, v80, v63
	;; [unrolled: 1-line block ×3, first 2 shown]
	v_mul_u32_u24_e32 v79, 0x10001, v91
	v_mul_u32_u24_e32 v81, 0x10001, v83
	v_and_b32_e32 v83, 0xffff, v84
	ds_load_2addr_b64 v[91:94], v95 offset0:64 offset1:96
	v_pk_fma_f16 v62, v82, v80, v62
	v_lshrrev_b32_e32 v80, 16, v84
	s_wait_dscnt 0x2
	v_pk_fma_f16 v64, v75, v79, v64
	v_mul_u32_u24_e32 v82, 0x10001, v83
	v_pk_fma_f16 v63, v75, v81, v63
	v_pk_fma_f16 v66, v76, v79, v66
	v_mul_u32_u24_e32 v75, 0x10001, v80
	v_pk_fma_f16 v62, v76, v81, v62
	v_and_b32_e32 v76, 0xffff, v85
	v_pk_fma_f16 v64, v77, v82, v64
	v_lshrrev_b32_e32 v79, 16, v85
	v_pk_fma_f16 v63, v77, v75, v63
	v_pk_fma_f16 v66, v78, v82, v66
	;; [unrolled: 1-line block ×3, first 2 shown]
	v_mul_u32_u24_e32 v80, 0x10001, v76
	ds_load_2addr_b64 v[75:78], v95 offset0:128 offset1:160
	v_mul_u32_u24_e32 v79, 0x10001, v79
	v_and_b32_e32 v81, 0xffff, v86
	v_lshrrev_b32_e32 v82, 16, v86
	s_wait_dscnt 0x1
	v_pk_fma_f16 v64, v91, v80, v64
	v_pk_fma_f16 v66, v92, v80, v66
	;; [unrolled: 1-line block ×3, first 2 shown]
	v_mul_u32_u24_e32 v80, 0x10001, v81
	v_mul_u32_u24_e32 v83, 0x10001, v82
	v_pk_fma_f16 v62, v92, v79, v62
	v_and_b32_e32 v79, 0xffff, v87
	v_lshrrev_b32_e32 v81, 16, v87
	v_pk_fma_f16 v64, v93, v80, v64
	v_pk_fma_f16 v63, v93, v83, v63
	v_pk_fma_f16 v66, v94, v80, v66
	v_mul_u32_u24_e32 v84, 0x10001, v79
	v_mul_u32_u24_e32 v87, 0x10001, v81
	v_pk_fma_f16 v62, v94, v83, v62
	v_and_b32_e32 v83, 0xffff, v88
	v_lshrrev_b32_e32 v85, 16, v88
	ds_load_2addr_b64 v[79:82], v95 offset0:192 offset1:224
	s_wait_dscnt 0x1
	v_pk_fma_f16 v64, v75, v84, v64
	v_pk_fma_f16 v63, v75, v87, v63
	;; [unrolled: 1-line block ×3, first 2 shown]
	v_mul_u32_u24_e32 v75, 0x10001, v83
	v_mul_u32_u24_e32 v88, 0x10001, v85
	ds_load_b128 v[83:86], v52 offset:224
	v_pk_fma_f16 v62, v76, v87, v62
	v_lshrrev_b32_e32 v76, 16, v89
	v_add_nc_u32_e32 v95, 0x3800, v38
	v_and_b32_e32 v91, 0xffff, v89
	v_pk_fma_f16 v64, v77, v75, v64
	v_pk_fma_f16 v63, v77, v88, v63
	;; [unrolled: 1-line block ×4, first 2 shown]
	v_mul_u32_u24_e32 v88, 0x10001, v76
	ds_load_2addr_b64 v[75:78], v95 offset1:32
	v_mul_u32_u24_e32 v87, 0x10001, v91
	v_and_b32_e32 v89, 0xffff, v90
	v_lshrrev_b32_e32 v90, 16, v90
	s_wait_dscnt 0x2
	v_pk_fma_f16 v63, v79, v88, v63
	v_pk_fma_f16 v62, v80, v88, v62
	;; [unrolled: 1-line block ×4, first 2 shown]
	v_mul_u32_u24_e32 v79, 0x10001, v89
	v_mul_u32_u24_e32 v80, 0x10001, v90
	ds_load_b128 v[87:90], v52 offset:240
	s_wait_dscnt 0x2
	v_and_b32_e32 v91, 0xffff, v83
	v_lshrrev_b32_e32 v83, 16, v83
	v_pk_fma_f16 v64, v81, v79, v64
	v_pk_fma_f16 v63, v81, v80, v63
	;; [unrolled: 1-line block ×3, first 2 shown]
	v_mul_u32_u24_e32 v79, 0x10001, v91
	v_mul_u32_u24_e32 v81, 0x10001, v83
	v_and_b32_e32 v83, 0xffff, v84
	ds_load_2addr_b64 v[91:94], v95 offset0:64 offset1:96
	v_pk_fma_f16 v62, v82, v80, v62
	v_lshrrev_b32_e32 v80, 16, v84
	s_wait_dscnt 0x2
	v_pk_fma_f16 v64, v75, v79, v64
	v_mul_u32_u24_e32 v82, 0x10001, v83
	v_pk_fma_f16 v63, v75, v81, v63
	v_pk_fma_f16 v66, v76, v79, v66
	v_mul_u32_u24_e32 v75, 0x10001, v80
	v_pk_fma_f16 v62, v76, v81, v62
	v_and_b32_e32 v76, 0xffff, v85
	v_pk_fma_f16 v64, v77, v82, v64
	v_lshrrev_b32_e32 v79, 16, v85
	v_pk_fma_f16 v63, v77, v75, v63
	v_pk_fma_f16 v66, v78, v82, v66
	;; [unrolled: 1-line block ×3, first 2 shown]
	v_mul_u32_u24_e32 v80, 0x10001, v76
	ds_load_2addr_b64 v[75:78], v95 offset0:128 offset1:160
	v_mul_u32_u24_e32 v79, 0x10001, v79
	v_and_b32_e32 v81, 0xffff, v86
	v_lshrrev_b32_e32 v82, 16, v86
	s_wait_dscnt 0x1
	v_pk_fma_f16 v64, v91, v80, v64
	v_pk_fma_f16 v66, v92, v80, v66
	;; [unrolled: 1-line block ×3, first 2 shown]
	v_mul_u32_u24_e32 v80, 0x10001, v81
	v_mul_u32_u24_e32 v83, 0x10001, v82
	v_pk_fma_f16 v62, v92, v79, v62
	v_and_b32_e32 v79, 0xffff, v87
	v_lshrrev_b32_e32 v81, 16, v87
	v_pk_fma_f16 v64, v93, v80, v64
	v_pk_fma_f16 v63, v93, v83, v63
	;; [unrolled: 1-line block ×3, first 2 shown]
	v_mul_u32_u24_e32 v84, 0x10001, v79
	v_mul_u32_u24_e32 v87, 0x10001, v81
	v_pk_fma_f16 v62, v94, v83, v62
	v_and_b32_e32 v83, 0xffff, v88
	v_lshrrev_b32_e32 v85, 16, v88
	ds_load_2addr_b64 v[79:82], v95 offset0:192 offset1:224
	s_wait_dscnt 0x1
	v_pk_fma_f16 v64, v75, v84, v64
	v_pk_fma_f16 v63, v75, v87, v63
	v_pk_fma_f16 v66, v76, v84, v66
	v_mul_u32_u24_e32 v75, 0x10001, v83
	v_mul_u32_u24_e32 v88, 0x10001, v85
	ds_load_b128 v[83:86], v52 offset:256
	v_pk_fma_f16 v62, v76, v87, v62
	v_lshrrev_b32_e32 v76, 16, v89
	v_add_nc_u32_e32 v95, 0x4000, v38
	v_and_b32_e32 v91, 0xffff, v89
	v_pk_fma_f16 v64, v77, v75, v64
	v_pk_fma_f16 v63, v77, v88, v63
	;; [unrolled: 1-line block ×4, first 2 shown]
	v_mul_u32_u24_e32 v88, 0x10001, v76
	ds_load_2addr_b64 v[75:78], v95 offset1:32
	v_mul_u32_u24_e32 v87, 0x10001, v91
	v_and_b32_e32 v89, 0xffff, v90
	v_lshrrev_b32_e32 v90, 16, v90
	s_wait_dscnt 0x2
	v_pk_fma_f16 v63, v79, v88, v63
	v_pk_fma_f16 v62, v80, v88, v62
	;; [unrolled: 1-line block ×4, first 2 shown]
	v_mul_u32_u24_e32 v79, 0x10001, v89
	v_mul_u32_u24_e32 v80, 0x10001, v90
	ds_load_b128 v[87:90], v52 offset:272
	s_wait_dscnt 0x2
	v_and_b32_e32 v91, 0xffff, v83
	v_lshrrev_b32_e32 v83, 16, v83
	v_pk_fma_f16 v64, v81, v79, v64
	v_pk_fma_f16 v63, v81, v80, v63
	v_pk_fma_f16 v66, v82, v79, v66
	v_mul_u32_u24_e32 v79, 0x10001, v91
	v_mul_u32_u24_e32 v81, 0x10001, v83
	v_and_b32_e32 v83, 0xffff, v84
	ds_load_2addr_b64 v[91:94], v95 offset0:64 offset1:96
	v_pk_fma_f16 v62, v82, v80, v62
	v_lshrrev_b32_e32 v80, 16, v84
	s_wait_dscnt 0x2
	v_pk_fma_f16 v64, v75, v79, v64
	v_mul_u32_u24_e32 v82, 0x10001, v83
	v_pk_fma_f16 v63, v75, v81, v63
	v_pk_fma_f16 v66, v76, v79, v66
	v_mul_u32_u24_e32 v75, 0x10001, v80
	v_pk_fma_f16 v62, v76, v81, v62
	v_and_b32_e32 v76, 0xffff, v85
	v_pk_fma_f16 v64, v77, v82, v64
	v_lshrrev_b32_e32 v79, 16, v85
	v_pk_fma_f16 v63, v77, v75, v63
	v_pk_fma_f16 v66, v78, v82, v66
	;; [unrolled: 1-line block ×3, first 2 shown]
	v_mul_u32_u24_e32 v80, 0x10001, v76
	ds_load_2addr_b64 v[75:78], v95 offset0:128 offset1:160
	v_mul_u32_u24_e32 v79, 0x10001, v79
	v_and_b32_e32 v81, 0xffff, v86
	v_lshrrev_b32_e32 v82, 16, v86
	s_wait_dscnt 0x1
	v_pk_fma_f16 v64, v91, v80, v64
	v_pk_fma_f16 v66, v92, v80, v66
	;; [unrolled: 1-line block ×3, first 2 shown]
	v_mul_u32_u24_e32 v80, 0x10001, v81
	v_mul_u32_u24_e32 v83, 0x10001, v82
	v_pk_fma_f16 v62, v92, v79, v62
	v_and_b32_e32 v79, 0xffff, v87
	v_lshrrev_b32_e32 v81, 16, v87
	v_pk_fma_f16 v64, v93, v80, v64
	v_pk_fma_f16 v63, v93, v83, v63
	;; [unrolled: 1-line block ×3, first 2 shown]
	v_mul_u32_u24_e32 v84, 0x10001, v79
	v_mul_u32_u24_e32 v87, 0x10001, v81
	v_pk_fma_f16 v62, v94, v83, v62
	v_and_b32_e32 v83, 0xffff, v88
	v_lshrrev_b32_e32 v85, 16, v88
	ds_load_2addr_b64 v[79:82], v95 offset0:192 offset1:224
	s_wait_dscnt 0x1
	v_pk_fma_f16 v64, v75, v84, v64
	v_pk_fma_f16 v63, v75, v87, v63
	;; [unrolled: 1-line block ×3, first 2 shown]
	v_mul_u32_u24_e32 v75, 0x10001, v83
	v_mul_u32_u24_e32 v88, 0x10001, v85
	ds_load_b128 v[83:86], v52 offset:288
	v_pk_fma_f16 v62, v76, v87, v62
	v_lshrrev_b32_e32 v76, 16, v89
	v_add_nc_u32_e32 v95, 0x4800, v38
	v_and_b32_e32 v91, 0xffff, v89
	v_pk_fma_f16 v64, v77, v75, v64
	v_pk_fma_f16 v63, v77, v88, v63
	;; [unrolled: 1-line block ×4, first 2 shown]
	v_mul_u32_u24_e32 v88, 0x10001, v76
	ds_load_2addr_b64 v[75:78], v95 offset1:32
	v_mul_u32_u24_e32 v87, 0x10001, v91
	v_and_b32_e32 v89, 0xffff, v90
	v_lshrrev_b32_e32 v90, 16, v90
	s_wait_dscnt 0x2
	v_pk_fma_f16 v63, v79, v88, v63
	v_pk_fma_f16 v62, v80, v88, v62
	;; [unrolled: 1-line block ×4, first 2 shown]
	v_mul_u32_u24_e32 v79, 0x10001, v89
	v_mul_u32_u24_e32 v80, 0x10001, v90
	ds_load_b128 v[87:90], v52 offset:304
	s_wait_dscnt 0x2
	v_and_b32_e32 v91, 0xffff, v83
	v_lshrrev_b32_e32 v83, 16, v83
	v_pk_fma_f16 v64, v81, v79, v64
	v_pk_fma_f16 v63, v81, v80, v63
	;; [unrolled: 1-line block ×3, first 2 shown]
	v_mul_u32_u24_e32 v79, 0x10001, v91
	v_mul_u32_u24_e32 v81, 0x10001, v83
	v_and_b32_e32 v83, 0xffff, v84
	ds_load_2addr_b64 v[91:94], v95 offset0:64 offset1:96
	v_pk_fma_f16 v62, v82, v80, v62
	v_lshrrev_b32_e32 v80, 16, v84
	s_wait_dscnt 0x2
	v_pk_fma_f16 v64, v75, v79, v64
	v_mul_u32_u24_e32 v82, 0x10001, v83
	v_pk_fma_f16 v63, v75, v81, v63
	v_pk_fma_f16 v66, v76, v79, v66
	v_mul_u32_u24_e32 v75, 0x10001, v80
	v_pk_fma_f16 v62, v76, v81, v62
	v_and_b32_e32 v76, 0xffff, v85
	v_pk_fma_f16 v64, v77, v82, v64
	v_lshrrev_b32_e32 v79, 16, v85
	v_pk_fma_f16 v63, v77, v75, v63
	v_pk_fma_f16 v66, v78, v82, v66
	;; [unrolled: 1-line block ×3, first 2 shown]
	v_mul_u32_u24_e32 v80, 0x10001, v76
	ds_load_2addr_b64 v[75:78], v95 offset0:128 offset1:160
	v_mul_u32_u24_e32 v79, 0x10001, v79
	v_and_b32_e32 v81, 0xffff, v86
	v_lshrrev_b32_e32 v82, 16, v86
	s_wait_dscnt 0x1
	v_pk_fma_f16 v64, v91, v80, v64
	v_pk_fma_f16 v66, v92, v80, v66
	;; [unrolled: 1-line block ×3, first 2 shown]
	v_mul_u32_u24_e32 v80, 0x10001, v81
	v_mul_u32_u24_e32 v83, 0x10001, v82
	v_pk_fma_f16 v62, v92, v79, v62
	v_and_b32_e32 v79, 0xffff, v87
	v_lshrrev_b32_e32 v81, 16, v87
	v_pk_fma_f16 v64, v93, v80, v64
	v_pk_fma_f16 v63, v93, v83, v63
	;; [unrolled: 1-line block ×3, first 2 shown]
	v_mul_u32_u24_e32 v84, 0x10001, v79
	v_mul_u32_u24_e32 v87, 0x10001, v81
	v_pk_fma_f16 v62, v94, v83, v62
	v_and_b32_e32 v83, 0xffff, v88
	v_lshrrev_b32_e32 v85, 16, v88
	ds_load_2addr_b64 v[79:82], v95 offset0:192 offset1:224
	s_wait_dscnt 0x1
	v_pk_fma_f16 v64, v75, v84, v64
	v_pk_fma_f16 v63, v75, v87, v63
	;; [unrolled: 1-line block ×3, first 2 shown]
	v_mul_u32_u24_e32 v75, 0x10001, v83
	v_mul_u32_u24_e32 v88, 0x10001, v85
	ds_load_b128 v[83:86], v52 offset:320
	v_pk_fma_f16 v62, v76, v87, v62
	v_lshrrev_b32_e32 v76, 16, v89
	v_add_nc_u32_e32 v95, 0x5000, v38
	v_and_b32_e32 v91, 0xffff, v89
	v_pk_fma_f16 v64, v77, v75, v64
	v_pk_fma_f16 v63, v77, v88, v63
	;; [unrolled: 1-line block ×4, first 2 shown]
	v_mul_u32_u24_e32 v88, 0x10001, v76
	ds_load_2addr_b64 v[75:78], v95 offset1:32
	v_mul_u32_u24_e32 v87, 0x10001, v91
	v_and_b32_e32 v89, 0xffff, v90
	v_lshrrev_b32_e32 v90, 16, v90
	s_wait_dscnt 0x2
	v_pk_fma_f16 v63, v79, v88, v63
	v_pk_fma_f16 v62, v80, v88, v62
	;; [unrolled: 1-line block ×4, first 2 shown]
	v_mul_u32_u24_e32 v79, 0x10001, v89
	v_mul_u32_u24_e32 v80, 0x10001, v90
	ds_load_b128 v[87:90], v52 offset:336
	s_wait_dscnt 0x2
	v_and_b32_e32 v91, 0xffff, v83
	v_lshrrev_b32_e32 v83, 16, v83
	v_pk_fma_f16 v64, v81, v79, v64
	v_pk_fma_f16 v63, v81, v80, v63
	;; [unrolled: 1-line block ×3, first 2 shown]
	v_mul_u32_u24_e32 v79, 0x10001, v91
	v_mul_u32_u24_e32 v81, 0x10001, v83
	v_and_b32_e32 v83, 0xffff, v84
	ds_load_2addr_b64 v[91:94], v95 offset0:64 offset1:96
	v_pk_fma_f16 v62, v82, v80, v62
	v_lshrrev_b32_e32 v80, 16, v84
	s_wait_dscnt 0x2
	v_pk_fma_f16 v64, v75, v79, v64
	v_mul_u32_u24_e32 v82, 0x10001, v83
	v_pk_fma_f16 v63, v75, v81, v63
	v_pk_fma_f16 v66, v76, v79, v66
	v_mul_u32_u24_e32 v75, 0x10001, v80
	v_pk_fma_f16 v62, v76, v81, v62
	v_and_b32_e32 v76, 0xffff, v85
	v_pk_fma_f16 v64, v77, v82, v64
	v_lshrrev_b32_e32 v79, 16, v85
	v_pk_fma_f16 v63, v77, v75, v63
	v_pk_fma_f16 v66, v78, v82, v66
	;; [unrolled: 1-line block ×3, first 2 shown]
	v_mul_u32_u24_e32 v80, 0x10001, v76
	ds_load_2addr_b64 v[75:78], v95 offset0:128 offset1:160
	v_mul_u32_u24_e32 v79, 0x10001, v79
	v_and_b32_e32 v81, 0xffff, v86
	v_lshrrev_b32_e32 v82, 16, v86
	s_wait_dscnt 0x1
	v_pk_fma_f16 v64, v91, v80, v64
	v_pk_fma_f16 v66, v92, v80, v66
	;; [unrolled: 1-line block ×3, first 2 shown]
	v_mul_u32_u24_e32 v80, 0x10001, v81
	v_mul_u32_u24_e32 v83, 0x10001, v82
	v_pk_fma_f16 v62, v92, v79, v62
	v_and_b32_e32 v79, 0xffff, v87
	v_lshrrev_b32_e32 v81, 16, v87
	v_pk_fma_f16 v64, v93, v80, v64
	v_pk_fma_f16 v63, v93, v83, v63
	;; [unrolled: 1-line block ×3, first 2 shown]
	v_mul_u32_u24_e32 v84, 0x10001, v79
	v_mul_u32_u24_e32 v87, 0x10001, v81
	v_pk_fma_f16 v62, v94, v83, v62
	v_and_b32_e32 v83, 0xffff, v88
	v_lshrrev_b32_e32 v85, 16, v88
	ds_load_2addr_b64 v[79:82], v95 offset0:192 offset1:224
	s_wait_dscnt 0x1
	v_pk_fma_f16 v64, v75, v84, v64
	v_pk_fma_f16 v63, v75, v87, v63
	;; [unrolled: 1-line block ×3, first 2 shown]
	v_mul_u32_u24_e32 v75, 0x10001, v83
	v_mul_u32_u24_e32 v88, 0x10001, v85
	ds_load_b128 v[83:86], v52 offset:352
	v_pk_fma_f16 v62, v76, v87, v62
	v_lshrrev_b32_e32 v76, 16, v89
	v_add_nc_u32_e32 v95, 0x5800, v38
	v_and_b32_e32 v91, 0xffff, v89
	v_pk_fma_f16 v64, v77, v75, v64
	v_pk_fma_f16 v63, v77, v88, v63
	v_pk_fma_f16 v66, v78, v75, v66
	v_pk_fma_f16 v62, v78, v88, v62
	v_mul_u32_u24_e32 v88, 0x10001, v76
	ds_load_2addr_b64 v[75:78], v95 offset1:32
	v_mul_u32_u24_e32 v87, 0x10001, v91
	v_and_b32_e32 v89, 0xffff, v90
	v_lshrrev_b32_e32 v90, 16, v90
	s_wait_dscnt 0x2
	v_pk_fma_f16 v63, v79, v88, v63
	v_pk_fma_f16 v62, v80, v88, v62
	;; [unrolled: 1-line block ×4, first 2 shown]
	v_mul_u32_u24_e32 v79, 0x10001, v89
	v_mul_u32_u24_e32 v80, 0x10001, v90
	ds_load_b128 v[87:90], v52 offset:368
	s_wait_dscnt 0x2
	v_and_b32_e32 v91, 0xffff, v83
	v_lshrrev_b32_e32 v83, 16, v83
	v_pk_fma_f16 v64, v81, v79, v64
	v_pk_fma_f16 v63, v81, v80, v63
	;; [unrolled: 1-line block ×3, first 2 shown]
	v_mul_u32_u24_e32 v79, 0x10001, v91
	v_mul_u32_u24_e32 v81, 0x10001, v83
	v_and_b32_e32 v83, 0xffff, v84
	ds_load_2addr_b64 v[91:94], v95 offset0:64 offset1:96
	v_pk_fma_f16 v62, v82, v80, v62
	v_lshrrev_b32_e32 v80, 16, v84
	s_wait_dscnt 0x2
	v_pk_fma_f16 v64, v75, v79, v64
	v_mul_u32_u24_e32 v82, 0x10001, v83
	v_pk_fma_f16 v63, v75, v81, v63
	v_pk_fma_f16 v66, v76, v79, v66
	v_mul_u32_u24_e32 v75, 0x10001, v80
	v_pk_fma_f16 v62, v76, v81, v62
	v_and_b32_e32 v76, 0xffff, v85
	v_pk_fma_f16 v64, v77, v82, v64
	v_lshrrev_b32_e32 v79, 16, v85
	v_pk_fma_f16 v63, v77, v75, v63
	v_pk_fma_f16 v66, v78, v82, v66
	;; [unrolled: 1-line block ×3, first 2 shown]
	v_mul_u32_u24_e32 v80, 0x10001, v76
	ds_load_2addr_b64 v[75:78], v95 offset0:128 offset1:160
	v_mul_u32_u24_e32 v79, 0x10001, v79
	v_and_b32_e32 v81, 0xffff, v86
	v_lshrrev_b32_e32 v82, 16, v86
	s_wait_dscnt 0x1
	v_pk_fma_f16 v64, v91, v80, v64
	v_pk_fma_f16 v66, v92, v80, v66
	;; [unrolled: 1-line block ×3, first 2 shown]
	v_mul_u32_u24_e32 v80, 0x10001, v81
	v_mul_u32_u24_e32 v83, 0x10001, v82
	v_pk_fma_f16 v62, v92, v79, v62
	v_and_b32_e32 v79, 0xffff, v87
	v_lshrrev_b32_e32 v81, 16, v87
	v_pk_fma_f16 v64, v93, v80, v64
	v_pk_fma_f16 v63, v93, v83, v63
	;; [unrolled: 1-line block ×3, first 2 shown]
	v_mul_u32_u24_e32 v84, 0x10001, v79
	v_mul_u32_u24_e32 v87, 0x10001, v81
	v_pk_fma_f16 v62, v94, v83, v62
	v_and_b32_e32 v83, 0xffff, v88
	v_lshrrev_b32_e32 v85, 16, v88
	ds_load_2addr_b64 v[79:82], v95 offset0:192 offset1:224
	s_wait_dscnt 0x1
	v_pk_fma_f16 v64, v75, v84, v64
	v_pk_fma_f16 v63, v75, v87, v63
	;; [unrolled: 1-line block ×3, first 2 shown]
	v_mul_u32_u24_e32 v75, 0x10001, v83
	v_mul_u32_u24_e32 v88, 0x10001, v85
	ds_load_b128 v[83:86], v52 offset:384
	v_pk_fma_f16 v62, v76, v87, v62
	v_lshrrev_b32_e32 v76, 16, v89
	v_add_nc_u32_e32 v95, 0x6000, v38
	v_and_b32_e32 v91, 0xffff, v89
	v_pk_fma_f16 v64, v77, v75, v64
	v_pk_fma_f16 v63, v77, v88, v63
	;; [unrolled: 1-line block ×4, first 2 shown]
	v_mul_u32_u24_e32 v88, 0x10001, v76
	ds_load_2addr_b64 v[75:78], v95 offset1:32
	v_mul_u32_u24_e32 v87, 0x10001, v91
	v_and_b32_e32 v89, 0xffff, v90
	v_lshrrev_b32_e32 v90, 16, v90
	s_wait_dscnt 0x2
	v_pk_fma_f16 v63, v79, v88, v63
	v_pk_fma_f16 v62, v80, v88, v62
	;; [unrolled: 1-line block ×4, first 2 shown]
	v_mul_u32_u24_e32 v79, 0x10001, v89
	v_mul_u32_u24_e32 v80, 0x10001, v90
	ds_load_b128 v[87:90], v52 offset:400
	s_wait_dscnt 0x2
	v_and_b32_e32 v91, 0xffff, v83
	v_lshrrev_b32_e32 v83, 16, v83
	v_pk_fma_f16 v64, v81, v79, v64
	v_pk_fma_f16 v63, v81, v80, v63
	;; [unrolled: 1-line block ×3, first 2 shown]
	v_mul_u32_u24_e32 v79, 0x10001, v91
	v_mul_u32_u24_e32 v81, 0x10001, v83
	v_and_b32_e32 v83, 0xffff, v84
	ds_load_2addr_b64 v[91:94], v95 offset0:64 offset1:96
	v_pk_fma_f16 v62, v82, v80, v62
	v_lshrrev_b32_e32 v80, 16, v84
	s_wait_dscnt 0x2
	v_pk_fma_f16 v64, v75, v79, v64
	v_mul_u32_u24_e32 v82, 0x10001, v83
	v_pk_fma_f16 v63, v75, v81, v63
	v_pk_fma_f16 v66, v76, v79, v66
	v_mul_u32_u24_e32 v75, 0x10001, v80
	v_pk_fma_f16 v62, v76, v81, v62
	v_and_b32_e32 v76, 0xffff, v85
	v_pk_fma_f16 v64, v77, v82, v64
	v_lshrrev_b32_e32 v79, 16, v85
	v_pk_fma_f16 v63, v77, v75, v63
	v_pk_fma_f16 v66, v78, v82, v66
	v_pk_fma_f16 v62, v78, v75, v62
	v_mul_u32_u24_e32 v80, 0x10001, v76
	ds_load_2addr_b64 v[75:78], v95 offset0:128 offset1:160
	v_mul_u32_u24_e32 v79, 0x10001, v79
	v_and_b32_e32 v81, 0xffff, v86
	v_lshrrev_b32_e32 v82, 16, v86
	s_wait_dscnt 0x1
	v_pk_fma_f16 v64, v91, v80, v64
	v_pk_fma_f16 v66, v92, v80, v66
	;; [unrolled: 1-line block ×3, first 2 shown]
	v_mul_u32_u24_e32 v80, 0x10001, v81
	v_mul_u32_u24_e32 v83, 0x10001, v82
	v_pk_fma_f16 v62, v92, v79, v62
	v_and_b32_e32 v79, 0xffff, v87
	v_lshrrev_b32_e32 v81, 16, v87
	v_pk_fma_f16 v64, v93, v80, v64
	v_pk_fma_f16 v63, v93, v83, v63
	;; [unrolled: 1-line block ×3, first 2 shown]
	v_mul_u32_u24_e32 v84, 0x10001, v79
	v_mul_u32_u24_e32 v87, 0x10001, v81
	v_pk_fma_f16 v62, v94, v83, v62
	v_and_b32_e32 v83, 0xffff, v88
	v_lshrrev_b32_e32 v85, 16, v88
	ds_load_2addr_b64 v[79:82], v95 offset0:192 offset1:224
	s_wait_dscnt 0x1
	v_pk_fma_f16 v64, v75, v84, v64
	v_pk_fma_f16 v63, v75, v87, v63
	;; [unrolled: 1-line block ×3, first 2 shown]
	v_mul_u32_u24_e32 v75, 0x10001, v83
	v_mul_u32_u24_e32 v88, 0x10001, v85
	ds_load_b128 v[83:86], v52 offset:416
	v_pk_fma_f16 v62, v76, v87, v62
	v_lshrrev_b32_e32 v76, 16, v89
	v_add_nc_u32_e32 v95, 0x6800, v38
	v_and_b32_e32 v91, 0xffff, v89
	v_pk_fma_f16 v64, v77, v75, v64
	v_pk_fma_f16 v63, v77, v88, v63
	;; [unrolled: 1-line block ×4, first 2 shown]
	v_mul_u32_u24_e32 v88, 0x10001, v76
	ds_load_2addr_b64 v[75:78], v95 offset1:32
	v_mul_u32_u24_e32 v87, 0x10001, v91
	v_and_b32_e32 v89, 0xffff, v90
	v_lshrrev_b32_e32 v90, 16, v90
	s_wait_dscnt 0x2
	v_pk_fma_f16 v63, v79, v88, v63
	v_pk_fma_f16 v62, v80, v88, v62
	;; [unrolled: 1-line block ×4, first 2 shown]
	v_mul_u32_u24_e32 v79, 0x10001, v89
	v_mul_u32_u24_e32 v80, 0x10001, v90
	ds_load_b128 v[87:90], v52 offset:432
	s_wait_dscnt 0x2
	v_and_b32_e32 v91, 0xffff, v83
	v_lshrrev_b32_e32 v83, 16, v83
	v_pk_fma_f16 v64, v81, v79, v64
	v_pk_fma_f16 v63, v81, v80, v63
	;; [unrolled: 1-line block ×3, first 2 shown]
	v_mul_u32_u24_e32 v79, 0x10001, v91
	v_mul_u32_u24_e32 v81, 0x10001, v83
	v_and_b32_e32 v83, 0xffff, v84
	ds_load_2addr_b64 v[91:94], v95 offset0:64 offset1:96
	v_pk_fma_f16 v62, v82, v80, v62
	v_lshrrev_b32_e32 v80, 16, v84
	s_wait_dscnt 0x2
	v_pk_fma_f16 v64, v75, v79, v64
	v_mul_u32_u24_e32 v82, 0x10001, v83
	v_pk_fma_f16 v63, v75, v81, v63
	v_pk_fma_f16 v66, v76, v79, v66
	v_mul_u32_u24_e32 v75, 0x10001, v80
	v_pk_fma_f16 v62, v76, v81, v62
	v_and_b32_e32 v76, 0xffff, v85
	v_pk_fma_f16 v64, v77, v82, v64
	v_lshrrev_b32_e32 v79, 16, v85
	v_pk_fma_f16 v63, v77, v75, v63
	v_pk_fma_f16 v66, v78, v82, v66
	;; [unrolled: 1-line block ×3, first 2 shown]
	v_mul_u32_u24_e32 v80, 0x10001, v76
	ds_load_2addr_b64 v[75:78], v95 offset0:128 offset1:160
	v_mul_u32_u24_e32 v79, 0x10001, v79
	v_and_b32_e32 v81, 0xffff, v86
	v_lshrrev_b32_e32 v82, 16, v86
	s_wait_dscnt 0x1
	v_pk_fma_f16 v64, v91, v80, v64
	v_pk_fma_f16 v66, v92, v80, v66
	;; [unrolled: 1-line block ×3, first 2 shown]
	v_mul_u32_u24_e32 v80, 0x10001, v81
	v_mul_u32_u24_e32 v83, 0x10001, v82
	v_pk_fma_f16 v62, v92, v79, v62
	v_and_b32_e32 v79, 0xffff, v87
	v_lshrrev_b32_e32 v81, 16, v87
	v_pk_fma_f16 v64, v93, v80, v64
	v_pk_fma_f16 v63, v93, v83, v63
	;; [unrolled: 1-line block ×3, first 2 shown]
	v_mul_u32_u24_e32 v84, 0x10001, v79
	v_mul_u32_u24_e32 v87, 0x10001, v81
	v_pk_fma_f16 v62, v94, v83, v62
	v_and_b32_e32 v83, 0xffff, v88
	v_lshrrev_b32_e32 v85, 16, v88
	ds_load_2addr_b64 v[79:82], v95 offset0:192 offset1:224
	s_wait_dscnt 0x1
	v_pk_fma_f16 v64, v75, v84, v64
	v_pk_fma_f16 v63, v75, v87, v63
	;; [unrolled: 1-line block ×3, first 2 shown]
	v_mul_u32_u24_e32 v75, 0x10001, v83
	v_mul_u32_u24_e32 v88, 0x10001, v85
	ds_load_b128 v[83:86], v52 offset:448
	v_pk_fma_f16 v62, v76, v87, v62
	v_lshrrev_b32_e32 v76, 16, v89
	v_add_nc_u32_e32 v95, 0x7000, v38
	v_and_b32_e32 v91, 0xffff, v89
	v_pk_fma_f16 v64, v77, v75, v64
	v_pk_fma_f16 v63, v77, v88, v63
	;; [unrolled: 1-line block ×4, first 2 shown]
	v_mul_u32_u24_e32 v88, 0x10001, v76
	ds_load_2addr_b64 v[75:78], v95 offset1:32
	v_mul_u32_u24_e32 v87, 0x10001, v91
	v_and_b32_e32 v89, 0xffff, v90
	v_lshrrev_b32_e32 v90, 16, v90
	s_wait_dscnt 0x2
	v_pk_fma_f16 v63, v79, v88, v63
	v_pk_fma_f16 v62, v80, v88, v62
	;; [unrolled: 1-line block ×4, first 2 shown]
	v_mul_u32_u24_e32 v79, 0x10001, v89
	v_mul_u32_u24_e32 v80, 0x10001, v90
	ds_load_b128 v[87:90], v52 offset:464
	s_wait_dscnt 0x2
	v_and_b32_e32 v91, 0xffff, v83
	v_lshrrev_b32_e32 v83, 16, v83
	v_pk_fma_f16 v64, v81, v79, v64
	v_pk_fma_f16 v63, v81, v80, v63
	;; [unrolled: 1-line block ×3, first 2 shown]
	v_mul_u32_u24_e32 v79, 0x10001, v91
	v_mul_u32_u24_e32 v81, 0x10001, v83
	v_and_b32_e32 v83, 0xffff, v84
	ds_load_2addr_b64 v[91:94], v95 offset0:64 offset1:96
	v_pk_fma_f16 v62, v82, v80, v62
	v_lshrrev_b32_e32 v80, 16, v84
	s_wait_dscnt 0x2
	v_pk_fma_f16 v64, v75, v79, v64
	v_mul_u32_u24_e32 v82, 0x10001, v83
	v_pk_fma_f16 v63, v75, v81, v63
	v_pk_fma_f16 v66, v76, v79, v66
	v_mul_u32_u24_e32 v75, 0x10001, v80
	v_pk_fma_f16 v62, v76, v81, v62
	v_and_b32_e32 v76, 0xffff, v85
	v_pk_fma_f16 v64, v77, v82, v64
	v_lshrrev_b32_e32 v79, 16, v85
	v_pk_fma_f16 v63, v77, v75, v63
	v_pk_fma_f16 v66, v78, v82, v66
	;; [unrolled: 1-line block ×3, first 2 shown]
	v_mul_u32_u24_e32 v80, 0x10001, v76
	ds_load_2addr_b64 v[75:78], v95 offset0:128 offset1:160
	v_mul_u32_u24_e32 v79, 0x10001, v79
	v_and_b32_e32 v81, 0xffff, v86
	v_lshrrev_b32_e32 v82, 16, v86
	s_wait_dscnt 0x1
	v_pk_fma_f16 v64, v91, v80, v64
	v_pk_fma_f16 v66, v92, v80, v66
	;; [unrolled: 1-line block ×3, first 2 shown]
	v_mul_u32_u24_e32 v80, 0x10001, v81
	v_mul_u32_u24_e32 v83, 0x10001, v82
	v_pk_fma_f16 v62, v92, v79, v62
	v_and_b32_e32 v79, 0xffff, v87
	v_lshrrev_b32_e32 v81, 16, v87
	v_pk_fma_f16 v64, v93, v80, v64
	v_pk_fma_f16 v63, v93, v83, v63
	;; [unrolled: 1-line block ×3, first 2 shown]
	v_mul_u32_u24_e32 v84, 0x10001, v79
	v_mul_u32_u24_e32 v87, 0x10001, v81
	v_pk_fma_f16 v62, v94, v83, v62
	v_and_b32_e32 v83, 0xffff, v88
	v_lshrrev_b32_e32 v85, 16, v88
	ds_load_2addr_b64 v[79:82], v95 offset0:192 offset1:224
	s_wait_dscnt 0x1
	v_pk_fma_f16 v64, v75, v84, v64
	v_pk_fma_f16 v63, v75, v87, v63
	;; [unrolled: 1-line block ×3, first 2 shown]
	v_mul_u32_u24_e32 v75, 0x10001, v83
	v_mul_u32_u24_e32 v88, 0x10001, v85
	ds_load_b128 v[83:86], v52 offset:480
	v_and_b32_e32 v91, 0xffff, v89
	v_pk_fma_f16 v62, v76, v87, v62
	v_lshrrev_b32_e32 v76, 16, v89
	v_add_nc_u32_e32 v95, 0x7800, v38
	v_pk_fma_f16 v64, v77, v75, v64
	v_pk_fma_f16 v63, v77, v88, v63
	v_mul_u32_u24_e32 v87, 0x10001, v91
	v_pk_fma_f16 v66, v78, v75, v66
	v_pk_fma_f16 v62, v78, v88, v62
	v_mul_u32_u24_e32 v88, 0x10001, v76
	ds_load_2addr_b64 v[75:78], v95 offset1:32
	v_and_b32_e32 v89, 0xffff, v90
	v_lshrrev_b32_e32 v90, 16, v90
	s_wait_dscnt 0x2
	v_pk_fma_f16 v64, v79, v87, v64
	v_pk_fma_f16 v63, v79, v88, v63
	;; [unrolled: 1-line block ×4, first 2 shown]
	v_mul_u32_u24_e32 v79, 0x10001, v89
	v_mul_u32_u24_e32 v80, 0x10001, v90
	ds_load_b128 v[87:90], v52 offset:496
	s_wait_dscnt 0x2
	v_and_b32_e32 v91, 0xffff, v83
	v_lshrrev_b32_e32 v83, 16, v83
	v_pk_fma_f16 v64, v81, v79, v64
	v_pk_fma_f16 v66, v82, v79, v66
	;; [unrolled: 1-line block ×3, first 2 shown]
	v_mul_u32_u24_e32 v79, 0x10001, v91
	ds_load_2addr_b64 v[91:94], v95 offset0:64 offset1:96
	v_mul_u32_u24_e32 v81, 0x10001, v83
	v_and_b32_e32 v83, 0xffff, v84
	v_pk_fma_f16 v62, v82, v80, v62
	v_lshrrev_b32_e32 v80, 16, v84
	s_wait_dscnt 0x2
	v_pk_fma_f16 v64, v75, v79, v64
	v_pk_fma_f16 v63, v75, v81, v63
	v_mul_u32_u24_e32 v75, 0x10001, v83
	v_pk_fma_f16 v66, v76, v79, v66
	v_mul_u32_u24_e32 v83, 0x10001, v80
	v_pk_fma_f16 v62, v76, v81, v62
	v_and_b32_e32 v76, 0xffff, v85
	v_lshrrev_b32_e32 v84, 16, v85
	ds_load_2addr_b64 v[79:82], v95 offset0:128 offset1:160
	v_pk_fma_f16 v64, v77, v75, v64
	v_pk_fma_f16 v63, v77, v83, v63
	;; [unrolled: 1-line block ×3, first 2 shown]
	v_mul_u32_u24_e32 v75, 0x10001, v76
	v_mul_u32_u24_e32 v76, 0x10001, v84
	v_pk_fma_f16 v62, v78, v83, v62
	v_and_b32_e32 v77, 0xffff, v86
	v_lshrrev_b32_e32 v78, 16, v86
	s_wait_dscnt 0x1
	v_pk_fma_f16 v64, v91, v75, v64
	v_pk_fma_f16 v63, v91, v76, v63
	;; [unrolled: 1-line block ×3, first 2 shown]
	v_mul_u32_u24_e32 v77, 0x10001, v77
	v_mul_u32_u24_e32 v78, 0x10001, v78
	v_and_b32_e32 v75, 0xffff, v87
	v_lshrrev_b32_e32 v83, 16, v87
	v_pk_fma_f16 v62, v92, v76, v62
	v_pk_fma_f16 v64, v93, v77, v64
	;; [unrolled: 1-line block ×3, first 2 shown]
	v_mul_u32_u24_e32 v76, 0x10001, v75
	v_mul_u32_u24_e32 v83, 0x10001, v83
	v_add_f32_e32 v75, v68, v65
	v_pk_fma_f16 v68, v94, v77, v66
	v_pk_fma_f16 v62, v94, v78, v62
	s_wait_dscnt 0x0
	v_pk_fma_f16 v77, v79, v76, v64
	v_pk_fma_f16 v78, v79, v83, v63
	ds_load_2addr_b64 v[63:66], v95 offset0:192 offset1:224
	s_wait_loadcnt_dscnt 0x0
	s_barrier_signal -1
	s_barrier_wait -1
	global_inv scope:SCOPE_SE
	s_load_b32 s11, s[24:25], 0x4
	v_and_b32_e32 v79, 0xffff, v88
	v_lshrrev_b32_e32 v84, 16, v88
	v_pk_fma_f16 v68, v80, v76, v68
	v_pk_fma_f16 v62, v80, v83, v62
	v_and_b32_e32 v80, 0xffff, v89
	v_mul_u32_u24_e32 v76, 0x10001, v79
	v_mul_u32_u24_e32 v79, 0x10001, v84
	v_lshrrev_b32_e32 v83, 16, v89
	v_fmac_f32_e32 v75, v61, v67
	s_delay_alu instid0(VALU_DEP_4) | instskip(NEXT) | instid1(VALU_DEP_4)
	v_pk_fma_f16 v77, v81, v76, v77
	v_pk_fma_f16 v78, v81, v79, v78
	;; [unrolled: 1-line block ×3, first 2 shown]
	v_mul_u32_u24_e32 v76, 0x10001, v80
	v_mul_u32_u24_e32 v80, 0x10001, v83
	v_and_b32_e32 v81, 0xffff, v90
	v_lshrrev_b32_e32 v83, 16, v90
	v_pk_fma_f16 v62, v82, v79, v62
	v_pk_fma_f16 v77, v63, v76, v77
	;; [unrolled: 1-line block ×3, first 2 shown]
	v_mul_u32_u24_e32 v78, 0x10001, v81
	v_mul_u32_u24_e32 v79, 0x10001, v83
	v_pk_fma_f16 v68, v64, v76, v68
	v_pk_fma_f16 v61, v64, v80, v62
	s_wait_kmcnt 0x0
	s_lshl_b32 s11, s11, 7
	v_pk_fma_f16 v64, v65, v78, v77
	v_pk_fma_f16 v63, v65, v79, v63
	;; [unrolled: 1-line block ×4, first 2 shown]
	s_wait_alu 0xfffe
	s_add_co_i32 s10, s11, s10
	s_wait_alu 0xfffe
	s_cmp_ge_i32 s10, s30
	s_cbranch_scc1 .LBB82_43
; %bb.42:                               ;   in Loop: Header=BB82_9 Depth=1
	v_dual_mov_b32 v68, v35 :: v_dual_mov_b32 v67, v36
	v_dual_mov_b32 v66, v74 :: v_dual_mov_b32 v61, v75
	s_branch .LBB82_9
.LBB82_43:
	v_mov_b32_e32 v5, v40
.LBB82_44:
	v_cmp_lt_i32_e32 vcc_lo, v73, v41
	s_cmp_lg_u64 s[12:13], 0
	s_cselect_b32 s3, -1, 0
	s_cmp_eq_u32 s4, 0
	s_wait_alu 0xfffd
	v_cndmask_b32_e32 v2, v5, v73, vcc_lo
	v_cmp_lt_i32_e32 vcc_lo, v69, v41
	s_cselect_b32 s5, -1, 0
	s_wait_alu 0xfffe
	s_and_b32 s3, s5, s3
	s_wait_alu 0xfffd
	v_cndmask_b32_e32 v4, v5, v69, vcc_lo
	v_cmp_lt_i32_e32 vcc_lo, v70, v41
	s_wait_alu 0xfffd
	v_cndmask_b32_e32 v7, v5, v70, vcc_lo
	v_cmp_lt_i32_e32 vcc_lo, v71, v41
	v_lshlrev_b32_e32 v2, 2, v2
	s_delay_alu instid0(VALU_DEP_3)
	v_lshlrev_b32_e32 v7, 2, v7
	ds_bpermute_b32 v3, v2, v74
	ds_bpermute_b32 v2, v2, v75
	s_wait_dscnt 0x1
	v_dual_add_f32 v3, v74, v3 :: v_dual_lshlrev_b32 v4, 2, v4
	s_wait_dscnt 0x0
	v_add_f32_e32 v2, v75, v2
	ds_bpermute_b32 v6, v4, v3
	s_wait_dscnt 0x0
	v_add_f32_e32 v3, v3, v6
	ds_bpermute_b32 v4, v4, v2
	;; [unrolled: 3-line block ×3, first 2 shown]
	ds_bpermute_b32 v6, v7, v2
	s_wait_alu 0xfffd
	v_cndmask_b32_e32 v7, v5, v71, vcc_lo
	v_cmp_lt_i32_e32 vcc_lo, v72, v41
	s_delay_alu instid0(VALU_DEP_2)
	v_lshlrev_b32_e32 v7, 2, v7
	s_wait_dscnt 0x0
	v_dual_add_f32 v3, v3, v4 :: v_dual_add_f32 v2, v2, v6
	ds_bpermute_b32 v4, v7, v3
	ds_bpermute_b32 v6, v7, v2
	s_wait_alu 0xfffd
	v_cndmask_b32_e32 v5, v5, v72, vcc_lo
	s_wait_alu 0xfffe
	s_and_b32 vcc_lo, exec_lo, s3
	s_wait_dscnt 0x0
	v_dual_add_f32 v3, v3, v4 :: v_dual_add_f32 v4, v2, v6
	v_lshlrev_b32_e32 v5, 2, v5
	ds_bpermute_b32 v2, v5, v3
	s_wait_dscnt 0x0
	v_add_f32_e32 v2, v3, v2
	ds_bpermute_b32 v5, v5, v4
	s_wait_dscnt 0x0
	v_add_f32_e32 v3, v4, v5
	s_wait_alu 0xfffe
	s_cbranch_vccz .LBB82_47
; %bb.45:
	s_ashr_i32 s29, s28, 31
	v_mov_b32_e32 v4, 0
	s_lshl_b64 s[6:7], s[28:29], 2
	s_delay_alu instid0(SALU_CYCLE_1)
	s_add_nc_u64 s[6:7], s[12:13], s[6:7]
	global_load_b64 v[4:5], v4, s[6:7]
	v_max_num_f32_e32 v6, v35, v35
	v_max_num_f32_e32 v8, v36, v36
	s_wait_loadcnt 0x0
	v_max_num_f32_e32 v7, v4, v4
	s_delay_alu instid0(VALU_DEP_1) | instskip(NEXT) | instid1(VALU_DEP_1)
	v_dual_max_num_f32 v9, v5, v5 :: v_dual_max_num_f32 v6, v6, v7
	v_dual_max_num_f32 v7, v8, v9 :: v_dual_sub_f32 v8, v35, v6
	s_delay_alu instid0(VALU_DEP_1) | instskip(SKIP_2) | instid1(VALU_DEP_4)
	v_sub_f32_e32 v9, v36, v7
	v_dual_sub_f32 v5, v5, v7 :: v_dual_sub_f32 v4, v4, v6
	v_mov_b32_e32 v36, v7
	v_cmp_ngt_f32_e32 vcc_lo, 0xc2ce8ed0, v8
	s_delay_alu instid0(VALU_DEP_4) | instskip(NEXT) | instid1(VALU_DEP_4)
	v_mul_f32_e32 v12, 0x3fb8aa3b, v9
	v_mul_f32_e32 v13, 0x3fb8aa3b, v5
	;; [unrolled: 1-line block ×3, first 2 shown]
	v_mov_b32_e32 v35, v6
	s_delay_alu instid0(VALU_DEP_4) | instskip(SKIP_1) | instid1(VALU_DEP_4)
	v_fma_f32 v17, 0x3fb8aa3b, v9, -v12
	v_rndne_f32_e32 v18, v12
	v_rndne_f32_e32 v19, v11
	v_mul_f32_e32 v10, 0x3fb8aa3b, v8
	v_fma_f32 v16, 0x3fb8aa3b, v4, -v11
	v_fma_f32 v20, 0x3fb8aa3b, v5, -v13
	v_rndne_f32_e32 v21, v13
	v_sub_f32_e32 v11, v11, v19
	v_fma_f32 v14, 0x3fb8aa3b, v8, -v10
	v_rndne_f32_e32 v15, v10
	v_dual_fmac_f32 v17, 0x32a5705f, v9 :: v_dual_fmac_f32 v16, 0x32a5705f, v4
	v_sub_f32_e32 v12, v12, v18
	s_delay_alu instid0(VALU_DEP_4) | instskip(NEXT) | instid1(VALU_DEP_4)
	v_fmac_f32_e32 v14, 0x32a5705f, v8
	v_dual_sub_f32 v10, v10, v15 :: v_dual_sub_f32 v13, v13, v21
	s_delay_alu instid0(VALU_DEP_4) | instskip(NEXT) | instid1(VALU_DEP_4)
	v_dual_fmac_f32 v20, 0x32a5705f, v5 :: v_dual_add_f32 v11, v11, v16
	v_add_f32_e32 v12, v12, v17
	s_delay_alu instid0(VALU_DEP_3) | instskip(SKIP_1) | instid1(VALU_DEP_4)
	v_add_f32_e32 v10, v10, v14
	v_cvt_i32_f32_e32 v14, v15
	v_add_f32_e32 v13, v13, v20
	v_cvt_i32_f32_e32 v15, v18
	v_exp_f32_e32 v12, v12
	v_exp_f32_e32 v10, v10
	;; [unrolled: 1-line block ×3, first 2 shown]
	v_cvt_i32_f32_e32 v16, v19
	v_exp_f32_e32 v13, v13
	v_ldexp_f32 v12, v12, v15
	s_delay_alu instid0(TRANS32_DEP_3) | instskip(SKIP_1) | instid1(TRANS32_DEP_2)
	v_ldexp_f32 v10, v10, v14
	v_cvt_i32_f32_e32 v14, v21
	v_ldexp_f32 v11, v11, v16
	s_wait_alu 0xfffd
	s_delay_alu instid0(VALU_DEP_3)
	v_cndmask_b32_e32 v10, 0, v10, vcc_lo
	v_cmp_ngt_f32_e32 vcc_lo, 0xc2ce8ed0, v9
	s_wait_alu 0xfffd
	v_cndmask_b32_e32 v12, 0, v12, vcc_lo
	v_cmp_nlt_f32_e32 vcc_lo, 0x42b17218, v8
	s_wait_alu 0xfffd
	v_cndmask_b32_e32 v8, 0x7f800000, v10, vcc_lo
	v_cmp_nlt_f32_e32 vcc_lo, 0x42b17218, v9
	v_ldexp_f32 v10, v13, v14
	s_wait_alu 0xfffd
	v_cndmask_b32_e32 v9, 0x7f800000, v12, vcc_lo
	v_cmp_ngt_f32_e32 vcc_lo, 0xc2ce8ed0, v4
	s_wait_alu 0xfffd
	v_cndmask_b32_e32 v11, 0, v11, vcc_lo
	v_cmp_ngt_f32_e32 vcc_lo, 0xc2ce8ed0, v5
	s_wait_alu 0xfffd
	v_cndmask_b32_e32 v10, 0, v10, vcc_lo
	v_cmp_nlt_f32_e32 vcc_lo, 0x42b17218, v4
	s_wait_alu 0xfffd
	v_cndmask_b32_e32 v4, 0x7f800000, v11, vcc_lo
	v_cmp_nlt_f32_e32 vcc_lo, 0x42b17218, v5
	s_wait_alu 0xfffd
	v_cndmask_b32_e32 v5, 0x7f800000, v10, vcc_lo
	s_delay_alu instid0(VALU_DEP_1) | instskip(NEXT) | instid1(VALU_DEP_1)
	v_fmac_f32_e32 v5, v3, v9
	v_dual_mov_b32 v3, v5 :: v_dual_fmac_f32 v4, v2, v8
	v_cvt_f16_f32_e32 v12, v8
	s_delay_alu instid0(VALU_DEP_2) | instskip(SKIP_1) | instid1(VALU_DEP_3)
	v_mov_b32_e32 v2, v4
	v_cvt_f16_f32_e32 v13, v9
	v_and_b32_e32 v11, 0xffff, v12
	s_delay_alu instid0(VALU_DEP_2) | instskip(NEXT) | instid1(VALU_DEP_2)
	v_and_b32_e32 v12, 0xffff, v13
	v_mul_u32_u24_e32 v8, 0x10001, v11
	s_delay_alu instid0(VALU_DEP_2) | instskip(NEXT) | instid1(VALU_DEP_2)
	v_mul_u32_u24_e32 v6, 0x10001, v12
	v_pk_mul_f16 v64, v64, v8
	v_pk_mul_f16 v65, v65, v8
	s_delay_alu instid0(VALU_DEP_3)
	v_pk_mul_f16 v63, v63, v6
	v_pk_mul_f16 v62, v62, v6
	s_mov_b32 s3, exec_lo
	v_cmpx_gt_i32_e64 s22, v1
	s_cbranch_execnz .LBB82_48
.LBB82_46:
	s_nop 0
	s_sendmsg sendmsg(MSG_DEALLOC_VGPRS)
	s_endpgm
.LBB82_47:
	s_delay_alu instid0(VALU_DEP_1)
	v_dual_mov_b32 v5, v3 :: v_dual_mov_b32 v4, v2
	s_mov_b32 s3, exec_lo
	v_cmpx_gt_i32_e64 s22, v1
	s_cbranch_execz .LBB82_46
.LBB82_48:
	s_load_b32 s1, s[0:1], 0xd4
	v_mov_b32_e32 v6, 1.0
	s_wait_kmcnt 0x0
	s_cmp_lg_u32 s1, 1
	s_cselect_b32 s5, -1, 0
	s_cmp_eq_u32 s1, 1
	s_cselect_b32 s3, -1, 0
	s_wait_alu 0xfffe
	s_and_b32 vcc_lo, exec_lo, s5
	s_wait_alu 0xfffe
	s_cbranch_vccnz .LBB82_50
; %bb.49:
	v_div_scale_f32 v6, null, v2, v2, 1.0
	s_delay_alu instid0(VALU_DEP_1) | instskip(NEXT) | instid1(TRANS32_DEP_1)
	v_rcp_f32_e32 v7, v6
	v_fma_f32 v8, -v6, v7, 1.0
	s_delay_alu instid0(VALU_DEP_1) | instskip(SKIP_1) | instid1(VALU_DEP_1)
	v_fmac_f32_e32 v7, v8, v7
	v_div_scale_f32 v8, vcc_lo, 1.0, v2, 1.0
	v_mul_f32_e32 v9, v8, v7
	s_delay_alu instid0(VALU_DEP_1) | instskip(NEXT) | instid1(VALU_DEP_1)
	v_fma_f32 v10, -v6, v9, v8
	v_fmac_f32_e32 v9, v10, v7
	s_delay_alu instid0(VALU_DEP_1) | instskip(SKIP_1) | instid1(VALU_DEP_1)
	v_fma_f32 v6, -v6, v9, v8
	s_wait_alu 0xfffd
	v_div_fmas_f32 v6, v6, v7, v9
	s_delay_alu instid0(VALU_DEP_1)
	v_div_fixup_f32 v6, v6, v2, 1.0
.LBB82_50:
	v_mad_co_u64_u32 v[1:2], null, s2, s22, v[1:2]
	v_cvt_f32_f16_e32 v9, v64
	v_mov_b32_e32 v8, 0
	v_cmp_eq_u32_e32 vcc_lo, 0, v0
	v_lshrrev_b32_e32 v0, 16, v64
	v_cvt_f32_f16_e32 v10, v65
	v_mad_co_u64_u32 v[1:2], null, v1, s23, s[28:29]
	s_delay_alu instid0(VALU_DEP_3) | instskip(NEXT) | instid1(VALU_DEP_2)
	v_cvt_f32_f16_e32 v0, v0
	v_mad_co_u64_u32 v[1:2], null, s1, v1, s[4:5]
	v_lshrrev_b32_e32 v2, 16, v65
	s_delay_alu instid0(VALU_DEP_1) | instskip(NEXT) | instid1(VALU_DEP_3)
	v_cvt_f32_f16_e32 v2, v2
	v_lshl_add_u32 v7, v1, 7, v37
	s_delay_alu instid0(VALU_DEP_1)
	v_lshlrev_b64_e32 v[11:12], 2, v[7:8]
	v_mul_f32_e32 v7, v6, v9
	v_mul_f32_e32 v9, v6, v10
	;; [unrolled: 1-line block ×4, first 2 shown]
	v_add_co_u32 v11, s0, s16, v11
	s_wait_alu 0xf1ff
	v_add_co_ci_u32_e64 v12, null, s17, v12, s0
	s_and_b32 s0, vcc_lo, s5
	global_store_b128 v[11:12], v[7:10], off
	s_wait_alu 0xfffe
	s_and_saveexec_b32 s2, s0
	s_cbranch_execz .LBB82_52
; %bb.51:
	v_ashrrev_i32_e32 v2, 31, v1
	v_dual_mov_b32 v8, v35 :: v_dual_mov_b32 v9, v4
	s_delay_alu instid0(VALU_DEP_2) | instskip(NEXT) | instid1(VALU_DEP_1)
	v_lshlrev_b64_e32 v[6:7], 3, v[1:2]
	v_add_co_u32 v6, vcc_lo, s18, v6
	s_wait_alu 0xfffd
	s_delay_alu instid0(VALU_DEP_2)
	v_add_co_ci_u32_e64 v7, null, s19, v7, vcc_lo
	global_store_b64 v[6:7], v[8:9], off
.LBB82_52:
	s_wait_alu 0xfffe
	s_or_b32 exec_lo, exec_lo, s2
	v_mov_b32_e32 v2, 1.0
	s_and_not1_b32 vcc_lo, exec_lo, s3
	s_wait_alu 0xfffe
	s_cbranch_vccnz .LBB82_54
; %bb.53:
	v_div_scale_f32 v0, null, v3, v3, 1.0
	s_delay_alu instid0(VALU_DEP_1) | instskip(NEXT) | instid1(TRANS32_DEP_1)
	v_rcp_f32_e32 v2, v0
	v_fma_f32 v4, -v0, v2, 1.0
	s_delay_alu instid0(VALU_DEP_1) | instskip(SKIP_1) | instid1(VALU_DEP_1)
	v_fmac_f32_e32 v2, v4, v2
	v_div_scale_f32 v4, vcc_lo, 1.0, v3, 1.0
	v_mul_f32_e32 v6, v4, v2
	s_delay_alu instid0(VALU_DEP_1) | instskip(NEXT) | instid1(VALU_DEP_1)
	v_fma_f32 v7, -v0, v6, v4
	v_fmac_f32_e32 v6, v7, v2
	s_delay_alu instid0(VALU_DEP_1) | instskip(SKIP_1) | instid1(VALU_DEP_1)
	v_fma_f32 v0, -v0, v6, v4
	s_wait_alu 0xfffd
	v_div_fmas_f32 v0, v0, v2, v6
	s_delay_alu instid0(VALU_DEP_1)
	v_div_fixup_f32 v2, v0, v3, 1.0
.LBB82_54:
	v_add_nc_u32_e32 v0, s1, v1
	v_lshrrev_b32_e32 v1, 16, v63
	v_lshrrev_b32_e32 v6, 16, v62
	v_cvt_f32_f16_e32 v7, v63
	v_cvt_f32_f16_e32 v8, v62
	v_lshl_add_u32 v3, v0, 7, v37
	v_cvt_f32_f16_e32 v1, v1
	v_mov_b32_e32 v4, 0
	v_cvt_f32_f16_e32 v9, v6
	v_mul_f32_e32 v6, v2, v7
	v_mul_f32_e32 v8, v2, v8
	;; [unrolled: 1-line block ×3, first 2 shown]
	v_lshlrev_b64_e32 v[3:4], 2, v[3:4]
	v_mul_f32_e32 v9, v2, v9
	s_delay_alu instid0(VALU_DEP_2) | instskip(SKIP_1) | instid1(VALU_DEP_3)
	v_add_co_u32 v1, vcc_lo, s16, v3
	s_wait_alu 0xfffd
	v_add_co_ci_u32_e64 v2, null, s17, v4, vcc_lo
	global_store_b128 v[1:2], v[6:9], off
	s_and_b32 exec_lo, exec_lo, s0
	s_cbranch_execz .LBB82_46
; %bb.55:
	v_ashrrev_i32_e32 v1, 31, v0
	v_mov_b32_e32 v4, v36
	s_delay_alu instid0(VALU_DEP_2) | instskip(NEXT) | instid1(VALU_DEP_1)
	v_lshlrev_b64_e32 v[0:1], 3, v[0:1]
	v_add_co_u32 v0, vcc_lo, s18, v0
	s_wait_alu 0xfffd
	s_delay_alu instid0(VALU_DEP_2)
	v_add_co_ci_u32_e64 v1, null, s19, v1, vcc_lo
	global_store_b64 v[0:1], v[4:5], off
	s_nop 0
	s_sendmsg sendmsg(MSG_DEALLOC_VGPRS)
	s_endpgm
	.section	.rodata,"a",@progbits
	.p2align	6, 0x0
	.amdhsa_kernel _ZL15flash_attn_tileILi128ELi128ELi8ELi2ELb1EEvPKcS1_S1_S1_S1_PKiPfP15HIP_vector_typeIfLj2EEffffjfiS5_IjLj3EEiiiiiiiiiiiliiliiiiil
		.amdhsa_group_segment_fixed_size 43008
		.amdhsa_private_segment_fixed_size 0
		.amdhsa_kernarg_size 464
		.amdhsa_user_sgpr_count 2
		.amdhsa_user_sgpr_dispatch_ptr 0
		.amdhsa_user_sgpr_queue_ptr 0
		.amdhsa_user_sgpr_kernarg_segment_ptr 1
		.amdhsa_user_sgpr_dispatch_id 0
		.amdhsa_user_sgpr_private_segment_size 0
		.amdhsa_wavefront_size32 1
		.amdhsa_uses_dynamic_stack 0
		.amdhsa_enable_private_segment 0
		.amdhsa_system_sgpr_workgroup_id_x 1
		.amdhsa_system_sgpr_workgroup_id_y 1
		.amdhsa_system_sgpr_workgroup_id_z 1
		.amdhsa_system_sgpr_workgroup_info 0
		.amdhsa_system_vgpr_workitem_id 1
		.amdhsa_next_free_vgpr 217
		.amdhsa_next_free_sgpr 42
		.amdhsa_reserve_vcc 1
		.amdhsa_float_round_mode_32 0
		.amdhsa_float_round_mode_16_64 0
		.amdhsa_float_denorm_mode_32 3
		.amdhsa_float_denorm_mode_16_64 3
		.amdhsa_fp16_overflow 0
		.amdhsa_workgroup_processor_mode 1
		.amdhsa_memory_ordered 1
		.amdhsa_forward_progress 1
		.amdhsa_inst_pref_size 146
		.amdhsa_round_robin_scheduling 0
		.amdhsa_exception_fp_ieee_invalid_op 0
		.amdhsa_exception_fp_denorm_src 0
		.amdhsa_exception_fp_ieee_div_zero 0
		.amdhsa_exception_fp_ieee_overflow 0
		.amdhsa_exception_fp_ieee_underflow 0
		.amdhsa_exception_fp_ieee_inexact 0
		.amdhsa_exception_int_div_zero 0
	.end_amdhsa_kernel
	.section	.text._ZL15flash_attn_tileILi128ELi128ELi8ELi2ELb1EEvPKcS1_S1_S1_S1_PKiPfP15HIP_vector_typeIfLj2EEffffjfiS5_IjLj3EEiiiiiiiiiiiliiliiiiil,"axG",@progbits,_ZL15flash_attn_tileILi128ELi128ELi8ELi2ELb1EEvPKcS1_S1_S1_S1_PKiPfP15HIP_vector_typeIfLj2EEffffjfiS5_IjLj3EEiiiiiiiiiiiliiliiiiil,comdat
.Lfunc_end82:
	.size	_ZL15flash_attn_tileILi128ELi128ELi8ELi2ELb1EEvPKcS1_S1_S1_S1_PKiPfP15HIP_vector_typeIfLj2EEffffjfiS5_IjLj3EEiiiiiiiiiiiliiliiiiil, .Lfunc_end82-_ZL15flash_attn_tileILi128ELi128ELi8ELi2ELb1EEvPKcS1_S1_S1_S1_PKiPfP15HIP_vector_typeIfLj2EEffffjfiS5_IjLj3EEiiiiiiiiiiiliiliiiiil
                                        ; -- End function
	.set _ZL15flash_attn_tileILi128ELi128ELi8ELi2ELb1EEvPKcS1_S1_S1_S1_PKiPfP15HIP_vector_typeIfLj2EEffffjfiS5_IjLj3EEiiiiiiiiiiiliiliiiiil.num_vgpr, 162
	.set _ZL15flash_attn_tileILi128ELi128ELi8ELi2ELb1EEvPKcS1_S1_S1_S1_PKiPfP15HIP_vector_typeIfLj2EEffffjfiS5_IjLj3EEiiiiiiiiiiiliiliiiiil.num_agpr, 0
	.set _ZL15flash_attn_tileILi128ELi128ELi8ELi2ELb1EEvPKcS1_S1_S1_S1_PKiPfP15HIP_vector_typeIfLj2EEffffjfiS5_IjLj3EEiiiiiiiiiiiliiliiiiil.numbered_sgpr, 42
	.set _ZL15flash_attn_tileILi128ELi128ELi8ELi2ELb1EEvPKcS1_S1_S1_S1_PKiPfP15HIP_vector_typeIfLj2EEffffjfiS5_IjLj3EEiiiiiiiiiiiliiliiiiil.num_named_barrier, 0
	.set _ZL15flash_attn_tileILi128ELi128ELi8ELi2ELb1EEvPKcS1_S1_S1_S1_PKiPfP15HIP_vector_typeIfLj2EEffffjfiS5_IjLj3EEiiiiiiiiiiiliiliiiiil.private_seg_size, 0
	.set _ZL15flash_attn_tileILi128ELi128ELi8ELi2ELb1EEvPKcS1_S1_S1_S1_PKiPfP15HIP_vector_typeIfLj2EEffffjfiS5_IjLj3EEiiiiiiiiiiiliiliiiiil.uses_vcc, 1
	.set _ZL15flash_attn_tileILi128ELi128ELi8ELi2ELb1EEvPKcS1_S1_S1_S1_PKiPfP15HIP_vector_typeIfLj2EEffffjfiS5_IjLj3EEiiiiiiiiiiiliiliiiiil.uses_flat_scratch, 0
	.set _ZL15flash_attn_tileILi128ELi128ELi8ELi2ELb1EEvPKcS1_S1_S1_S1_PKiPfP15HIP_vector_typeIfLj2EEffffjfiS5_IjLj3EEiiiiiiiiiiiliiliiiiil.has_dyn_sized_stack, 0
	.set _ZL15flash_attn_tileILi128ELi128ELi8ELi2ELb1EEvPKcS1_S1_S1_S1_PKiPfP15HIP_vector_typeIfLj2EEffffjfiS5_IjLj3EEiiiiiiiiiiiliiliiiiil.has_recursion, 0
	.set _ZL15flash_attn_tileILi128ELi128ELi8ELi2ELb1EEvPKcS1_S1_S1_S1_PKiPfP15HIP_vector_typeIfLj2EEffffjfiS5_IjLj3EEiiiiiiiiiiiliiliiiiil.has_indirect_call, 0
	.section	.AMDGPU.csdata,"",@progbits
; Kernel info:
; codeLenInByte = 18668
; TotalNumSgprs: 44
; NumVgprs: 162
; ScratchSize: 0
; MemoryBound: 0
; FloatMode: 240
; IeeeMode: 1
; LDSByteSize: 43008 bytes/workgroup (compile time only)
; SGPRBlocks: 0
; VGPRBlocks: 27
; NumSGPRsForWavesPerEU: 44
; NumVGPRsForWavesPerEU: 217
; Occupancy: 6
; WaveLimiterHint : 1
; COMPUTE_PGM_RSRC2:SCRATCH_EN: 0
; COMPUTE_PGM_RSRC2:USER_SGPR: 2
; COMPUTE_PGM_RSRC2:TRAP_HANDLER: 0
; COMPUTE_PGM_RSRC2:TGID_X_EN: 1
; COMPUTE_PGM_RSRC2:TGID_Y_EN: 1
; COMPUTE_PGM_RSRC2:TGID_Z_EN: 1
; COMPUTE_PGM_RSRC2:TIDIG_COMP_CNT: 1
	.section	.text._ZL15flash_attn_tileILi128ELi128ELi4ELi2ELb1EEvPKcS1_S1_S1_S1_PKiPfP15HIP_vector_typeIfLj2EEffffjfiS5_IjLj3EEiiiiiiiiiiiliiliiiiil,"axG",@progbits,_ZL15flash_attn_tileILi128ELi128ELi4ELi2ELb1EEvPKcS1_S1_S1_S1_PKiPfP15HIP_vector_typeIfLj2EEffffjfiS5_IjLj3EEiiiiiiiiiiiliiliiiiil,comdat
	.globl	_ZL15flash_attn_tileILi128ELi128ELi4ELi2ELb1EEvPKcS1_S1_S1_S1_PKiPfP15HIP_vector_typeIfLj2EEffffjfiS5_IjLj3EEiiiiiiiiiiiliiliiiiil ; -- Begin function _ZL15flash_attn_tileILi128ELi128ELi4ELi2ELb1EEvPKcS1_S1_S1_S1_PKiPfP15HIP_vector_typeIfLj2EEffffjfiS5_IjLj3EEiiiiiiiiiiiliiliiiiil
	.p2align	8
	.type	_ZL15flash_attn_tileILi128ELi128ELi4ELi2ELb1EEvPKcS1_S1_S1_S1_PKiPfP15HIP_vector_typeIfLj2EEffffjfiS5_IjLj3EEiiiiiiiiiiiliiliiiiil,@function
_ZL15flash_attn_tileILi128ELi128ELi4ELi2ELb1EEvPKcS1_S1_S1_S1_PKiPfP15HIP_vector_typeIfLj2EEffffjfiS5_IjLj3EEiiiiiiiiiiiliiliiiiil: ; @_ZL15flash_attn_tileILi128ELi128ELi4ELi2ELb1EEvPKcS1_S1_S1_S1_PKiPfP15HIP_vector_typeIfLj2EEffffjfiS5_IjLj3EEiiiiiiiiiiiliiliiiiil
; %bb.0:
	s_clause 0x1
	s_load_b128 s[20:23], s[0:1], 0x5c
	s_load_b64 s[30:31], s[0:1], 0x80
	s_lshr_b32 s5, ttmp7, 16
	s_load_b64 s[38:39], s[0:1], 0xb8
	s_mov_b32 s37, 0
	s_mov_b64 s[34:35], 0
	s_wait_kmcnt 0x0
	s_lshr_b32 s2, s23, 31
	s_delay_alu instid0(SALU_CYCLE_1) | instskip(NEXT) | instid1(SALU_CYCLE_1)
	s_add_co_i32 s2, s23, s2
	s_ashr_i32 s2, s2, 1
	s_delay_alu instid0(SALU_CYCLE_1) | instskip(SKIP_1) | instid1(SALU_CYCLE_2)
	s_cvt_f32_u32 s3, s2
	s_sub_co_i32 s4, 0, s2
	v_rcp_iflag_f32_e32 v1, s3
	s_delay_alu instid0(TRANS32_DEP_1) | instskip(SKIP_2) | instid1(SALU_CYCLE_2)
	v_readfirstlane_b32 s3, v1
	s_mul_f32 s3, s3, 0x4f7ffffe
	s_wait_alu 0xfffe
	s_cvt_u32_f32 s3, s3
	s_wait_alu 0xfffe
	s_delay_alu instid0(SALU_CYCLE_2) | instskip(NEXT) | instid1(SALU_CYCLE_1)
	s_mul_i32 s4, s4, s3
	s_mul_hi_u32 s4, s3, s4
	s_delay_alu instid0(SALU_CYCLE_1)
	s_add_co_i32 s3, s3, s4
	s_wait_alu 0xfffe
	s_mul_hi_u32 s3, s5, s3
	s_wait_alu 0xfffe
	s_mul_i32 s4, s3, s2
	s_add_co_i32 s6, s3, 1
	s_sub_co_i32 s4, s5, s4
	s_delay_alu instid0(SALU_CYCLE_1)
	s_sub_co_i32 s7, s4, s2
	s_cmp_ge_u32 s4, s2
	s_cselect_b32 s3, s6, s3
	s_cselect_b32 s4, s7, s4
	s_wait_alu 0xfffe
	s_add_co_i32 s6, s3, 1
	s_cmp_ge_u32 s4, s2
	s_cselect_b32 s2, s6, s3
	s_abs_i32 s3, s31
	s_abs_i32 s8, s23
	s_wait_alu 0xfffe
	s_cvt_f32_u32 s4, s3
	s_sub_co_i32 s6, 0, s3
	s_lshl_b32 s5, s5, 1
	s_mul_i32 s7, s2, s23
	v_rcp_iflag_f32_e32 v1, s4
	s_sub_co_i32 s28, s5, s7
	s_xor_b32 s5, s23, s31
	s_wait_alu 0xfffe
	s_ashr_i32 s24, s5, 31
	s_delay_alu instid0(TRANS32_DEP_1) | instskip(SKIP_2) | instid1(SALU_CYCLE_2)
	v_readfirstlane_b32 s4, v1
	s_mul_f32 s4, s4, 0x4f7ffffe
	s_wait_alu 0xfffe
	s_cvt_u32_f32 s4, s4
	s_wait_alu 0xfffe
	s_delay_alu instid0(SALU_CYCLE_2) | instskip(NEXT) | instid1(SALU_CYCLE_1)
	s_mul_i32 s6, s6, s4
	s_mul_hi_u32 s6, s4, s6
	s_delay_alu instid0(SALU_CYCLE_1) | instskip(SKIP_4) | instid1(SALU_CYCLE_1)
	s_add_co_i32 s4, s4, s6
	s_wait_alu 0xfffe
	s_mul_hi_u32 s4, s8, s4
	s_wait_alu 0xfffe
	s_mul_i32 s6, s4, s3
	s_sub_co_i32 s5, s8, s6
	s_add_co_i32 s6, s4, 1
	s_wait_alu 0xfffe
	s_sub_co_i32 s7, s5, s3
	s_cmp_ge_u32 s5, s3
	s_cselect_b32 s4, s6, s4
	s_cselect_b32 s5, s7, s5
	s_wait_alu 0xfffe
	s_add_co_i32 s6, s4, 1
	s_cmp_ge_u32 s5, s3
	s_cselect_b32 s3, s6, s4
	s_load_b512 s[4:19], s[0:1], 0x0
	s_xor_b32 s3, s3, s24
	s_wait_alu 0xfffe
	s_sub_co_i32 s31, s3, s24
	s_delay_alu instid0(SALU_CYCLE_1) | instskip(NEXT) | instid1(SALU_CYCLE_1)
	s_abs_i32 s29, s31
	s_cvt_f32_u32 s3, s29
	s_wait_alu 0xfffe
	s_delay_alu instid0(SALU_CYCLE_2) | instskip(SKIP_2) | instid1(TRANS32_DEP_1)
	v_rcp_iflag_f32_e32 v1, s3
	s_wait_kmcnt 0x0
	s_cmp_eq_u64 s[10:11], 0
	v_readfirstlane_b32 s27, v1
	s_cbranch_scc1 .LBB83_2
; %bb.1:
	s_abs_i32 s3, s38
	s_wait_alu 0xfffe
	s_cvt_f32_u32 s24, s3
	s_delay_alu instid0(SALU_CYCLE_3) | instskip(NEXT) | instid1(TRANS32_DEP_1)
	v_rcp_iflag_f32_e32 v1, s24
	v_readfirstlane_b32 s24, v1
	s_mul_f32 s24, s24, 0x4f7ffffe
	s_wait_alu 0xfffe
	s_delay_alu instid0(SALU_CYCLE_2) | instskip(SKIP_2) | instid1(SALU_CYCLE_1)
	s_cvt_u32_f32 s26, s24
	s_sub_co_i32 s24, 0, s3
	s_wait_alu 0xfffe
	s_mul_i32 s24, s24, s26
	s_wait_alu 0xfffe
	s_mul_hi_u32 s33, s26, s24
	s_load_b64 s[24:25], s[0:1], 0xc8
	s_add_co_i32 s26, s26, s33
	s_delay_alu instid0(SALU_CYCLE_1) | instskip(NEXT) | instid1(SALU_CYCLE_1)
	s_mul_hi_u32 s26, s2, s26
	s_mul_i32 s26, s26, s3
	s_delay_alu instid0(SALU_CYCLE_1) | instskip(NEXT) | instid1(SALU_CYCLE_1)
	s_sub_co_i32 s26, s2, s26
	s_sub_co_i32 s33, s26, s3
	s_cmp_ge_u32 s26, s3
	s_cselect_b32 s26, s33, s26
	s_delay_alu instid0(SALU_CYCLE_1) | instskip(SKIP_2) | instid1(SALU_CYCLE_1)
	s_sub_co_i32 s33, s26, s3
	s_cmp_ge_u32 s26, s3
	s_cselect_b32 s34, s33, s26
	s_ashr_i32 s35, s34, 31
	s_wait_kmcnt 0x0
	s_mul_u64 s[24:25], s[24:25], s[34:35]
	s_wait_alu 0xfffe
	s_add_nc_u64 s[34:35], s[10:11], s[24:25]
.LBB83_2:
	v_bfe_u32 v1, v0, 10, 10
	s_load_b96 s[24:26], s[0:1], 0x70
	v_and_b32_e32 v69, 0x3ff, v0
	s_delay_alu instid0(VALU_DEP_2) | instskip(SKIP_1) | instid1(VALU_DEP_3)
	v_lshl_add_u32 v68, ttmp9, 2, v1
	v_lshl_add_u32 v90, v1, 9, 0x2400
	v_lshlrev_b32_e32 v0, 4, v69
	v_lshlrev_b32_e32 v91, 3, v69
	s_delay_alu instid0(VALU_DEP_4) | instskip(NEXT) | instid1(VALU_DEP_1)
	v_mul_hi_u32 v2, s20, v68
	v_add_nc_u32_e32 v2, v68, v2
	s_wait_kmcnt 0x0
	s_ashr_i32 s11, s24, 31
	s_mov_b32 s10, s24
	s_delay_alu instid0(VALU_DEP_1) | instskip(SKIP_3) | instid1(SALU_CYCLE_1)
	v_lshrrev_b32_e32 v2, s21, v2
	s_lshr_b64 s[20:21], s[10:11], 2
	s_lshr_b32 s3, s11, 2
	s_mul_i32 s10, s2, s26
	s_ashr_i32 s11, s10, 31
	v_mul_lo_u32 v2, v2, s22
	s_add_nc_u64 s[4:5], s[4:5], s[10:11]
	s_delay_alu instid0(VALU_DEP_1) | instskip(SKIP_1) | instid1(VALU_DEP_1)
	v_sub_nc_u32_e32 v2, v68, v2
	s_wait_alu 0xfffe
	v_mad_co_u64_u32 v[3:4], null, s20, v2, 0
	s_mul_i32 s20, s28, s25
	s_wait_alu 0xfffe
	s_ashr_i32 s21, s20, 31
	s_wait_alu 0xfffe
	s_add_nc_u64 s[4:5], s[4:5], s[20:21]
	v_mad_co_u64_u32 v[4:5], null, s3, v2, v[4:5]
	s_ashr_i32 s3, s25, 31
	v_lshlrev_b64_e32 v[3:4], 2, v[3:4]
	s_wait_alu 0xfffe
	s_delay_alu instid0(VALU_DEP_1) | instskip(NEXT) | instid1(VALU_DEP_1)
	v_add_co_u32 v3, vcc_lo, s4, v3
	v_add_co_ci_u32_e64 v4, null, s5, v4, vcc_lo
	s_and_b32 s4, s25, -4
	v_add_co_u32 v7, vcc_lo, v3, v0
	s_wait_alu 0xfffd
	v_add_co_ci_u32_e64 v8, null, 0, v4, vcc_lo
	s_cmp_eq_u64 s[14:15], 0
	global_load_b128 v[3:6], v[7:8], off
	s_wait_alu 0xfffe
	v_add_co_u32 v7, vcc_lo, v7, s4
	s_wait_alu 0xfffd
	v_add_co_ci_u32_e64 v8, null, s3, v8, vcc_lo
	s_load_b32 s3, s[0:1], 0x40
	global_load_b128 v[7:10], v[7:8], off
	s_wait_loadcnt 0x1
	s_wait_kmcnt 0x0
	v_fma_mixlo_f16 v0, s3, v4, 0
	v_fma_mixlo_f16 v3, s3, v3, 0
	;; [unrolled: 1-line block ×4, first 2 shown]
	s_delay_alu instid0(VALU_DEP_4) | instskip(NEXT) | instid1(VALU_DEP_4)
	v_lshlrev_b32_e32 v0, 16, v0
	v_and_b32_e32 v3, 0xffff, v3
	s_delay_alu instid0(VALU_DEP_4)
	v_and_b32_e32 v4, 0xffff, v4
	s_wait_loadcnt 0x0
	v_fma_mixlo_f16 v6, s3, v8, 0
	v_fma_mixlo_f16 v7, s3, v7, 0
	;; [unrolled: 1-line block ×4, first 2 shown]
	v_lshlrev_b32_e32 v5, 16, v5
	v_lshlrev_b32_e32 v6, 16, v6
	v_and_b32_e32 v7, 0xffff, v7
	v_or_b32_e32 v0, v0, v3
	v_lshlrev_b32_e32 v9, 16, v9
	v_and_b32_e32 v8, 0xffff, v8
	v_add_nc_u32_e32 v10, v90, v91
	v_or_b32_e32 v7, v6, v7
	v_or3_b32 v4, v5, v4, 0
	v_or3_b32 v3, 0, 0, v0
	;; [unrolled: 1-line block ×3, first 2 shown]
	s_delay_alu instid0(VALU_DEP_4)
	v_or3_b32 v5, 0, 0, v7
	ds_store_2addr_b64 v10, v[3:4], v[5:6] offset1:32
	s_wait_dscnt 0x0
	s_barrier_signal -1
	s_barrier_wait -1
	global_inv scope:SCOPE_SE
	s_cbranch_scc1 .LBB83_4
; %bb.3:
	s_load_b32 s3, s[0:1], 0xd0
	s_mov_b32 s5, 0
	s_wait_kmcnt 0x0
	s_mul_i32 s3, s3, s2
	s_wait_alu 0xfffe
	s_add_co_i32 s4, s3, ttmp9
	s_wait_alu 0xfffe
	s_lshl_b64 s[4:5], s[4:5], 2
	s_wait_alu 0xfffe
	s_add_nc_u64 s[4:5], s[14:15], s[4:5]
	s_load_b32 s30, s[4:5], 0x0
.LBB83_4:
	s_and_b32 s4, ttmp7, 0xffff
	v_mbcnt_lo_u32_b32 v92, -1, 0
	s_wait_alu 0xfffe
	s_lshl_b32 s10, s4, 6
	s_wait_kmcnt 0x0
	s_cmp_lt_i32 s10, s30
	s_cbranch_scc1 .LBB83_7
; %bb.5:
	v_mbcnt_lo_u32_b32 v0, -1, 0
	v_mov_b32_e32 v93, 32
	s_delay_alu instid0(VALU_DEP_2)
	v_xor_b32_e32 v110, 16, v0
	v_xor_b32_e32 v106, 8, v0
	;; [unrolled: 1-line block ×5, first 2 shown]
	v_lshlrev_b32_e32 v89, 2, v69
	s_mov_b32 s3, 0
	s_cbranch_execz .LBB83_8
; %bb.6:
	v_dual_mov_b32 v49, 0 :: v_dual_mov_b32 v112, 0
	v_dual_mov_b32 v88, 0xfeffffff :: v_dual_mov_b32 v87, 0xfeffffff
	v_dual_mov_b32 v111, 0 :: v_dual_mov_b32 v48, 0
	v_dual_mov_b32 v17, 0 :: v_dual_mov_b32 v16, 0
	s_branch .LBB83_28
.LBB83_7:
                                        ; implicit-def: $vgpr0
                                        ; implicit-def: $vgpr93
                                        ; implicit-def: $vgpr110
                                        ; implicit-def: $vgpr106
                                        ; implicit-def: $vgpr107
                                        ; implicit-def: $vgpr108
                                        ; implicit-def: $vgpr109
	v_lshlrev_b32_e32 v89, 2, v69
	s_mov_b32 s3, 0
.LBB83_8:
	s_mul_f32 s5, s27, 0x4f7ffffe
	s_clause 0x1
	s_load_b128 s[24:27], s[0:1], 0x98
	s_load_b64 s[20:21], s[0:1], 0x8c
	s_sub_co_i32 s14, 0, s29
	s_abs_i32 s36, s28
	s_cvt_u32_f32 s11, s5
	s_clause 0x1
	s_load_b32 s5, s[0:1], 0x54
	s_load_b64 s[40:41], s[0:1], 0xa8
	s_mov_b32 s15, s37
	s_mul_i32 s14, s14, s11
	s_ashr_i32 s33, s28, 31
	s_mul_hi_u32 s14, s11, s14
	v_lshrrev_b32_e32 v0, 3, v69
	s_add_co_i32 s14, s11, s14
	s_ashr_i32 s11, s31, 31
	s_mul_u64 s[14:15], s[36:37], s[14:15]
	s_xor_b32 s11, s33, s11
	s_mul_i32 s33, s15, s29
	s_ashr_i32 s31, s39, 1
	s_add_co_i32 s37, s15, 1
	v_lshl_add_u32 v0, v1, 2, v0
	s_wait_kmcnt 0x0
	s_ashr_i32 s14, s26, 2
	s_sub_co_i32 s26, s36, s33
	s_ashr_i32 s20, s20, 2
	s_sub_co_i32 s33, s26, s29
	s_cmp_ge_u32 s26, s29
	s_wait_alu 0xfffe
	v_mul_lo_u32 v3, s20, v0
	s_cselect_b32 s15, s37, s15
	s_cselect_b32 s26, s33, s26
	s_add_co_i32 s33, s15, 1
	s_cmp_ge_u32 s26, s29
	v_dual_mov_b32 v16, 0 :: v_dual_and_b32 v15, 28, v89
	s_cselect_b32 s15, s33, s15
	v_lshrrev_b32_e32 v6, 4, v69
	s_xor_b32 s15, s15, s11
	s_mul_u64 s[24:25], s[24:25], s[2:3]
	s_mul_u64 s[36:37], s[40:41], s[2:3]
	s_sub_co_i32 s3, s15, s11
	s_wait_alu 0xfffe
	s_add_nc_u64 s[6:7], s[6:7], s[24:25]
	s_mul_i32 s24, s3, s21
	s_mul_i32 s26, s3, s27
	s_lshl_b32 s3, s20, 4
	v_dual_mov_b32 v93, 32 :: v_dual_lshlrev_b32 v4, 2, v15
	v_lshl_add_u32 v12, v1, 1, v6
	s_wait_alu 0xfffe
	v_dual_mov_b32 v20, 0xfeffffff :: v_dual_add_nc_u32 v5, s3, v3
	s_delay_alu instid0(VALU_DEP_3) | instskip(SKIP_2) | instid1(VALU_DEP_4)
	v_mad_u32_u24 v94, 0x90, v0, v4
	v_dual_mov_b32 v50, 0 :: v_dual_and_b32 v19, 60, v89
	v_mul_lo_u32 v0, s14, v12
	v_add_nc_u32_e32 v7, s3, v5
	v_ashrrev_i32_e32 v4, 31, v3
	s_delay_alu instid0(VALU_DEP_4)
	v_lshlrev_b32_e32 v13, 2, v19
	v_ashrrev_i32_e32 v6, 31, v5
	v_lshl_add_u32 v100, v1, 8, 0x2c00
	v_add_nc_u32_e32 v9, s3, v7
	s_lshl_b32 s3, s14, 3
	v_lshl_or_b32 v99, v12, 8, v13
	s_wait_alu 0xfffe
	v_add_nc_u32_e32 v11, s3, v0
	v_ashrrev_i32_e32 v1, 31, v0
	v_ashrrev_i32_e32 v10, 31, v9
	v_mad_co_u64_u32 v[70:71], null, v2, s31, v[69:70]
	s_delay_alu instid0(VALU_DEP_4)
	v_add_nc_u32_e32 v13, s3, v11
	v_ashrrev_i32_e32 v12, 31, v11
	v_lshlrev_b64_e32 v[71:72], 2, v[3:4]
	v_lshlrev_b64_e32 v[73:74], 2, v[5:6]
	;; [unrolled: 1-line block ×3, first 2 shown]
	v_add_nc_u32_e32 v17, s3, v13
	v_ashrrev_i32_e32 v14, 31, v13
	v_lshlrev_b64_e32 v[79:80], 2, v[0:1]
	v_lshlrev_b64_e32 v[81:82], 2, v[11:12]
	v_dual_mov_b32 v48, 0 :: v_dual_add_nc_u32 v95, 0x900, v94
	v_ashrrev_i32_e32 v18, 31, v17
	v_lshlrev_b64_e32 v[83:84], 2, v[13:14]
	v_add_nc_u32_e32 v96, 0x1200, v94
	v_add_nc_u32_e32 v97, 0x1b00, v94
	v_mul_u32_u24_e32 v98, 0x90, v69
	v_lshlrev_b64_e32 v[85:86], 2, v[17:18]
	v_mov_b32_e32 v18, 0
	v_ashrrev_i32_e32 v8, 31, v7
	v_add_nc_u32_e32 v101, 0x800, v99
	v_dual_mov_b32 v49, 0 :: v_dual_add_nc_u32 v102, 0x1000, v99
	v_add_nc_u32_e32 v103, 0x1800, v99
	s_delay_alu instid0(VALU_DEP_4)
	v_lshlrev_b64_e32 v[75:76], 2, v[7:8]
	v_lshlrev_b32_e32 v104, 2, v15
	v_lshlrev_b32_e32 v105, 2, v19
	v_mov_b32_e32 v17, 0
	v_mov_b32_e32 v19, 0xfeffffff
	s_add_nc_u64 s[8:9], s[8:9], s[36:37]
	s_ashr_i32 s25, s24, 31
	s_ashr_i32 s27, s26, 31
	s_wait_alu 0xfffe
	s_add_nc_u64 s[6:7], s[6:7], s[24:25]
	s_add_nc_u64 s[8:9], s[8:9], s[26:27]
	s_ashr_i32 s21, s20, 31
	s_ashr_i32 s15, s14, 31
	s_add_nc_u64 s[24:25], s[0:1], 0xd0
	s_mov_b32 s3, 0xbbbac73d
.LBB83_9:                               ; =>This Inner Loop Header: Depth=1
	s_ashr_i32 s11, s10, 31
	s_wait_alu 0xfffe
	s_mul_u64 s[26:27], s[10:11], s[20:21]
	s_wait_alu 0xfffe
	s_lshl_b64 s[26:27], s[26:27], 2
	s_wait_alu 0xfffe
	s_add_nc_u64 s[26:27], s[6:7], s[26:27]
	s_wait_alu 0xfffe
	v_add_co_u32 v0, vcc_lo, s26, v71
	s_wait_alu 0xfffd
	v_add_co_ci_u32_e64 v1, null, s27, v72, vcc_lo
	v_add_co_u32 v2, vcc_lo, s26, v73
	s_wait_alu 0xfffd
	v_add_co_ci_u32_e64 v3, null, s27, v74, vcc_lo
	v_add_co_u32 v0, vcc_lo, v0, v104
	s_wait_alu 0xfffd
	v_add_co_ci_u32_e64 v1, null, 0, v1, vcc_lo
	v_add_co_u32 v2, vcc_lo, v2, v104
	s_wait_alu 0xfffd
	v_add_co_ci_u32_e64 v3, null, 0, v3, vcc_lo
	v_add_co_u32 v4, vcc_lo, s26, v75
	s_wait_alu 0xfffd
	v_add_co_ci_u32_e64 v5, null, s27, v76, vcc_lo
	v_add_co_u32 v6, vcc_lo, s26, v77
	s_wait_alu 0xfffd
	v_add_co_ci_u32_e64 v7, null, s27, v78, vcc_lo
	v_add_co_u32 v4, vcc_lo, v4, v104
	s_wait_alu 0xfffd
	v_add_co_ci_u32_e64 v5, null, 0, v5, vcc_lo
	v_add_co_u32 v6, vcc_lo, v6, v104
	s_wait_alu 0xfffd
	v_add_co_ci_u32_e64 v7, null, 0, v7, vcc_lo
	s_clause 0x3
	global_load_b128 v[8:11], v[0:1], off
	global_load_b128 v[12:15], v[2:3], off
	;; [unrolled: 1-line block ×4, first 2 shown]
	s_wait_loadcnt 0x3
	ds_store_b128 v94, v[8:11]
	s_wait_loadcnt 0x2
	ds_store_b128 v95, v[12:15]
	;; [unrolled: 2-line block ×4, first 2 shown]
	s_wait_dscnt 0x0
	s_barrier_signal -1
	s_barrier_wait -1
	global_inv scope:SCOPE_SE
	ds_load_b128 v[10:13], v98
	ds_load_b128 v[23:26], v90
	ds_load_b128 v[27:30], v90 offset:256
	ds_load_b128 v[31:34], v98 offset:4608
	v_dual_mov_b32 v8, 0 :: v_dual_mov_b32 v21, 0
	s_wait_dscnt 0x2
	;;#ASMSTART
	v_dot2_f32_f16 v8, v10, v23, v8
	;;#ASMEND
	;;#ASMSTART
	v_dot2_f32_f16 v8, v11, v24, v8
	;;#ASMEND
	;; [unrolled: 3-line block ×4, first 2 shown]
	s_wait_dscnt 0x1
	;;#ASMSTART
	v_dot2_f32_f16 v21, v10, v27, v21
	;;#ASMEND
	;;#ASMSTART
	v_dot2_f32_f16 v21, v11, v28, v21
	;;#ASMEND
	v_dual_mov_b32 v9, 0 :: v_dual_mov_b32 v22, 0
	;;#ASMSTART
	v_dot2_f32_f16 v21, v12, v29, v21
	;;#ASMEND
	;;#ASMSTART
	v_dot2_f32_f16 v21, v13, v30, v21
	;;#ASMEND
	s_wait_dscnt 0x0
	;;#ASMSTART
	v_dot2_f32_f16 v9, v31, v23, v9
	;;#ASMEND
	;;#ASMSTART
	v_dot2_f32_f16 v9, v32, v24, v9
	;;#ASMEND
	;;#ASMSTART
	v_dot2_f32_f16 v9, v33, v25, v9
	;;#ASMEND
	;;#ASMSTART
	v_dot2_f32_f16 v9, v34, v26, v9
	;;#ASMEND
	;;#ASMSTART
	v_dot2_f32_f16 v22, v31, v27, v22
	;;#ASMEND
	;;#ASMSTART
	v_dot2_f32_f16 v22, v32, v28, v22
	;;#ASMEND
	;;#ASMSTART
	v_dot2_f32_f16 v22, v33, v29, v22
	;;#ASMEND
	;;#ASMSTART
	v_dot2_f32_f16 v22, v34, v30, v22
	;;#ASMEND
	ds_load_b128 v[10:13], v98 offset:16
	ds_load_b128 v[23:26], v90 offset:16
	ds_load_b128 v[27:30], v90 offset:272
	ds_load_b128 v[31:34], v98 offset:4624
	s_wait_dscnt 0x2
	;;#ASMSTART
	v_dot2_f32_f16 v8, v10, v23, v8
	;;#ASMEND
	;;#ASMSTART
	v_dot2_f32_f16 v8, v11, v24, v8
	;;#ASMEND
	;;#ASMSTART
	v_dot2_f32_f16 v8, v12, v25, v8
	;;#ASMEND
	;;#ASMSTART
	v_dot2_f32_f16 v8, v13, v26, v8
	;;#ASMEND
	s_wait_dscnt 0x1
	;;#ASMSTART
	v_dot2_f32_f16 v21, v10, v27, v21
	;;#ASMEND
	;;#ASMSTART
	v_dot2_f32_f16 v21, v11, v28, v21
	;;#ASMEND
	;;#ASMSTART
	v_dot2_f32_f16 v21, v12, v29, v21
	;;#ASMEND
	;;#ASMSTART
	v_dot2_f32_f16 v21, v13, v30, v21
	;;#ASMEND
	s_wait_dscnt 0x0
	;;#ASMSTART
	v_dot2_f32_f16 v9, v31, v23, v9
	;;#ASMEND
	;;#ASMSTART
	v_dot2_f32_f16 v9, v32, v24, v9
	;;#ASMEND
	;;#ASMSTART
	v_dot2_f32_f16 v9, v33, v25, v9
	;;#ASMEND
	;;#ASMSTART
	v_dot2_f32_f16 v9, v34, v26, v9
	;;#ASMEND
	;;#ASMSTART
	v_dot2_f32_f16 v22, v31, v27, v22
	;;#ASMEND
	;;#ASMSTART
	v_dot2_f32_f16 v22, v32, v28, v22
	;;#ASMEND
	;;#ASMSTART
	v_dot2_f32_f16 v22, v33, v29, v22
	;;#ASMEND
	;;#ASMSTART
	v_dot2_f32_f16 v22, v34, v30, v22
	;;#ASMEND
	ds_load_b128 v[10:13], v98 offset:32
	ds_load_b128 v[23:26], v90 offset:32
	ds_load_b128 v[27:30], v90 offset:288
	ds_load_b128 v[31:34], v98 offset:4640
	s_wait_dscnt 0x2
	;;#ASMSTART
	v_dot2_f32_f16 v8, v10, v23, v8
	;;#ASMEND
	;;#ASMSTART
	v_dot2_f32_f16 v8, v11, v24, v8
	;;#ASMEND
	;;#ASMSTART
	v_dot2_f32_f16 v8, v12, v25, v8
	;;#ASMEND
	;;#ASMSTART
	v_dot2_f32_f16 v8, v13, v26, v8
	;;#ASMEND
	s_wait_dscnt 0x1
	;;#ASMSTART
	v_dot2_f32_f16 v21, v10, v27, v21
	;;#ASMEND
	;;#ASMSTART
	v_dot2_f32_f16 v21, v11, v28, v21
	;;#ASMEND
	;; [unrolled: 55-line block ×7, first 2 shown]
	;;#ASMSTART
	v_dot2_f32_f16 v21, v12, v29, v21
	;;#ASMEND
	;;#ASMSTART
	v_dot2_f32_f16 v21, v13, v30, v21
	;;#ASMEND
	s_wait_dscnt 0x0
	;;#ASMSTART
	v_dot2_f32_f16 v9, v31, v23, v9
	;;#ASMEND
	;;#ASMSTART
	v_dot2_f32_f16 v9, v32, v24, v9
	;;#ASMEND
	;; [unrolled: 3-line block ×8, first 2 shown]
	s_wait_loadcnt 0x0
	s_barrier_signal -1
	s_barrier_wait -1
	global_inv scope:SCOPE_SE
	s_clause 0x3
	global_load_b128 v[10:13], v[0:1], off offset:128
	global_load_b128 v[0:3], v[2:3], off offset:128
	global_load_b128 v[23:26], v[4:5], off offset:128
	global_load_b128 v[4:7], v[6:7], off offset:128
	s_wait_loadcnt 0x3
	ds_store_b128 v94, v[10:13]
	s_wait_loadcnt 0x2
	ds_store_b128 v95, v[0:3]
	;; [unrolled: 2-line block ×4, first 2 shown]
	s_wait_dscnt 0x0
	s_barrier_signal -1
	s_barrier_wait -1
	global_inv scope:SCOPE_SE
	ds_load_b128 v[0:3], v98
	ds_load_b128 v[4:7], v90 offset:128
	ds_load_b128 v[10:13], v90 offset:384
	ds_load_b128 v[23:26], v98 offset:4608
	s_wait_dscnt 0x2
	;;#ASMSTART
	v_dot2_f32_f16 v8, v0, v4, v8
	;;#ASMEND
	;;#ASMSTART
	v_dot2_f32_f16 v8, v1, v5, v8
	;;#ASMEND
	;;#ASMSTART
	v_dot2_f32_f16 v8, v2, v6, v8
	;;#ASMEND
	;;#ASMSTART
	v_dot2_f32_f16 v8, v3, v7, v8
	;;#ASMEND
	s_wait_dscnt 0x1
	;;#ASMSTART
	v_dot2_f32_f16 v21, v0, v10, v21
	;;#ASMEND
	;;#ASMSTART
	v_dot2_f32_f16 v21, v1, v11, v21
	;;#ASMEND
	;;#ASMSTART
	v_dot2_f32_f16 v21, v2, v12, v21
	;;#ASMEND
	;;#ASMSTART
	v_dot2_f32_f16 v21, v3, v13, v21
	;;#ASMEND
	s_wait_dscnt 0x0
	;;#ASMSTART
	v_dot2_f32_f16 v9, v23, v4, v9
	;;#ASMEND
	;;#ASMSTART
	v_dot2_f32_f16 v9, v24, v5, v9
	;;#ASMEND
	;;#ASMSTART
	v_dot2_f32_f16 v9, v25, v6, v9
	;;#ASMEND
	;;#ASMSTART
	v_dot2_f32_f16 v9, v26, v7, v9
	;;#ASMEND
	;;#ASMSTART
	v_dot2_f32_f16 v22, v23, v10, v22
	;;#ASMEND
	;;#ASMSTART
	v_dot2_f32_f16 v22, v24, v11, v22
	;;#ASMEND
	;;#ASMSTART
	v_dot2_f32_f16 v22, v25, v12, v22
	;;#ASMEND
	;;#ASMSTART
	v_dot2_f32_f16 v22, v26, v13, v22
	;;#ASMEND
	ds_load_b128 v[0:3], v98 offset:16
	ds_load_b128 v[4:7], v90 offset:144
	ds_load_b128 v[10:13], v90 offset:400
	ds_load_b128 v[23:26], v98 offset:4624
	s_wait_dscnt 0x2
	;;#ASMSTART
	v_dot2_f32_f16 v8, v0, v4, v8
	;;#ASMEND
	;;#ASMSTART
	v_dot2_f32_f16 v8, v1, v5, v8
	;;#ASMEND
	;;#ASMSTART
	v_dot2_f32_f16 v8, v2, v6, v8
	;;#ASMEND
	;;#ASMSTART
	v_dot2_f32_f16 v8, v3, v7, v8
	;;#ASMEND
	s_wait_dscnt 0x1
	;;#ASMSTART
	v_dot2_f32_f16 v21, v0, v10, v21
	;;#ASMEND
	;;#ASMSTART
	v_dot2_f32_f16 v21, v1, v11, v21
	;;#ASMEND
	;;#ASMSTART
	v_dot2_f32_f16 v21, v2, v12, v21
	;;#ASMEND
	;;#ASMSTART
	v_dot2_f32_f16 v21, v3, v13, v21
	;;#ASMEND
	s_wait_dscnt 0x0
	;;#ASMSTART
	v_dot2_f32_f16 v9, v23, v4, v9
	;;#ASMEND
	;;#ASMSTART
	v_dot2_f32_f16 v9, v24, v5, v9
	;;#ASMEND
	;;#ASMSTART
	v_dot2_f32_f16 v9, v25, v6, v9
	;;#ASMEND
	;;#ASMSTART
	v_dot2_f32_f16 v9, v26, v7, v9
	;;#ASMEND
	;;#ASMSTART
	v_dot2_f32_f16 v22, v23, v10, v22
	;;#ASMEND
	;;#ASMSTART
	v_dot2_f32_f16 v22, v24, v11, v22
	;;#ASMEND
	;;#ASMSTART
	v_dot2_f32_f16 v22, v25, v12, v22
	;;#ASMEND
	;;#ASMSTART
	v_dot2_f32_f16 v22, v26, v13, v22
	;;#ASMEND
	ds_load_b128 v[0:3], v98 offset:32
	;; [unrolled: 55-line block ×7, first 2 shown]
	ds_load_b128 v[4:7], v90 offset:240
	ds_load_b128 v[10:13], v90 offset:496
	;; [unrolled: 1-line block ×3, first 2 shown]
	s_wait_dscnt 0x2
	;;#ASMSTART
	v_dot2_f32_f16 v8, v0, v4, v8
	;;#ASMEND
	;;#ASMSTART
	v_dot2_f32_f16 v8, v1, v5, v8
	;;#ASMEND
	;; [unrolled: 3-line block ×4, first 2 shown]
	s_wait_dscnt 0x1
	;;#ASMSTART
	v_dot2_f32_f16 v21, v0, v10, v21
	;;#ASMEND
	;;#ASMSTART
	v_dot2_f32_f16 v21, v1, v11, v21
	;;#ASMEND
	;; [unrolled: 3-line block ×4, first 2 shown]
	s_wait_dscnt 0x0
	;;#ASMSTART
	v_dot2_f32_f16 v9, v23, v4, v9
	;;#ASMEND
	v_cmp_ngt_f32_e64 s26, 0x3f200000, |v8|
	;;#ASMSTART
	v_dot2_f32_f16 v9, v24, v5, v9
	;;#ASMEND
	;;#ASMSTART
	v_dot2_f32_f16 v9, v25, v6, v9
	;;#ASMEND
	;; [unrolled: 3-line block ×7, first 2 shown]
                                        ; implicit-def: $vgpr2
	s_and_saveexec_b32 s27, s26
	s_wait_alu 0xfffe
	s_xor_b32 s26, exec_lo, s27
	s_cbranch_execz .LBB83_11
; %bb.10:                               ;   in Loop: Header=BB83_9 Depth=1
	v_add_f32_e64 v0, |v8|, |v8|
	s_delay_alu instid0(VALU_DEP_1) | instskip(SKIP_1) | instid1(VALU_DEP_2)
	v_mul_f32_e32 v1, 0x3fb8aa3b, v0
	v_cmp_ngt_f32_e32 vcc_lo, 0xc2ce8ed0, v0
	v_rndne_f32_e32 v2, v1
	v_fma_f32 v3, 0x3fb8aa3b, v0, -v1
	s_delay_alu instid0(VALU_DEP_2) | instskip(NEXT) | instid1(VALU_DEP_2)
	v_sub_f32_e32 v1, v1, v2
	v_fmac_f32_e32 v3, 0x32a5705f, v0
	v_cvt_i32_f32_e32 v2, v2
	s_delay_alu instid0(VALU_DEP_2) | instskip(NEXT) | instid1(VALU_DEP_1)
	v_add_f32_e32 v1, v1, v3
	v_exp_f32_e32 v1, v1
	s_delay_alu instid0(TRANS32_DEP_1) | instskip(SKIP_1) | instid1(VALU_DEP_1)
	v_ldexp_f32 v1, v1, v2
	s_wait_alu 0xfffd
	v_cndmask_b32_e32 v1, 0, v1, vcc_lo
	v_cmp_nlt_f32_e32 vcc_lo, 0x42b17218, v0
	s_wait_alu 0xfffd
	s_delay_alu instid0(VALU_DEP_2) | instskip(NEXT) | instid1(VALU_DEP_1)
	v_cndmask_b32_e32 v0, 0x7f800000, v1, vcc_lo
	v_add_f32_e32 v0, 1.0, v0
	s_delay_alu instid0(VALU_DEP_1) | instskip(NEXT) | instid1(TRANS32_DEP_1)
	v_rcp_f32_e32 v0, v0
	v_fma_f32 v2, v0, -2.0, 1.0
.LBB83_11:                              ;   in Loop: Header=BB83_9 Depth=1
	s_wait_alu 0xfffe
	s_and_not1_saveexec_b32 s26, s26
	s_cbranch_execz .LBB83_13
; %bb.12:                               ;   in Loop: Header=BB83_9 Depth=1
	v_mul_f32_e32 v0, v8, v8
	s_delay_alu instid0(VALU_DEP_1) | instskip(NEXT) | instid1(VALU_DEP_1)
	v_fmaak_f32 v1, s3, v0, 0x3ca908c9
	v_fmaak_f32 v1, v0, v1, 0xbd5c1c4e
	s_delay_alu instid0(VALU_DEP_1) | instskip(NEXT) | instid1(VALU_DEP_1)
	v_fmaak_f32 v1, v0, v1, 0x3e088382
	v_fmaak_f32 v1, v0, v1, 0xbeaaaa99
	s_delay_alu instid0(VALU_DEP_1) | instskip(NEXT) | instid1(VALU_DEP_1)
	v_mul_f32_e64 v1, |v8|, v1
	v_fma_f32 v2, v0, v1, |v8|
.LBB83_13:                              ;   in Loop: Header=BB83_9 Depth=1
	s_wait_alu 0xfffe
	s_or_b32 exec_lo, exec_lo, s26
	v_add_nc_u32_e32 v0, s10, v70
	v_cmp_ngt_f32_e64 s26, 0x3f200000, |v9|
                                        ; implicit-def: $vgpr3
	s_delay_alu instid0(VALU_DEP_2) | instskip(NEXT) | instid1(VALU_DEP_1)
	v_ashrrev_i32_e32 v1, 31, v0
	v_lshlrev_b64_e32 v[0:1], 1, v[0:1]
	s_delay_alu instid0(VALU_DEP_1) | instskip(SKIP_1) | instid1(VALU_DEP_2)
	v_add_co_u32 v0, vcc_lo, s34, v0
	s_wait_alu 0xfffd
	v_add_co_ci_u32_e64 v1, null, s35, v1, vcc_lo
	global_load_u16 v28, v[0:1], off
	s_and_saveexec_b32 s27, s26
	s_wait_alu 0xfffe
	s_xor_b32 s26, exec_lo, s27
	s_cbranch_execz .LBB83_15
; %bb.14:                               ;   in Loop: Header=BB83_9 Depth=1
	v_add_f32_e64 v3, |v9|, |v9|
	s_delay_alu instid0(VALU_DEP_1) | instskip(SKIP_1) | instid1(VALU_DEP_2)
	v_mul_f32_e32 v4, 0x3fb8aa3b, v3
	v_cmp_ngt_f32_e32 vcc_lo, 0xc2ce8ed0, v3
	v_rndne_f32_e32 v5, v4
	v_fma_f32 v6, 0x3fb8aa3b, v3, -v4
	s_delay_alu instid0(VALU_DEP_2) | instskip(NEXT) | instid1(VALU_DEP_2)
	v_sub_f32_e32 v4, v4, v5
	v_fmac_f32_e32 v6, 0x32a5705f, v3
	v_cvt_i32_f32_e32 v5, v5
	s_delay_alu instid0(VALU_DEP_2) | instskip(NEXT) | instid1(VALU_DEP_1)
	v_add_f32_e32 v4, v4, v6
	v_exp_f32_e32 v4, v4
	s_delay_alu instid0(TRANS32_DEP_1) | instskip(SKIP_1) | instid1(VALU_DEP_1)
	v_ldexp_f32 v4, v4, v5
	s_wait_alu 0xfffd
	v_cndmask_b32_e32 v4, 0, v4, vcc_lo
	v_cmp_nlt_f32_e32 vcc_lo, 0x42b17218, v3
	s_wait_alu 0xfffd
	s_delay_alu instid0(VALU_DEP_2) | instskip(NEXT) | instid1(VALU_DEP_1)
	v_cndmask_b32_e32 v3, 0x7f800000, v4, vcc_lo
	v_add_f32_e32 v3, 1.0, v3
	s_delay_alu instid0(VALU_DEP_1) | instskip(NEXT) | instid1(TRANS32_DEP_1)
	v_rcp_f32_e32 v3, v3
	v_fma_f32 v3, v3, -2.0, 1.0
.LBB83_15:                              ;   in Loop: Header=BB83_9 Depth=1
	s_wait_alu 0xfffe
	s_and_not1_saveexec_b32 s26, s26
	s_cbranch_execz .LBB83_17
; %bb.16:                               ;   in Loop: Header=BB83_9 Depth=1
	v_mul_f32_e32 v3, v9, v9
	s_delay_alu instid0(VALU_DEP_1) | instskip(NEXT) | instid1(VALU_DEP_1)
	v_fmaak_f32 v4, s3, v3, 0x3ca908c9
	v_fmaak_f32 v4, v3, v4, 0xbd5c1c4e
	s_delay_alu instid0(VALU_DEP_1) | instskip(NEXT) | instid1(VALU_DEP_1)
	v_fmaak_f32 v4, v3, v4, 0x3e088382
	v_fmaak_f32 v4, v3, v4, 0xbeaaaa99
	s_delay_alu instid0(VALU_DEP_1) | instskip(NEXT) | instid1(VALU_DEP_1)
	v_mul_f32_e64 v4, |v9|, v4
	v_fma_f32 v3, v3, v4, |v9|
.LBB83_17:                              ;   in Loop: Header=BB83_9 Depth=1
	s_wait_alu 0xfffe
	s_or_b32 exec_lo, exec_lo, s26
	global_load_u16 v30, v[0:1], off offset:64
	v_bfi_b32 v0, 0x7fffffff, v2, v8
	v_bfi_b32 v1, 0x7fffffff, v3, v9
	v_xor_b32_e32 v110, 16, v92
	v_xor_b32_e32 v106, 8, v92
	;; [unrolled: 1-line block ×3, first 2 shown]
	s_wait_loadcnt 0x1
	v_fma_mix_f32 v25, s5, v0, v28 op_sel_hi:[0,0,1]
	v_xor_b32_e32 v108, 2, v92
	v_cmp_gt_i32_e32 vcc_lo, 32, v110
	v_xor_b32_e32 v109, 1, v92
	v_cmp_ngt_f32_e64 s26, 0x3f200000, |v21|
	v_add_f32_e32 v0, 0x40051340, v25
                                        ; implicit-def: $vgpr35
	s_wait_loadcnt 0x0
	v_fma_mix_f32 v26, s5, v1, v30 op_sel_hi:[0,0,1]
	s_wait_alu 0xfffd
	v_cndmask_b32_e32 v1, v92, v110, vcc_lo
	v_cmp_gt_i32_e32 vcc_lo, 32, v106
	s_delay_alu instid0(VALU_DEP_2) | instskip(NEXT) | instid1(VALU_DEP_1)
	v_dual_add_f32 v2, 0x40051340, v26 :: v_dual_lshlrev_b32 v31, 2, v1
	v_max3_num_f32 v0, v20, v0, v2
	ds_bpermute_b32 v1, v31, v0
	s_wait_alu 0xfffd
	v_cndmask_b32_e32 v2, v92, v106, vcc_lo
	v_cmp_gt_i32_e32 vcc_lo, 32, v107
	s_wait_dscnt 0x0
	s_delay_alu instid0(VALU_DEP_2) | instskip(SKIP_3) | instid1(VALU_DEP_2)
	v_dual_max_num_f32 v1, v1, v1 :: v_dual_lshlrev_b32 v32, 2, v2
	s_wait_alu 0xfffd
	v_cndmask_b32_e32 v2, v92, v107, vcc_lo
	v_cmp_gt_i32_e32 vcc_lo, 32, v108
	v_dual_max_num_f32 v0, v0, v1 :: v_dual_lshlrev_b32 v33, 2, v2
	s_wait_alu 0xfffd
	v_cndmask_b32_e32 v2, v92, v108, vcc_lo
	v_cmp_gt_i32_e32 vcc_lo, 32, v109
	ds_bpermute_b32 v1, v32, v0
	v_lshlrev_b32_e32 v24, 2, v2
	s_wait_alu 0xfffd
	v_cndmask_b32_e32 v2, v92, v109, vcc_lo
	s_delay_alu instid0(VALU_DEP_1) | instskip(SKIP_2) | instid1(VALU_DEP_1)
	v_lshlrev_b32_e32 v23, 2, v2
	s_wait_dscnt 0x0
	v_max_num_f32_e32 v1, v1, v1
	v_max_num_f32_e32 v0, v0, v1
	ds_bpermute_b32 v1, v33, v0
	s_wait_dscnt 0x0
	v_max_num_f32_e32 v1, v1, v1
	s_delay_alu instid0(VALU_DEP_1) | instskip(SKIP_3) | instid1(VALU_DEP_1)
	v_max_num_f32_e32 v0, v0, v1
	ds_bpermute_b32 v1, v24, v0
	s_wait_dscnt 0x0
	v_max_num_f32_e32 v1, v1, v1
	v_max_num_f32_e32 v27, v0, v1
	ds_bpermute_b32 v34, v23, v27
	s_and_saveexec_b32 s27, s26
	s_wait_alu 0xfffe
	s_xor_b32 s26, exec_lo, s27
	s_cbranch_execz .LBB83_19
; %bb.18:                               ;   in Loop: Header=BB83_9 Depth=1
	v_add_f32_e64 v0, |v21|, |v21|
	s_delay_alu instid0(VALU_DEP_1) | instskip(SKIP_1) | instid1(VALU_DEP_2)
	v_mul_f32_e32 v1, 0x3fb8aa3b, v0
	v_cmp_ngt_f32_e32 vcc_lo, 0xc2ce8ed0, v0
	v_rndne_f32_e32 v2, v1
	v_fma_f32 v3, 0x3fb8aa3b, v0, -v1
	s_delay_alu instid0(VALU_DEP_2) | instskip(NEXT) | instid1(VALU_DEP_2)
	v_sub_f32_e32 v1, v1, v2
	v_fmac_f32_e32 v3, 0x32a5705f, v0
	v_cvt_i32_f32_e32 v2, v2
	s_delay_alu instid0(VALU_DEP_2) | instskip(NEXT) | instid1(VALU_DEP_1)
	v_add_f32_e32 v1, v1, v3
	v_exp_f32_e32 v1, v1
	s_delay_alu instid0(TRANS32_DEP_1) | instskip(SKIP_1) | instid1(VALU_DEP_1)
	v_ldexp_f32 v1, v1, v2
	s_wait_alu 0xfffd
	v_cndmask_b32_e32 v1, 0, v1, vcc_lo
	v_cmp_nlt_f32_e32 vcc_lo, 0x42b17218, v0
	s_wait_alu 0xfffd
	s_delay_alu instid0(VALU_DEP_2) | instskip(NEXT) | instid1(VALU_DEP_1)
	v_cndmask_b32_e32 v0, 0x7f800000, v1, vcc_lo
	v_add_f32_e32 v0, 1.0, v0
	s_delay_alu instid0(VALU_DEP_1) | instskip(NEXT) | instid1(TRANS32_DEP_1)
	v_rcp_f32_e32 v0, v0
	v_fma_f32 v35, v0, -2.0, 1.0
.LBB83_19:                              ;   in Loop: Header=BB83_9 Depth=1
	s_wait_alu 0xfffe
	s_and_not1_saveexec_b32 s26, s26
	s_cbranch_execz .LBB83_21
; %bb.20:                               ;   in Loop: Header=BB83_9 Depth=1
	v_mul_f32_e32 v0, v21, v21
	s_delay_alu instid0(VALU_DEP_1) | instskip(NEXT) | instid1(VALU_DEP_1)
	v_fmaak_f32 v1, s3, v0, 0x3ca908c9
	v_fmaak_f32 v1, v0, v1, 0xbd5c1c4e
	s_delay_alu instid0(VALU_DEP_1) | instskip(NEXT) | instid1(VALU_DEP_1)
	v_fmaak_f32 v1, v0, v1, 0x3e088382
	v_fmaak_f32 v1, v0, v1, 0xbeaaaa99
	s_delay_alu instid0(VALU_DEP_1) | instskip(NEXT) | instid1(VALU_DEP_1)
	v_mul_f32_e64 v1, |v21|, v1
	v_fma_f32 v35, v0, v1, |v21|
.LBB83_21:                              ;   in Loop: Header=BB83_9 Depth=1
	s_wait_alu 0xfffe
	s_or_b32 exec_lo, exec_lo, s26
	v_cmp_ngt_f32_e64 s26, 0x3f200000, |v22|
                                        ; implicit-def: $vgpr36
	s_and_saveexec_b32 s27, s26
	s_wait_alu 0xfffe
	s_xor_b32 s26, exec_lo, s27
	s_cbranch_execz .LBB83_23
; %bb.22:                               ;   in Loop: Header=BB83_9 Depth=1
	v_add_f32_e64 v0, |v22|, |v22|
	s_delay_alu instid0(VALU_DEP_1) | instskip(SKIP_1) | instid1(VALU_DEP_2)
	v_mul_f32_e32 v1, 0x3fb8aa3b, v0
	v_cmp_ngt_f32_e32 vcc_lo, 0xc2ce8ed0, v0
	v_rndne_f32_e32 v2, v1
	v_fma_f32 v3, 0x3fb8aa3b, v0, -v1
	s_delay_alu instid0(VALU_DEP_2) | instskip(NEXT) | instid1(VALU_DEP_2)
	v_sub_f32_e32 v1, v1, v2
	v_fmac_f32_e32 v3, 0x32a5705f, v0
	v_cvt_i32_f32_e32 v2, v2
	s_delay_alu instid0(VALU_DEP_2) | instskip(NEXT) | instid1(VALU_DEP_1)
	v_add_f32_e32 v1, v1, v3
	v_exp_f32_e32 v1, v1
	s_delay_alu instid0(TRANS32_DEP_1) | instskip(SKIP_1) | instid1(VALU_DEP_1)
	v_ldexp_f32 v1, v1, v2
	s_wait_alu 0xfffd
	v_cndmask_b32_e32 v1, 0, v1, vcc_lo
	v_cmp_nlt_f32_e32 vcc_lo, 0x42b17218, v0
	s_wait_alu 0xfffd
	s_delay_alu instid0(VALU_DEP_2) | instskip(NEXT) | instid1(VALU_DEP_1)
	v_cndmask_b32_e32 v0, 0x7f800000, v1, vcc_lo
	v_add_f32_e32 v0, 1.0, v0
	s_delay_alu instid0(VALU_DEP_1) | instskip(NEXT) | instid1(TRANS32_DEP_1)
	v_rcp_f32_e32 v0, v0
	v_fma_f32 v36, v0, -2.0, 1.0
.LBB83_23:                              ;   in Loop: Header=BB83_9 Depth=1
	s_wait_alu 0xfffe
	s_and_not1_saveexec_b32 s26, s26
	s_cbranch_execz .LBB83_25
; %bb.24:                               ;   in Loop: Header=BB83_9 Depth=1
	v_mul_f32_e32 v0, v22, v22
	s_delay_alu instid0(VALU_DEP_1) | instskip(NEXT) | instid1(VALU_DEP_1)
	v_fmaak_f32 v1, s3, v0, 0x3ca908c9
	v_fmaak_f32 v1, v0, v1, 0xbd5c1c4e
	s_delay_alu instid0(VALU_DEP_1) | instskip(NEXT) | instid1(VALU_DEP_1)
	v_fmaak_f32 v1, v0, v1, 0x3e088382
	v_fmaak_f32 v1, v0, v1, 0xbeaaaa99
	s_delay_alu instid0(VALU_DEP_1) | instskip(NEXT) | instid1(VALU_DEP_1)
	v_mul_f32_e64 v1, |v22|, v1
	v_fma_f32 v36, v0, v1, |v22|
.LBB83_25:                              ;   in Loop: Header=BB83_9 Depth=1
	s_wait_alu 0xfffe
	s_or_b32 exec_lo, exec_lo, s26
	s_mul_u64 s[26:27], s[10:11], s[14:15]
	s_wait_dscnt 0x0
	s_wait_alu 0xfffe
	s_lshl_b64 s[26:27], s[26:27], 2
	s_barrier_signal -1
	s_wait_alu 0xfffe
	s_add_nc_u64 s[26:27], s[8:9], s[26:27]
	s_barrier_wait -1
	s_wait_alu 0xfffe
	v_add_co_u32 v0, vcc_lo, s26, v79
	s_wait_alu 0xfffd
	v_add_co_ci_u32_e64 v1, null, s27, v80, vcc_lo
	v_add_co_u32 v2, vcc_lo, s26, v81
	s_wait_alu 0xfffd
	v_add_co_ci_u32_e64 v3, null, s27, v82, vcc_lo
	v_add_co_u32 v0, vcc_lo, v0, v105
	s_wait_alu 0xfffd
	v_add_co_ci_u32_e64 v1, null, 0, v1, vcc_lo
	v_add_co_u32 v4, vcc_lo, v2, v105
	s_wait_alu 0xfffd
	v_add_co_ci_u32_e64 v5, null, 0, v3, vcc_lo
	v_add_co_u32 v2, vcc_lo, s26, v83
	s_wait_alu 0xfffd
	v_add_co_ci_u32_e64 v3, null, s27, v84, vcc_lo
	v_add_co_u32 v6, vcc_lo, s26, v85
	s_wait_alu 0xfffd
	v_add_co_ci_u32_e64 v7, null, s27, v86, vcc_lo
	v_add_co_u32 v8, vcc_lo, v2, v105
	s_wait_alu 0xfffd
	v_add_co_ci_u32_e64 v9, null, 0, v3, vcc_lo
	v_add_co_u32 v12, vcc_lo, v6, v105
	s_wait_alu 0xfffd
	v_add_co_ci_u32_e64 v13, null, 0, v7, vcc_lo
	global_inv scope:SCOPE_SE
	s_clause 0x3
	global_load_b128 v[0:3], v[0:1], off
	global_load_b128 v[4:7], v[4:5], off
	;; [unrolled: 1-line block ×4, first 2 shown]
	v_cvt_f32_f16_e32 v29, v28
	v_cvt_f32_f16_e32 v28, v30
	v_bfi_b32 v21, 0x7fffffff, v35, v21
	v_bfi_b32 v22, 0x7fffffff, v36, v22
	v_max_num_f32_e32 v27, v27, v27
	v_add_nc_u32_e32 v60, 0x1000, v91
	v_dual_max_num_f32 v30, v34, v34 :: v_dual_add_nc_u32 v51, 0x800, v91
	s_delay_alu instid0(VALU_DEP_4) | instskip(SKIP_1) | instid1(VALU_DEP_2)
	v_dual_fmac_f32 v29, s5, v21 :: v_dual_fmac_f32 v28, s5, v22
	s_or_b32 s26, s10, 32
	v_max_num_f32_e32 v87, v27, v30
	s_wait_alu 0xfffe
	s_ashr_i32 s27, s26, 31
	v_dual_add_f32 v21, 0x40051340, v29 :: v_dual_add_f32 v22, 0x40051340, v28
	s_wait_alu 0xfffe
	s_mul_u64 s[26:27], s[26:27], s[14:15]
	v_sub_f32_e32 v20, v20, v87
	s_wait_alu 0xfffe
	s_lshl_b64 s[26:27], s[26:27], 2
	v_max3_num_f32 v21, v19, v21, v22
	s_wait_alu 0xfffe
	s_add_nc_u64 s[26:27], s[8:9], s[26:27]
	ds_bpermute_b32 v22, v31, v21
	s_wait_dscnt 0x0
	v_dual_max_num_f32 v22, v22, v22 :: v_dual_add_nc_u32 v31, v100, v89
	s_delay_alu instid0(VALU_DEP_1) | instskip(SKIP_3) | instid1(VALU_DEP_1)
	v_max_num_f32_e32 v21, v21, v22
	ds_bpermute_b32 v22, v32, v21
	s_wait_dscnt 0x0
	v_max_num_f32_e32 v22, v22, v22
	v_max_num_f32_e32 v21, v21, v22
	ds_bpermute_b32 v22, v33, v21
	s_wait_dscnt 0x0
	v_dual_max_num_f32 v22, v22, v22 :: v_dual_add_nc_u32 v113, 0x1800, v91
	s_delay_alu instid0(VALU_DEP_1)
	v_max_num_f32_e32 v21, v21, v22
	s_wait_alu 0xfffe
	v_add_co_u32 v22, vcc_lo, s26, v79
	s_wait_alu 0xfffd
	v_add_co_ci_u32_e64 v27, null, s27, v80, vcc_lo
	ds_bpermute_b32 v24, v24, v21
	v_add_co_u32 v30, vcc_lo, s26, v81
	s_wait_alu 0xfffd
	v_add_co_ci_u32_e64 v32, null, s27, v82, vcc_lo
	v_add_co_u32 v33, vcc_lo, s26, v83
	s_wait_alu 0xfffd
	v_add_co_ci_u32_e64 v34, null, s27, v84, vcc_lo
	;; [unrolled: 3-line block ×5, first 2 shown]
	s_wait_dscnt 0x0
	v_max_num_f32_e32 v22, v24, v24
	v_sub_f32_e32 v26, v26, v87
	v_sub_f32_e32 v25, v25, v87
	v_add_co_u32 v40, vcc_lo, v33, v105
	s_wait_alu 0xfffd
	v_add_co_ci_u32_e64 v41, null, 0, v34, vcc_lo
	s_delay_alu instid0(VALU_DEP_3) | instskip(NEXT) | instid1(VALU_DEP_1)
	v_dual_mul_f32 v38, 0x3fb8aa3b, v26 :: v_dual_mul_f32 v37, 0x3fb8aa3b, v25
	v_rndne_f32_e32 v30, v38
	v_mul_f32_e32 v39, 0x3fb8aa3b, v20
	s_delay_alu instid0(VALU_DEP_3) | instskip(SKIP_1) | instid1(VALU_DEP_2)
	v_fma_f32 v24, 0x3fb8aa3b, v25, -v37
	v_rndne_f32_e32 v27, v37
	v_dual_fmac_f32 v24, 0x32a5705f, v25 :: v_dual_max_num_f32 v21, v21, v22
	v_fma_f32 v22, 0x3fb8aa3b, v26, -v38
	v_sub_f32_e32 v38, v38, v30
	v_fma_f32 v32, 0x3fb8aa3b, v20, -v39
	v_rndne_f32_e32 v42, v39
	s_delay_alu instid0(VALU_DEP_4) | instskip(SKIP_1) | instid1(VALU_DEP_4)
	v_dual_sub_f32 v37, v37, v27 :: v_dual_fmac_f32 v22, 0x32a5705f, v26
	v_cvt_i32_f32_e32 v27, v27
	v_fmac_f32_e32 v32, 0x32a5705f, v20
	ds_bpermute_b32 v23, v23, v21
	v_dual_sub_f32 v39, v39, v42 :: v_dual_add_f32 v24, v37, v24
	v_add_f32_e32 v22, v38, v22
	v_cvt_i32_f32_e32 v33, v42
	v_add_co_u32 v42, vcc_lo, v35, v105
	s_delay_alu instid0(VALU_DEP_4) | instskip(SKIP_4) | instid1(TRANS32_DEP_1)
	v_exp_f32_e32 v24, v24
	v_cvt_i32_f32_e32 v30, v30
	s_wait_alu 0xfffd
	v_add_co_ci_u32_e64 v43, null, 0, v36, vcc_lo
	v_cmp_ngt_f32_e32 vcc_lo, 0xc2ce8ed0, v25
	v_ldexp_f32 v24, v24, v27
	s_wait_dscnt 0x0
	v_max_num_f32_e32 v23, v23, v23
	v_exp_f32_e32 v22, v22
	s_wait_alu 0xfffd
	s_delay_alu instid0(VALU_DEP_1) | instskip(SKIP_1) | instid1(VALU_DEP_2)
	v_dual_max_num_f32 v88, v21, v23 :: v_dual_cndmask_b32 v23, 0, v24
	v_cmp_ngt_f32_e32 vcc_lo, 0xc2ce8ed0, v26
	v_sub_f32_e32 v27, v28, v88
	s_delay_alu instid0(TRANS32_DEP_1) | instskip(SKIP_1) | instid1(VALU_DEP_1)
	v_ldexp_f32 v21, v22, v30
	s_wait_alu 0xfffd
	v_dual_add_f32 v32, v39, v32 :: v_dual_cndmask_b32 v21, 0, v21
	s_delay_alu instid0(VALU_DEP_1) | instskip(SKIP_1) | instid1(TRANS32_DEP_1)
	v_exp_f32_e32 v32, v32
	v_cmp_ngt_f32_e32 vcc_lo, 0xc2ce8ed0, v20
	v_ldexp_f32 v22, v32, v33
	s_wait_alu 0xfffd
	s_delay_alu instid0(VALU_DEP_1) | instskip(NEXT) | instid1(VALU_DEP_1)
	v_dual_sub_f32 v19, v19, v88 :: v_dual_cndmask_b32 v22, 0, v22
	v_dual_sub_f32 v24, v29, v88 :: v_dual_mul_f32 v29, 0x3fb8aa3b, v19
	v_cmp_nlt_f32_e32 vcc_lo, 0x42b17218, v25
	s_delay_alu instid0(VALU_DEP_2) | instskip(NEXT) | instid1(VALU_DEP_3)
	v_rndne_f32_e32 v34, v29
	v_mul_f32_e32 v28, 0x3fb8aa3b, v24
	v_fma_f32 v33, 0x3fb8aa3b, v19, -v29
	s_delay_alu instid0(VALU_DEP_3) | instskip(NEXT) | instid1(VALU_DEP_3)
	v_sub_f32_e32 v29, v29, v34
	v_fma_f32 v32, 0x3fb8aa3b, v24, -v28
	s_delay_alu instid0(VALU_DEP_3) | instskip(SKIP_1) | instid1(VALU_DEP_3)
	v_fmac_f32_e32 v33, 0x32a5705f, v19
	v_rndne_f32_e32 v35, v28
	v_fmac_f32_e32 v32, 0x32a5705f, v24
	s_delay_alu instid0(VALU_DEP_3) | instskip(NEXT) | instid1(VALU_DEP_1)
	v_dual_mul_f32 v30, 0x3fb8aa3b, v27 :: v_dual_add_f32 v29, v29, v33
	v_rndne_f32_e32 v37, v30
	v_fma_f32 v36, 0x3fb8aa3b, v27, -v30
	s_delay_alu instid0(VALU_DEP_3) | instskip(SKIP_1) | instid1(VALU_DEP_2)
	v_exp_f32_e32 v29, v29
	s_wait_alu 0xfffd
	v_dual_sub_f32 v30, v30, v37 :: v_dual_cndmask_b32 v23, 0x7f800000, v23
	v_cmp_nlt_f32_e32 vcc_lo, 0x42b17218, v26
	s_wait_alu 0xfffd
	v_dual_sub_f32 v28, v28, v35 :: v_dual_cndmask_b32 v21, 0x7f800000, v21
	s_delay_alu instid0(VALU_DEP_1) | instskip(SKIP_1) | instid1(VALU_DEP_2)
	v_dual_fmac_f32 v36, 0x32a5705f, v27 :: v_dual_add_f32 v25, v28, v32
	v_cmp_nlt_f32_e32 vcc_lo, 0x42b17218, v20
	v_add_f32_e32 v28, v30, v36
	s_delay_alu instid0(VALU_DEP_3)
	v_exp_f32_e32 v25, v25
	s_wait_alu 0xfffd
	v_dual_cndmask_b32 v20, 0x7f800000, v22 :: v_dual_add_f32 v111, v23, v21
	v_cvt_i32_f32_e32 v22, v35
	v_exp_f32_e32 v26, v28
	v_cvt_i32_f32_e32 v28, v34
	v_cvt_i32_f32_e32 v30, v37
	v_cmp_ngt_f32_e32 vcc_lo, 0xc2ce8ed0, v19
	v_fmac_f32_e32 v111, v18, v20
	v_cvt_f16_f32_e32 v32, v23
	v_ldexp_f32 v28, v29, v28
	v_ldexp_f32 v22, v25, v22
	v_cvt_f16_f32_e32 v29, v20
	s_delay_alu instid0(TRANS32_DEP_1)
	v_ldexp_f32 v25, v26, v30
	s_wait_alu 0xfffd
	v_cndmask_b32_e32 v26, 0, v28, vcc_lo
	v_cmp_ngt_f32_e32 vcc_lo, 0xc2ce8ed0, v24
	s_wait_alu 0xfffd
	v_cndmask_b32_e32 v22, 0, v22, vcc_lo
	v_cmp_ngt_f32_e32 vcc_lo, 0xc2ce8ed0, v27
	s_wait_alu 0xfffd
	v_cndmask_b32_e32 v25, 0, v25, vcc_lo
	v_cmp_nlt_f32_e32 vcc_lo, 0x42b17218, v19
	s_wait_alu 0xfffd
	v_cndmask_b32_e32 v52, 0x7f800000, v26, vcc_lo
	v_cmp_nlt_f32_e32 vcc_lo, 0x42b17218, v24
	v_and_b32_e32 v26, 0xffff, v29
	s_delay_alu instid0(VALU_DEP_3)
	v_cvt_f16_f32_e32 v24, v52
	s_wait_alu 0xfffd
	v_cndmask_b32_e32 v19, 0x7f800000, v22, vcc_lo
	v_cmp_nlt_f32_e32 vcc_lo, 0x42b17218, v27
	v_mul_u32_u24_e32 v57, 0x10001, v26
	v_and_b32_e32 v24, 0xffff, v24
	s_wait_alu 0xfffd
	v_cndmask_b32_e32 v22, 0x7f800000, v25, vcc_lo
	v_cvt_f16_f32_e32 v25, v21
	v_pk_mul_f16 v59, v17, v57
	v_mul_u32_u24_e32 v58, 0x10001, v24
	s_delay_alu instid0(VALU_DEP_4) | instskip(SKIP_1) | instid1(VALU_DEP_3)
	v_add_f32_e32 v112, v19, v22
	v_cvt_f16_f32_e32 v28, v22
	v_pk_mul_f16 v65, v16, v58
	s_delay_alu instid0(VALU_DEP_3) | instskip(SKIP_1) | instid1(VALU_DEP_4)
	v_fmac_f32_e32 v112, v50, v52
	v_cvt_f16_f32_e32 v27, v19
	v_pack_b32_f16 v23, v25, v28
	s_delay_alu instid0(VALU_DEP_2)
	v_pack_b32_f16 v21, v32, v27
	ds_store_2addr_b32 v31, v21, v23 offset1:32
	s_wait_loadcnt 0x3
	ds_store_b128 v99, v[0:3]
	s_wait_loadcnt 0x2
	ds_store_b128 v101, v[4:7]
	;; [unrolled: 2-line block ×4, first 2 shown]
	s_wait_dscnt 0x0
	s_barrier_signal -1
	s_barrier_wait -1
	global_inv scope:SCOPE_SE
	ds_load_2addr_b64 v[53:56], v91 offset1:32
	ds_load_b128 v[61:64], v100
	ds_load_b128 v[114:117], v100 offset:16
	ds_load_b128 v[118:121], v100 offset:32
	;; [unrolled: 1-line block ×3, first 2 shown]
	ds_load_2addr_b64 v[126:129], v91 offset0:64 offset1:96
	ds_load_2addr_b64 v[130:133], v91 offset0:128 offset1:160
	;; [unrolled: 1-line block ×3, first 2 shown]
	ds_load_2addr_b64 v[138:141], v51 offset1:32
	ds_load_2addr_b64 v[36:39], v51 offset0:64 offset1:96
	ds_load_2addr_b64 v[32:35], v51 offset0:128 offset1:160
	;; [unrolled: 1-line block ×3, first 2 shown]
	ds_load_2addr_b64 v[16:19], v60 offset1:32
	ds_load_2addr_b64 v[12:15], v60 offset0:64 offset1:96
	ds_load_2addr_b64 v[8:11], v60 offset0:128 offset1:160
	ds_load_b128 v[142:145], v100 offset:64
	ds_load_b128 v[146:149], v100 offset:80
	ds_load_2addr_b64 v[4:7], v60 offset0:192 offset1:224
	ds_load_2addr_b64 v[0:3], v113 offset1:32
	ds_load_2addr_b64 v[24:27], v113 offset0:64 offset1:96
	ds_load_2addr_b64 v[20:23], v113 offset0:128 offset1:160
	ds_load_b128 v[150:153], v100 offset:96
	ds_load_b128 v[154:157], v100 offset:112
	s_wait_dscnt 0x15
	v_lshrrev_b32_e32 v66, 16, v61
	v_and_b32_e32 v61, 0xffff, v61
	s_wait_dscnt 0x13
	v_lshrrev_b32_e32 v167, 16, v118
	v_and_b32_e32 v168, 0xffff, v118
	v_lshrrev_b32_e32 v67, 16, v62
	v_mul_u32_u24_e32 v66, 0x10001, v66
	v_mul_u32_u24_e32 v118, 0x10001, v61
	v_and_b32_e32 v158, 0xffff, v62
	v_lshrrev_b32_e32 v169, 16, v119
	v_and_b32_e32 v170, 0xffff, v119
	v_and_b32_e32 v160, 0xffff, v63
	v_pk_mul_f16 v119, v53, v118
	v_pk_mul_f16 v53, v53, v66
	v_pk_fma_f16 v59, v54, v118, v59
	v_mul_u32_u24_e32 v158, 0x10001, v158
	v_pk_fma_f16 v54, v54, v66, v65
	v_pk_fma_f16 v49, v49, v57, v119
	;; [unrolled: 1-line block ×3, first 2 shown]
	v_mul_u32_u24_e32 v53, 0x10001, v67
	v_pk_fma_f16 v58, v56, v158, v59
	v_lshrrev_b32_e32 v159, 16, v63
	v_pk_fma_f16 v49, v55, v158, v49
	v_lshrrev_b32_e32 v161, 16, v64
	v_pk_fma_f16 v65, v56, v53, v54
	v_pk_fma_f16 v48, v55, v53, v48
	v_mul_u32_u24_e32 v53, 0x10001, v160
	v_and_b32_e32 v162, 0xffff, v64
	v_lshrrev_b32_e32 v171, 16, v120
	v_and_b32_e32 v172, 0xffff, v120
	v_lshrrev_b32_e32 v173, 16, v121
	v_and_b32_e32 v174, 0xffff, v121
	ds_load_2addr_b64 v[61:64], v113 offset0:192 offset1:224
	s_wait_loadcnt_dscnt 0x0
	s_barrier_signal -1
	s_barrier_wait -1
	global_inv scope:SCOPE_SE
	s_clause 0x1
	global_load_b128 v[118:121], v[44:45], off
	global_load_b128 v[44:47], v[46:47], off
	v_pk_fma_f16 v58, v127, v53, v58
	v_pk_fma_f16 v49, v126, v53, v49
	s_clause 0x1
	global_load_b128 v[53:56], v[40:41], off
	global_load_b128 v[40:43], v[42:43], off
	v_mul_u32_u24_e32 v158, 0x10001, v159
	v_lshrrev_b32_e32 v163, 16, v114
	v_and_b32_e32 v114, 0xffff, v114
	v_mul_u32_u24_e32 v159, 0x10001, v162
	v_mul_u32_u24_e32 v160, 0x10001, v161
	v_pk_fma_f16 v65, v127, v158, v65
	v_pk_fma_f16 v48, v126, v158, v48
	v_lshrrev_b32_e32 v164, 16, v115
	v_and_b32_e32 v115, 0xffff, v115
	v_mul_u32_u24_e32 v114, 0x10001, v114
	v_mul_u32_u24_e32 v161, 0x10001, v163
	v_pk_fma_f16 v58, v129, v159, v58
	v_pk_fma_f16 v65, v129, v160, v65
	v_pk_fma_f16 v49, v128, v159, v49
	v_pk_fma_f16 v48, v128, v160, v48
	v_lshrrev_b32_e32 v165, 16, v116
	v_and_b32_e32 v116, 0xffff, v116
	v_mul_u32_u24_e32 v115, 0x10001, v115
	v_mul_u32_u24_e32 v162, 0x10001, v164
	v_pk_fma_f16 v58, v131, v114, v58
	v_pk_fma_f16 v65, v131, v161, v65
	;; [unrolled: 8-line block ×3, first 2 shown]
	v_pk_fma_f16 v49, v132, v115, v49
	v_pk_fma_f16 v48, v132, v162, v48
	v_mul_u32_u24_e32 v117, 0x10001, v117
	v_mul_u32_u24_e32 v164, 0x10001, v166
	v_pk_fma_f16 v58, v135, v116, v58
	v_pk_fma_f16 v65, v135, v163, v65
	v_pk_fma_f16 v49, v134, v116, v49
	v_pk_fma_f16 v48, v134, v163, v48
	v_mul_u32_u24_e32 v165, 0x10001, v168
	v_mul_u32_u24_e32 v166, 0x10001, v167
	v_pk_fma_f16 v58, v137, v117, v58
	v_pk_fma_f16 v65, v137, v164, v65
	;; [unrolled: 6-line block ×4, first 2 shown]
	v_pk_fma_f16 v49, v140, v167, v49
	v_pk_fma_f16 v48, v140, v168, v48
	v_lshrrev_b32_e32 v175, 16, v122
	v_and_b32_e32 v122, 0xffff, v122
	v_mul_u32_u24_e32 v171, 0x10001, v174
	v_mul_u32_u24_e32 v172, 0x10001, v173
	v_pk_fma_f16 v58, v37, v169, v58
	v_pk_fma_f16 v37, v37, v170, v65
	v_pk_fma_f16 v49, v36, v169, v49
	v_pk_fma_f16 v36, v36, v170, v48
	v_lshrrev_b32_e32 v176, 16, v123
	v_and_b32_e32 v123, 0xffff, v123
	v_mul_u32_u24_e32 v122, 0x10001, v122
	v_mul_u32_u24_e32 v173, 0x10001, v175
	v_pk_fma_f16 v58, v39, v171, v58
	v_pk_fma_f16 v37, v39, v172, v37
	;; [unrolled: 8-line block ×20, first 2 shown]
	v_pk_fma_f16 v3, v22, v4, v3
	v_pk_fma_f16 v0, v22, v2, v0
	v_mul_u32_u24_e32 v6, 0x10001, v157
	v_mul_u32_u24_e32 v2, 0x10001, v156
	v_pk_fma_f16 v4, v62, v7, v5
	v_pk_fma_f16 v1, v62, v9, v1
	;; [unrolled: 1-line block ×4, first 2 shown]
	s_wait_loadcnt 0x3
	ds_store_b128 v99, v[118:121]
	s_wait_loadcnt 0x2
	ds_store_b128 v101, v[44:47]
	;; [unrolled: 2-line block ×4, first 2 shown]
	v_pk_fma_f16 v114, v64, v6, v4
	v_pk_fma_f16 v115, v64, v2, v1
	;; [unrolled: 1-line block ×4, first 2 shown]
	s_wait_dscnt 0x0
	s_barrier_signal -1
	s_barrier_wait -1
	global_inv scope:SCOPE_SE
	ds_load_2addr_b64 v[0:3], v91 offset1:32
	ds_load_b128 v[56:59], v100 offset:128
	ds_load_b128 v[52:55], v100 offset:144
	;; [unrolled: 1-line block ×4, first 2 shown]
	ds_load_2addr_b64 v[4:7], v91 offset0:64 offset1:96
	ds_load_2addr_b64 v[8:11], v91 offset0:128 offset1:160
	;; [unrolled: 1-line block ×3, first 2 shown]
	ds_load_2addr_b64 v[16:19], v51 offset1:32
	ds_load_2addr_b64 v[20:23], v51 offset0:64 offset1:96
	ds_load_2addr_b64 v[24:27], v51 offset0:128 offset1:160
	;; [unrolled: 1-line block ×3, first 2 shown]
	ds_load_2addr_b64 v[32:35], v60 offset1:32
	ds_load_2addr_b64 v[40:43], v60 offset0:64 offset1:96
	ds_load_2addr_b64 v[48:51], v60 offset0:128 offset1:160
	ds_load_b128 v[118:121], v100 offset:192
	ds_load_b128 v[122:125], v100 offset:208
	ds_load_2addr_b64 v[60:63], v60 offset0:192 offset1:224
	ds_load_2addr_b64 v[64:67], v113 offset1:32
	ds_load_b128 v[126:129], v100 offset:224
	ds_load_b128 v[130:133], v100 offset:240
	ds_load_2addr_b64 v[134:137], v113 offset0:64 offset1:96
	ds_load_2addr_b64 v[138:141], v113 offset0:128 offset1:160
	;; [unrolled: 1-line block ×3, first 2 shown]
	s_wait_dscnt 0x16
	v_lshrrev_b32_e32 v113, 16, v56
	v_and_b32_e32 v56, 0xffff, v56
	v_lshrrev_b32_e32 v146, 16, v57
	v_and_b32_e32 v57, 0xffff, v57
	v_lshrrev_b32_e32 v147, 16, v58
	v_mul_u32_u24_e32 v113, 0x10001, v113
	v_mul_u32_u24_e32 v56, 0x10001, v56
	v_and_b32_e32 v58, 0xffff, v58
	v_mul_u32_u24_e32 v57, 0x10001, v57
	v_mul_u32_u24_e32 v146, 0x10001, v146
	v_lshrrev_b32_e32 v148, 16, v59
	v_pk_fma_f16 v116, v0, v56, v116
	v_pk_fma_f16 v0, v0, v113, v117
	;; [unrolled: 1-line block ×4, first 2 shown]
	v_and_b32_e32 v59, 0xffff, v59
	v_mul_u32_u24_e32 v58, 0x10001, v58
	v_mul_u32_u24_e32 v147, 0x10001, v147
	v_pk_fma_f16 v114, v2, v57, v116
	v_pk_fma_f16 v0, v2, v146, v0
	;; [unrolled: 1-line block ×4, first 2 shown]
	s_wait_dscnt 0x15
	v_lshrrev_b32_e32 v149, 16, v52
	v_and_b32_e32 v52, 0xffff, v52
	v_mul_u32_u24_e32 v59, 0x10001, v59
	v_mul_u32_u24_e32 v148, 0x10001, v148
	s_wait_dscnt 0x12
	v_pk_fma_f16 v56, v4, v58, v114
	v_pk_fma_f16 v0, v4, v147, v0
	v_pk_fma_f16 v2, v5, v58, v2
	v_pk_fma_f16 v1, v5, v147, v1
	v_lshrrev_b32_e32 v150, 16, v53
	v_and_b32_e32 v53, 0xffff, v53
	v_mul_u32_u24_e32 v52, 0x10001, v52
	v_mul_u32_u24_e32 v149, 0x10001, v149
	v_pk_fma_f16 v5, v6, v59, v56
	v_pk_fma_f16 v0, v6, v148, v0
	v_pk_fma_f16 v2, v7, v59, v2
	v_pk_fma_f16 v1, v7, v148, v1
	v_lshrrev_b32_e32 v151, 16, v54
	v_and_b32_e32 v54, 0xffff, v54
	v_mul_u32_u24_e32 v53, 0x10001, v53
	v_mul_u32_u24_e32 v150, 0x10001, v150
	s_wait_dscnt 0x11
	v_pk_fma_f16 v5, v8, v52, v5
	v_pk_fma_f16 v0, v8, v149, v0
	v_pk_fma_f16 v2, v9, v52, v2
	v_pk_fma_f16 v1, v9, v149, v1
	v_lshrrev_b32_e32 v152, 16, v55
	v_and_b32_e32 v55, 0xffff, v55
	v_mul_u32_u24_e32 v54, 0x10001, v54
	v_mul_u32_u24_e32 v151, 0x10001, v151
	v_pk_fma_f16 v5, v10, v53, v5
	v_pk_fma_f16 v0, v10, v150, v0
	v_pk_fma_f16 v2, v11, v53, v2
	v_pk_fma_f16 v1, v11, v150, v1
	;; [unrolled: 17-line block ×6, first 2 shown]
	s_wait_dscnt 0x8
	v_lshrrev_b32_e32 v161, 16, v118
	v_and_b32_e32 v118, 0xffff, v118
	v_mul_u32_u24_e32 v39, 0x10001, v39
	v_mul_u32_u24_e32 v160, 0x10001, v160
	v_pk_fma_f16 v5, v28, v38, v5
	v_pk_fma_f16 v0, v28, v159, v0
	v_pk_fma_f16 v2, v29, v38, v2
	v_pk_fma_f16 v1, v29, v159, v1
	v_lshrrev_b32_e32 v162, 16, v119
	v_and_b32_e32 v119, 0xffff, v119
	v_mul_u32_u24_e32 v118, 0x10001, v118
	v_mul_u32_u24_e32 v161, 0x10001, v161
	v_pk_fma_f16 v5, v30, v39, v5
	v_pk_fma_f16 v0, v30, v160, v0
	v_pk_fma_f16 v2, v31, v39, v2
	v_pk_fma_f16 v1, v31, v160, v1
	v_lshrrev_b32_e32 v163, 16, v120
	v_and_b32_e32 v120, 0xffff, v120
	v_mul_u32_u24_e32 v113, 0x10001, v119
	v_mul_u32_u24_e32 v3, 0x10001, v162
	v_pk_fma_f16 v5, v32, v118, v5
	v_pk_fma_f16 v0, v32, v161, v0
	v_pk_fma_f16 v2, v33, v118, v2
	v_pk_fma_f16 v1, v33, v161, v1
	v_lshrrev_b32_e32 v164, 16, v121
	v_and_b32_e32 v121, 0xffff, v121
	v_mul_u32_u24_e32 v4, 0x10001, v120
	v_mul_u32_u24_e32 v6, 0x10001, v163
	v_pk_fma_f16 v5, v34, v113, v5
	v_pk_fma_f16 v0, v34, v3, v0
	v_pk_fma_f16 v2, v35, v113, v2
	v_pk_fma_f16 v1, v35, v3, v1
	s_wait_dscnt 0x7
	v_lshrrev_b32_e32 v165, 16, v122
	v_and_b32_e32 v122, 0xffff, v122
	v_mul_u32_u24_e32 v7, 0x10001, v121
	v_mul_u32_u24_e32 v8, 0x10001, v164
	v_pk_fma_f16 v5, v40, v4, v5
	v_pk_fma_f16 v0, v40, v6, v0
	v_pk_fma_f16 v2, v41, v4, v2
	v_pk_fma_f16 v1, v41, v6, v1
	v_lshrrev_b32_e32 v166, 16, v123
	v_and_b32_e32 v123, 0xffff, v123
	v_mul_u32_u24_e32 v9, 0x10001, v122
	v_mul_u32_u24_e32 v10, 0x10001, v165
	v_pk_fma_f16 v5, v42, v7, v5
	v_pk_fma_f16 v0, v42, v8, v0
	v_pk_fma_f16 v2, v43, v7, v2
	v_pk_fma_f16 v1, v43, v8, v1
	v_lshrrev_b32_e32 v167, 16, v124
	v_and_b32_e32 v124, 0xffff, v124
	v_mul_u32_u24_e32 v11, 0x10001, v123
	v_mul_u32_u24_e32 v12, 0x10001, v166
	v_pk_fma_f16 v5, v48, v9, v5
	v_pk_fma_f16 v0, v48, v10, v0
	v_pk_fma_f16 v2, v49, v9, v2
	v_pk_fma_f16 v1, v49, v10, v1
	v_lshrrev_b32_e32 v168, 16, v125
	v_and_b32_e32 v125, 0xffff, v125
	v_mul_u32_u24_e32 v13, 0x10001, v124
	v_mul_u32_u24_e32 v14, 0x10001, v167
	v_pk_fma_f16 v5, v50, v11, v5
	v_pk_fma_f16 v0, v50, v12, v0
	v_pk_fma_f16 v2, v51, v11, v2
	v_pk_fma_f16 v1, v51, v12, v1
	;; [unrolled: 33-line block ×3, first 2 shown]
	s_wait_dscnt 0x3
	v_lshrrev_b32_e32 v173, 16, v130
	v_and_b32_e32 v130, 0xffff, v130
	v_mul_u32_u24_e32 v7, 0x10001, v129
	v_mul_u32_u24_e32 v8, 0x10001, v172
	s_wait_dscnt 0x2
	v_pk_fma_f16 v5, v134, v4, v5
	v_pk_fma_f16 v0, v134, v6, v0
	;; [unrolled: 1-line block ×4, first 2 shown]
	s_wait_loadcnt_dscnt 0x0
	s_barrier_signal -1
	s_barrier_wait -1
	global_inv scope:SCOPE_SE
	s_load_b32 s11, s[24:25], 0x4
	v_lshrrev_b32_e32 v174, 16, v131
	v_and_b32_e32 v131, 0xffff, v131
	v_mul_u32_u24_e32 v9, 0x10001, v130
	v_mul_u32_u24_e32 v10, 0x10001, v173
	v_pk_fma_f16 v5, v136, v7, v5
	v_pk_fma_f16 v0, v136, v8, v0
	v_pk_fma_f16 v2, v137, v7, v2
	v_pk_fma_f16 v1, v137, v8, v1
	v_lshrrev_b32_e32 v175, 16, v132
	v_and_b32_e32 v132, 0xffff, v132
	v_mul_u32_u24_e32 v11, 0x10001, v131
	v_mul_u32_u24_e32 v3, 0x10001, v174
	v_pk_fma_f16 v5, v138, v9, v5
	v_pk_fma_f16 v0, v138, v10, v0
	v_pk_fma_f16 v2, v139, v9, v2
	v_pk_fma_f16 v1, v139, v10, v1
	;; [unrolled: 8-line block ×3, first 2 shown]
	v_mul_u32_u24_e32 v7, 0x10001, v133
	v_mul_u32_u24_e32 v3, 0x10001, v176
	v_pk_fma_f16 v5, v142, v4, v5
	v_pk_fma_f16 v0, v142, v6, v0
	v_pk_fma_f16 v2, v143, v4, v2
	v_pk_fma_f16 v1, v143, v6, v1
	s_wait_kmcnt 0x0
	s_lshl_b32 s11, s11, 6
	v_pk_fma_f16 v49, v144, v7, v5
	v_pk_fma_f16 v48, v144, v3, v0
	;; [unrolled: 1-line block ×4, first 2 shown]
	s_wait_alu 0xfffe
	s_add_co_i32 s10, s11, s10
	s_wait_alu 0xfffe
	s_cmp_ge_i32 s10, s30
	s_cbranch_scc1 .LBB83_27
; %bb.26:                               ;   in Loop: Header=BB83_9 Depth=1
	v_dual_mov_b32 v20, v87 :: v_dual_mov_b32 v19, v88
	v_mov_b32_e32 v18, v111
	v_mov_b32_e32 v50, v112
	s_branch .LBB83_9
.LBB83_27:
	v_mov_b32_e32 v0, v92
.LBB83_28:
	v_cmp_lt_i32_e32 vcc_lo, v110, v93
	s_cmp_lg_u64 s[12:13], 0
	s_cselect_b32 s3, -1, 0
	s_cmp_eq_u32 s4, 0
	s_wait_alu 0xfffd
	v_cndmask_b32_e32 v1, v0, v110, vcc_lo
	v_cmp_lt_i32_e32 vcc_lo, v106, v93
	s_cselect_b32 s5, -1, 0
	s_wait_alu 0xfffe
	s_and_b32 s3, s5, s3
	v_lshlrev_b32_e32 v1, 2, v1
	s_wait_alu 0xfffd
	v_cndmask_b32_e32 v3, v0, v106, vcc_lo
	v_cmp_lt_i32_e32 vcc_lo, v107, v93
	ds_bpermute_b32 v2, v1, v111
	v_lshlrev_b32_e32 v3, 2, v3
	s_wait_alu 0xfffd
	v_cndmask_b32_e32 v5, v0, v107, vcc_lo
	v_cmp_lt_i32_e32 vcc_lo, v108, v93
	s_wait_dscnt 0x0
	s_delay_alu instid0(VALU_DEP_2)
	v_dual_add_f32 v2, v111, v2 :: v_dual_lshlrev_b32 v5, 2, v5
	ds_bpermute_b32 v1, v1, v112
	ds_bpermute_b32 v4, v3, v2
	s_wait_dscnt 0x0
	v_dual_add_f32 v2, v2, v4 :: v_dual_add_f32 v1, v112, v1
	ds_bpermute_b32 v3, v3, v1
	s_wait_dscnt 0x0
	v_add_f32_e32 v1, v1, v3
	ds_bpermute_b32 v3, v5, v2
	ds_bpermute_b32 v4, v5, v1
	s_wait_alu 0xfffd
	v_cndmask_b32_e32 v5, v0, v108, vcc_lo
	v_cmp_lt_i32_e32 vcc_lo, v109, v93
	s_delay_alu instid0(VALU_DEP_2) | instskip(SKIP_4) | instid1(VALU_DEP_1)
	v_lshlrev_b32_e32 v5, 2, v5
	s_wait_alu 0xfffd
	v_cndmask_b32_e32 v0, v0, v109, vcc_lo
	s_wait_alu 0xfffe
	s_and_b32 vcc_lo, exec_lo, s3
	v_lshlrev_b32_e32 v0, 2, v0
	s_wait_dscnt 0x0
	v_dual_add_f32 v2, v2, v3 :: v_dual_add_f32 v1, v1, v4
	ds_bpermute_b32 v3, v5, v2
	ds_bpermute_b32 v4, v5, v1
	s_wait_dscnt 0x0
	v_dual_add_f32 v2, v2, v3 :: v_dual_add_f32 v1, v1, v4
	ds_bpermute_b32 v3, v0, v2
	ds_bpermute_b32 v4, v0, v1
	s_wait_dscnt 0x0
	v_dual_add_f32 v0, v2, v3 :: v_dual_add_f32 v1, v1, v4
	s_wait_alu 0xfffe
	s_cbranch_vccz .LBB83_31
; %bb.29:
	s_ashr_i32 s29, s28, 31
	v_mov_b32_e32 v2, 0
	s_lshl_b64 s[6:7], s[28:29], 2
	s_delay_alu instid0(SALU_CYCLE_1) | instskip(SKIP_4) | instid1(VALU_DEP_1)
	s_add_nc_u64 s[6:7], s[12:13], s[6:7]
	global_load_b64 v[2:3], v2, s[6:7]
	v_max_num_f32_e32 v4, v87, v87
	s_wait_loadcnt 0x0
	v_dual_max_num_f32 v6, v88, v88 :: v_dual_max_num_f32 v5, v2, v2
	v_dual_max_num_f32 v7, v3, v3 :: v_dual_max_num_f32 v4, v4, v5
	s_delay_alu instid0(VALU_DEP_1) | instskip(NEXT) | instid1(VALU_DEP_1)
	v_dual_max_num_f32 v5, v6, v7 :: v_dual_sub_f32 v6, v87, v4
	v_sub_f32_e32 v7, v88, v5
	v_dual_sub_f32 v3, v3, v5 :: v_dual_sub_f32 v2, v2, v4
	v_mov_b32_e32 v88, v5
	s_delay_alu instid0(VALU_DEP_4) | instskip(NEXT) | instid1(VALU_DEP_4)
	v_cmp_ngt_f32_e32 vcc_lo, 0xc2ce8ed0, v6
	v_mul_f32_e32 v10, 0x3fb8aa3b, v7
	s_delay_alu instid0(VALU_DEP_4) | instskip(SKIP_2) | instid1(VALU_DEP_4)
	v_mul_f32_e32 v11, 0x3fb8aa3b, v3
	v_mul_f32_e32 v9, 0x3fb8aa3b, v2
	v_mov_b32_e32 v87, v4
	v_rndne_f32_e32 v18, v10
	s_delay_alu instid0(VALU_DEP_4) | instskip(NEXT) | instid1(VALU_DEP_4)
	v_fma_f32 v20, 0x3fb8aa3b, v3, -v11
	v_fma_f32 v14, 0x3fb8aa3b, v2, -v9
	v_rndne_f32_e32 v19, v9
	v_mul_f32_e32 v8, 0x3fb8aa3b, v6
	v_rndne_f32_e32 v21, v11
	v_fma_f32 v15, 0x3fb8aa3b, v7, -v10
	s_delay_alu instid0(VALU_DEP_4) | instskip(NEXT) | instid1(VALU_DEP_4)
	v_dual_sub_f32 v10, v10, v18 :: v_dual_sub_f32 v9, v9, v19
	v_rndne_f32_e32 v13, v8
	s_delay_alu instid0(VALU_DEP_4) | instskip(SKIP_3) | instid1(VALU_DEP_4)
	v_dual_fmac_f32 v20, 0x32a5705f, v3 :: v_dual_sub_f32 v11, v11, v21
	v_fmac_f32_e32 v14, 0x32a5705f, v2
	v_fma_f32 v12, 0x3fb8aa3b, v6, -v8
	v_fmac_f32_e32 v15, 0x32a5705f, v7
	v_dual_add_f32 v11, v11, v20 :: v_dual_sub_f32 v8, v8, v13
	s_delay_alu instid0(VALU_DEP_4) | instskip(NEXT) | instid1(VALU_DEP_4)
	v_add_f32_e32 v9, v9, v14
	v_fmac_f32_e32 v12, 0x32a5705f, v6
	v_cvt_i32_f32_e32 v14, v19
	s_delay_alu instid0(VALU_DEP_4) | instskip(NEXT) | instid1(VALU_DEP_3)
	v_exp_f32_e32 v11, v11
	v_exp_f32_e32 v9, v9
	s_delay_alu instid0(VALU_DEP_2) | instskip(SKIP_2) | instid1(VALU_DEP_3)
	v_add_f32_e32 v8, v8, v12
	v_cvt_i32_f32_e32 v12, v13
	v_cvt_i32_f32_e32 v13, v18
	v_exp_f32_e32 v8, v8
	s_delay_alu instid0(TRANS32_DEP_2) | instskip(SKIP_1) | instid1(VALU_DEP_1)
	v_ldexp_f32 v9, v9, v14
	v_add_f32_e32 v10, v10, v15
	v_exp_f32_e32 v10, v10
	s_delay_alu instid0(TRANS32_DEP_2) | instskip(SKIP_2) | instid1(VALU_DEP_2)
	v_ldexp_f32 v8, v8, v12
	v_cvt_i32_f32_e32 v12, v21
	s_wait_alu 0xfffd
	v_cndmask_b32_e32 v8, 0, v8, vcc_lo
	v_cmp_ngt_f32_e32 vcc_lo, 0xc2ce8ed0, v7
	s_delay_alu instid0(TRANS32_DEP_1) | instskip(SKIP_1) | instid1(VALU_DEP_1)
	v_ldexp_f32 v10, v10, v13
	s_wait_alu 0xfffd
	v_cndmask_b32_e32 v10, 0, v10, vcc_lo
	v_cmp_nlt_f32_e32 vcc_lo, 0x42b17218, v6
	s_wait_alu 0xfffd
	v_cndmask_b32_e32 v6, 0x7f800000, v8, vcc_lo
	v_cmp_nlt_f32_e32 vcc_lo, 0x42b17218, v7
	v_ldexp_f32 v8, v11, v12
	s_wait_alu 0xfffd
	v_cndmask_b32_e32 v7, 0x7f800000, v10, vcc_lo
	v_cmp_ngt_f32_e32 vcc_lo, 0xc2ce8ed0, v2
	s_delay_alu instid0(VALU_DEP_2)
	v_cvt_f16_f32_e32 v11, v7
	s_wait_alu 0xfffd
	v_cndmask_b32_e32 v9, 0, v9, vcc_lo
	v_cmp_ngt_f32_e32 vcc_lo, 0xc2ce8ed0, v3
	s_wait_alu 0xfffd
	v_cndmask_b32_e32 v8, 0, v8, vcc_lo
	v_cmp_nlt_f32_e32 vcc_lo, 0x42b17218, v2
	s_wait_alu 0xfffd
	v_cndmask_b32_e32 v2, 0x7f800000, v9, vcc_lo
	v_cmp_nlt_f32_e32 vcc_lo, 0x42b17218, v3
	s_wait_alu 0xfffd
	v_cndmask_b32_e32 v3, 0x7f800000, v8, vcc_lo
	s_delay_alu instid0(VALU_DEP_1) | instskip(NEXT) | instid1(VALU_DEP_1)
	v_fmac_f32_e32 v3, v1, v7
	v_mov_b32_e32 v1, v3
	v_cvt_f16_f32_e32 v10, v6
	v_fmac_f32_e32 v2, v0, v6
	s_delay_alu instid0(VALU_DEP_2) | instskip(SKIP_1) | instid1(VALU_DEP_3)
	v_and_b32_e32 v9, 0xffff, v10
	v_and_b32_e32 v10, 0xffff, v11
	v_mov_b32_e32 v0, v2
	s_delay_alu instid0(VALU_DEP_3) | instskip(NEXT) | instid1(VALU_DEP_3)
	v_mul_u32_u24_e32 v6, 0x10001, v9
	v_mul_u32_u24_e32 v4, 0x10001, v10
	s_delay_alu instid0(VALU_DEP_2) | instskip(SKIP_1) | instid1(VALU_DEP_3)
	v_pk_mul_f16 v49, v49, v6
	v_pk_mul_f16 v17, v17, v6
	;; [unrolled: 1-line block ×4, first 2 shown]
	s_mov_b32 s3, exec_lo
	v_cmpx_gt_i32_e64 s22, v68
	s_cbranch_execnz .LBB83_32
.LBB83_30:
	s_nop 0
	s_sendmsg sendmsg(MSG_DEALLOC_VGPRS)
	s_endpgm
.LBB83_31:
	s_delay_alu instid0(VALU_DEP_1)
	v_dual_mov_b32 v3, v1 :: v_dual_mov_b32 v2, v0
	s_mov_b32 s3, exec_lo
	v_cmpx_gt_i32_e64 s22, v68
	s_cbranch_execz .LBB83_30
.LBB83_32:
	s_load_b32 s1, s[0:1], 0xd4
	v_mov_b32_e32 v6, 1.0
	s_wait_kmcnt 0x0
	s_cmp_lg_u32 s1, 1
	s_cselect_b32 s5, -1, 0
	s_cmp_eq_u32 s1, 1
	s_cselect_b32 s3, -1, 0
	s_wait_alu 0xfffe
	s_and_b32 vcc_lo, exec_lo, s5
	s_wait_alu 0xfffe
	s_cbranch_vccnz .LBB83_34
; %bb.33:
	v_div_scale_f32 v4, null, v0, v0, 1.0
	s_delay_alu instid0(VALU_DEP_1) | instskip(NEXT) | instid1(TRANS32_DEP_1)
	v_rcp_f32_e32 v5, v4
	v_fma_f32 v6, -v4, v5, 1.0
	s_delay_alu instid0(VALU_DEP_1) | instskip(SKIP_1) | instid1(VALU_DEP_1)
	v_fmac_f32_e32 v5, v6, v5
	v_div_scale_f32 v6, vcc_lo, 1.0, v0, 1.0
	v_mul_f32_e32 v7, v6, v5
	s_delay_alu instid0(VALU_DEP_1) | instskip(NEXT) | instid1(VALU_DEP_1)
	v_fma_f32 v8, -v4, v7, v6
	v_fmac_f32_e32 v7, v8, v5
	s_delay_alu instid0(VALU_DEP_1) | instskip(SKIP_1) | instid1(VALU_DEP_1)
	v_fma_f32 v4, -v4, v7, v6
	s_wait_alu 0xfffd
	v_div_fmas_f32 v4, v4, v5, v7
	s_delay_alu instid0(VALU_DEP_1)
	v_div_fixup_f32 v6, v4, v0, 1.0
.LBB83_34:
	v_mad_co_u64_u32 v[4:5], null, s2, s22, v[68:69]
	v_cvt_f32_f16_e32 v9, v49
	v_mov_b32_e32 v8, 0
	v_lshrrev_b32_e32 v0, 16, v49
	v_cvt_f32_f16_e32 v10, v17
	v_cmp_eq_u32_e32 vcc_lo, 0, v69
	v_mad_co_u64_u32 v[4:5], null, v4, s23, s[28:29]
	s_delay_alu instid0(VALU_DEP_4) | instskip(NEXT) | instid1(VALU_DEP_2)
	v_cvt_f32_f16_e32 v0, v0
	v_mad_co_u64_u32 v[4:5], null, s1, v4, s[4:5]
	v_lshrrev_b32_e32 v5, 16, v17
	s_delay_alu instid0(VALU_DEP_1) | instskip(NEXT) | instid1(VALU_DEP_3)
	v_cvt_f32_f16_e32 v5, v5
	v_lshl_add_u32 v7, v4, 7, v89
	s_delay_alu instid0(VALU_DEP_1)
	v_lshlrev_b64_e32 v[11:12], 2, v[7:8]
	v_mul_f32_e32 v7, v6, v9
	v_mul_f32_e32 v9, v6, v10
	;; [unrolled: 1-line block ×4, first 2 shown]
	v_add_co_u32 v5, s0, s16, v11
	s_wait_alu 0xf1ff
	v_add_co_ci_u32_e64 v6, null, s17, v12, s0
	s_and_b32 s0, vcc_lo, s5
	global_store_b128 v[5:6], v[7:10], off
	s_wait_alu 0xfffe
	s_and_saveexec_b32 s2, s0
	s_cbranch_execz .LBB83_36
; %bb.35:
	v_ashrrev_i32_e32 v5, 31, v4
	v_dual_mov_b32 v7, v87 :: v_dual_mov_b32 v8, v2
	s_delay_alu instid0(VALU_DEP_2) | instskip(NEXT) | instid1(VALU_DEP_1)
	v_lshlrev_b64_e32 v[5:6], 3, v[4:5]
	v_add_co_u32 v5, vcc_lo, s18, v5
	s_wait_alu 0xfffd
	s_delay_alu instid0(VALU_DEP_2)
	v_add_co_ci_u32_e64 v6, null, s19, v6, vcc_lo
	global_store_b64 v[5:6], v[7:8], off
.LBB83_36:
	s_wait_alu 0xfffe
	s_or_b32 exec_lo, exec_lo, s2
	v_mov_b32_e32 v2, 1.0
	s_and_not1_b32 vcc_lo, exec_lo, s3
	s_wait_alu 0xfffe
	s_cbranch_vccnz .LBB83_38
; %bb.37:
	v_div_scale_f32 v0, null, v1, v1, 1.0
	s_delay_alu instid0(VALU_DEP_1) | instskip(NEXT) | instid1(TRANS32_DEP_1)
	v_rcp_f32_e32 v2, v0
	v_fma_f32 v5, -v0, v2, 1.0
	s_delay_alu instid0(VALU_DEP_1) | instskip(SKIP_1) | instid1(VALU_DEP_1)
	v_fmac_f32_e32 v2, v5, v2
	v_div_scale_f32 v5, vcc_lo, 1.0, v1, 1.0
	v_mul_f32_e32 v6, v5, v2
	s_delay_alu instid0(VALU_DEP_1) | instskip(NEXT) | instid1(VALU_DEP_1)
	v_fma_f32 v7, -v0, v6, v5
	v_fmac_f32_e32 v6, v7, v2
	s_delay_alu instid0(VALU_DEP_1) | instskip(SKIP_1) | instid1(VALU_DEP_1)
	v_fma_f32 v0, -v0, v6, v5
	s_wait_alu 0xfffd
	v_div_fmas_f32 v0, v0, v2, v6
	s_delay_alu instid0(VALU_DEP_1)
	v_div_fixup_f32 v2, v0, v1, 1.0
.LBB83_38:
	v_dual_mov_b32 v5, 0 :: v_dual_add_nc_u32 v0, s1, v4
	v_lshrrev_b32_e32 v1, 16, v48
	v_lshrrev_b32_e32 v6, 16, v16
	v_cvt_f32_f16_e32 v7, v48
	s_delay_alu instid0(VALU_DEP_4) | instskip(SKIP_3) | instid1(VALU_DEP_4)
	v_lshl_add_u32 v4, v0, 7, v89
	v_cvt_f32_f16_e32 v10, v16
	v_cvt_f32_f16_e32 v1, v1
	;; [unrolled: 1-line block ×3, first 2 shown]
	v_lshlrev_b64_e32 v[8:9], 2, v[4:5]
	v_mul_f32_e32 v4, v2, v7
	s_delay_alu instid0(VALU_DEP_4)
	v_mul_f32_e32 v5, v2, v1
	v_mul_f32_e32 v6, v2, v10
	v_mul_f32_e32 v7, v2, v11
	v_add_co_u32 v1, vcc_lo, s16, v8
	s_wait_alu 0xfffd
	v_add_co_ci_u32_e64 v2, null, s17, v9, vcc_lo
	global_store_b128 v[1:2], v[4:7], off
	s_and_b32 exec_lo, exec_lo, s0
	s_cbranch_execz .LBB83_30
; %bb.39:
	v_ashrrev_i32_e32 v1, 31, v0
	v_mov_b32_e32 v2, v88
	s_delay_alu instid0(VALU_DEP_2) | instskip(NEXT) | instid1(VALU_DEP_1)
	v_lshlrev_b64_e32 v[0:1], 3, v[0:1]
	v_add_co_u32 v0, vcc_lo, s18, v0
	s_wait_alu 0xfffd
	s_delay_alu instid0(VALU_DEP_2)
	v_add_co_ci_u32_e64 v1, null, s19, v1, vcc_lo
	global_store_b64 v[0:1], v[2:3], off
	s_nop 0
	s_sendmsg sendmsg(MSG_DEALLOC_VGPRS)
	s_endpgm
	.section	.rodata,"a",@progbits
	.p2align	6, 0x0
	.amdhsa_kernel _ZL15flash_attn_tileILi128ELi128ELi4ELi2ELb1EEvPKcS1_S1_S1_S1_PKiPfP15HIP_vector_typeIfLj2EEffffjfiS5_IjLj3EEiiiiiiiiiiiliiliiiiil
		.amdhsa_group_segment_fixed_size 12288
		.amdhsa_private_segment_fixed_size 0
		.amdhsa_kernarg_size 464
		.amdhsa_user_sgpr_count 2
		.amdhsa_user_sgpr_dispatch_ptr 0
		.amdhsa_user_sgpr_queue_ptr 0
		.amdhsa_user_sgpr_kernarg_segment_ptr 1
		.amdhsa_user_sgpr_dispatch_id 0
		.amdhsa_user_sgpr_private_segment_size 0
		.amdhsa_wavefront_size32 1
		.amdhsa_uses_dynamic_stack 0
		.amdhsa_enable_private_segment 0
		.amdhsa_system_sgpr_workgroup_id_x 1
		.amdhsa_system_sgpr_workgroup_id_y 1
		.amdhsa_system_sgpr_workgroup_id_z 1
		.amdhsa_system_sgpr_workgroup_info 0
		.amdhsa_system_vgpr_workitem_id 1
		.amdhsa_next_free_vgpr 191
		.amdhsa_next_free_sgpr 42
		.amdhsa_reserve_vcc 1
		.amdhsa_float_round_mode_32 0
		.amdhsa_float_round_mode_16_64 0
		.amdhsa_float_denorm_mode_32 3
		.amdhsa_float_denorm_mode_16_64 3
		.amdhsa_fp16_overflow 0
		.amdhsa_workgroup_processor_mode 1
		.amdhsa_memory_ordered 1
		.amdhsa_forward_progress 1
		.amdhsa_inst_pref_size 94
		.amdhsa_round_robin_scheduling 0
		.amdhsa_exception_fp_ieee_invalid_op 0
		.amdhsa_exception_fp_denorm_src 0
		.amdhsa_exception_fp_ieee_div_zero 0
		.amdhsa_exception_fp_ieee_overflow 0
		.amdhsa_exception_fp_ieee_underflow 0
		.amdhsa_exception_fp_ieee_inexact 0
		.amdhsa_exception_int_div_zero 0
	.end_amdhsa_kernel
	.section	.text._ZL15flash_attn_tileILi128ELi128ELi4ELi2ELb1EEvPKcS1_S1_S1_S1_PKiPfP15HIP_vector_typeIfLj2EEffffjfiS5_IjLj3EEiiiiiiiiiiiliiliiiiil,"axG",@progbits,_ZL15flash_attn_tileILi128ELi128ELi4ELi2ELb1EEvPKcS1_S1_S1_S1_PKiPfP15HIP_vector_typeIfLj2EEffffjfiS5_IjLj3EEiiiiiiiiiiiliiliiiiil,comdat
.Lfunc_end83:
	.size	_ZL15flash_attn_tileILi128ELi128ELi4ELi2ELb1EEvPKcS1_S1_S1_S1_PKiPfP15HIP_vector_typeIfLj2EEffffjfiS5_IjLj3EEiiiiiiiiiiiliiliiiiil, .Lfunc_end83-_ZL15flash_attn_tileILi128ELi128ELi4ELi2ELb1EEvPKcS1_S1_S1_S1_PKiPfP15HIP_vector_typeIfLj2EEffffjfiS5_IjLj3EEiiiiiiiiiiiliiliiiiil
                                        ; -- End function
	.set _ZL15flash_attn_tileILi128ELi128ELi4ELi2ELb1EEvPKcS1_S1_S1_S1_PKiPfP15HIP_vector_typeIfLj2EEffffjfiS5_IjLj3EEiiiiiiiiiiiliiliiiiil.num_vgpr, 191
	.set _ZL15flash_attn_tileILi128ELi128ELi4ELi2ELb1EEvPKcS1_S1_S1_S1_PKiPfP15HIP_vector_typeIfLj2EEffffjfiS5_IjLj3EEiiiiiiiiiiiliiliiiiil.num_agpr, 0
	.set _ZL15flash_attn_tileILi128ELi128ELi4ELi2ELb1EEvPKcS1_S1_S1_S1_PKiPfP15HIP_vector_typeIfLj2EEffffjfiS5_IjLj3EEiiiiiiiiiiiliiliiiiil.numbered_sgpr, 42
	.set _ZL15flash_attn_tileILi128ELi128ELi4ELi2ELb1EEvPKcS1_S1_S1_S1_PKiPfP15HIP_vector_typeIfLj2EEffffjfiS5_IjLj3EEiiiiiiiiiiiliiliiiiil.num_named_barrier, 0
	.set _ZL15flash_attn_tileILi128ELi128ELi4ELi2ELb1EEvPKcS1_S1_S1_S1_PKiPfP15HIP_vector_typeIfLj2EEffffjfiS5_IjLj3EEiiiiiiiiiiiliiliiiiil.private_seg_size, 0
	.set _ZL15flash_attn_tileILi128ELi128ELi4ELi2ELb1EEvPKcS1_S1_S1_S1_PKiPfP15HIP_vector_typeIfLj2EEffffjfiS5_IjLj3EEiiiiiiiiiiiliiliiiiil.uses_vcc, 1
	.set _ZL15flash_attn_tileILi128ELi128ELi4ELi2ELb1EEvPKcS1_S1_S1_S1_PKiPfP15HIP_vector_typeIfLj2EEffffjfiS5_IjLj3EEiiiiiiiiiiiliiliiiiil.uses_flat_scratch, 0
	.set _ZL15flash_attn_tileILi128ELi128ELi4ELi2ELb1EEvPKcS1_S1_S1_S1_PKiPfP15HIP_vector_typeIfLj2EEffffjfiS5_IjLj3EEiiiiiiiiiiiliiliiiiil.has_dyn_sized_stack, 0
	.set _ZL15flash_attn_tileILi128ELi128ELi4ELi2ELb1EEvPKcS1_S1_S1_S1_PKiPfP15HIP_vector_typeIfLj2EEffffjfiS5_IjLj3EEiiiiiiiiiiiliiliiiiil.has_recursion, 0
	.set _ZL15flash_attn_tileILi128ELi128ELi4ELi2ELb1EEvPKcS1_S1_S1_S1_PKiPfP15HIP_vector_typeIfLj2EEffffjfiS5_IjLj3EEiiiiiiiiiiiliiliiiiil.has_indirect_call, 0
	.section	.AMDGPU.csdata,"",@progbits
; Kernel info:
; codeLenInByte = 11932
; TotalNumSgprs: 44
; NumVgprs: 191
; ScratchSize: 0
; MemoryBound: 0
; FloatMode: 240
; IeeeMode: 1
; LDSByteSize: 12288 bytes/workgroup (compile time only)
; SGPRBlocks: 0
; VGPRBlocks: 23
; NumSGPRsForWavesPerEU: 44
; NumVGPRsForWavesPerEU: 191
; Occupancy: 8
; WaveLimiterHint : 1
; COMPUTE_PGM_RSRC2:SCRATCH_EN: 0
; COMPUTE_PGM_RSRC2:USER_SGPR: 2
; COMPUTE_PGM_RSRC2:TRAP_HANDLER: 0
; COMPUTE_PGM_RSRC2:TGID_X_EN: 1
; COMPUTE_PGM_RSRC2:TGID_Y_EN: 1
; COMPUTE_PGM_RSRC2:TGID_Z_EN: 1
; COMPUTE_PGM_RSRC2:TIDIG_COMP_CNT: 1
	.section	.text._ZL15flash_attn_tileILi128ELi128ELi2ELi2ELb1EEvPKcS1_S1_S1_S1_PKiPfP15HIP_vector_typeIfLj2EEffffjfiS5_IjLj3EEiiiiiiiiiiiliiliiiiil,"axG",@progbits,_ZL15flash_attn_tileILi128ELi128ELi2ELi2ELb1EEvPKcS1_S1_S1_S1_PKiPfP15HIP_vector_typeIfLj2EEffffjfiS5_IjLj3EEiiiiiiiiiiiliiliiiiil,comdat
	.globl	_ZL15flash_attn_tileILi128ELi128ELi2ELi2ELb1EEvPKcS1_S1_S1_S1_PKiPfP15HIP_vector_typeIfLj2EEffffjfiS5_IjLj3EEiiiiiiiiiiiliiliiiiil ; -- Begin function _ZL15flash_attn_tileILi128ELi128ELi2ELi2ELb1EEvPKcS1_S1_S1_S1_PKiPfP15HIP_vector_typeIfLj2EEffffjfiS5_IjLj3EEiiiiiiiiiiiliiliiiiil
	.p2align	8
	.type	_ZL15flash_attn_tileILi128ELi128ELi2ELi2ELb1EEvPKcS1_S1_S1_S1_PKiPfP15HIP_vector_typeIfLj2EEffffjfiS5_IjLj3EEiiiiiiiiiiiliiliiiiil,@function
_ZL15flash_attn_tileILi128ELi128ELi2ELi2ELb1EEvPKcS1_S1_S1_S1_PKiPfP15HIP_vector_typeIfLj2EEffffjfiS5_IjLj3EEiiiiiiiiiiiliiliiiiil: ; @_ZL15flash_attn_tileILi128ELi128ELi2ELi2ELb1EEvPKcS1_S1_S1_S1_PKiPfP15HIP_vector_typeIfLj2EEffffjfiS5_IjLj3EEiiiiiiiiiiiliiliiiiil
; %bb.0:
	s_clause 0x1
	s_load_b128 s[20:23], s[0:1], 0x5c
	s_load_b64 s[28:29], s[0:1], 0x80
	s_lshr_b32 s5, ttmp7, 16
	s_load_b64 s[36:37], s[0:1], 0xb8
	s_mov_b32 s35, 0
	s_mov_b64 s[30:31], 0
	s_wait_kmcnt 0x0
	s_lshr_b32 s2, s23, 31
	s_delay_alu instid0(SALU_CYCLE_1) | instskip(NEXT) | instid1(SALU_CYCLE_1)
	s_add_co_i32 s2, s23, s2
	s_ashr_i32 s2, s2, 1
	s_delay_alu instid0(SALU_CYCLE_1) | instskip(SKIP_1) | instid1(SALU_CYCLE_2)
	s_cvt_f32_u32 s3, s2
	s_sub_co_i32 s4, 0, s2
	v_rcp_iflag_f32_e32 v1, s3
	s_delay_alu instid0(TRANS32_DEP_1) | instskip(SKIP_2) | instid1(SALU_CYCLE_2)
	v_readfirstlane_b32 s3, v1
	s_mul_f32 s3, s3, 0x4f7ffffe
	s_wait_alu 0xfffe
	s_cvt_u32_f32 s3, s3
	s_wait_alu 0xfffe
	s_delay_alu instid0(SALU_CYCLE_2) | instskip(NEXT) | instid1(SALU_CYCLE_1)
	s_mul_i32 s4, s4, s3
	s_mul_hi_u32 s4, s3, s4
	s_delay_alu instid0(SALU_CYCLE_1)
	s_add_co_i32 s3, s3, s4
	s_wait_alu 0xfffe
	s_mul_hi_u32 s3, s5, s3
	s_wait_alu 0xfffe
	s_mul_i32 s4, s3, s2
	s_add_co_i32 s6, s3, 1
	s_sub_co_i32 s4, s5, s4
	s_delay_alu instid0(SALU_CYCLE_1)
	s_sub_co_i32 s7, s4, s2
	s_cmp_ge_u32 s4, s2
	s_cselect_b32 s3, s6, s3
	s_cselect_b32 s4, s7, s4
	s_wait_alu 0xfffe
	s_add_co_i32 s6, s3, 1
	s_cmp_ge_u32 s4, s2
	s_cselect_b32 s2, s6, s3
	s_abs_i32 s3, s29
	s_abs_i32 s8, s23
	s_wait_alu 0xfffe
	s_cvt_f32_u32 s4, s3
	s_sub_co_i32 s6, 0, s3
	s_lshl_b32 s5, s5, 1
	s_mul_i32 s7, s2, s23
	v_rcp_iflag_f32_e32 v1, s4
	s_sub_co_i32 s33, s5, s7
	s_xor_b32 s5, s23, s29
	s_wait_alu 0xfffe
	s_ashr_i32 s24, s5, 31
	s_delay_alu instid0(TRANS32_DEP_1) | instskip(SKIP_2) | instid1(SALU_CYCLE_2)
	v_readfirstlane_b32 s4, v1
	s_mul_f32 s4, s4, 0x4f7ffffe
	s_wait_alu 0xfffe
	s_cvt_u32_f32 s4, s4
	s_wait_alu 0xfffe
	s_delay_alu instid0(SALU_CYCLE_2) | instskip(NEXT) | instid1(SALU_CYCLE_1)
	s_mul_i32 s6, s6, s4
	s_mul_hi_u32 s6, s4, s6
	s_delay_alu instid0(SALU_CYCLE_1) | instskip(SKIP_4) | instid1(SALU_CYCLE_1)
	s_add_co_i32 s4, s4, s6
	s_wait_alu 0xfffe
	s_mul_hi_u32 s4, s8, s4
	s_wait_alu 0xfffe
	s_mul_i32 s6, s4, s3
	s_sub_co_i32 s5, s8, s6
	s_add_co_i32 s6, s4, 1
	s_wait_alu 0xfffe
	s_sub_co_i32 s7, s5, s3
	s_cmp_ge_u32 s5, s3
	s_cselect_b32 s4, s6, s4
	s_cselect_b32 s5, s7, s5
	s_wait_alu 0xfffe
	s_add_co_i32 s6, s4, 1
	s_cmp_ge_u32 s5, s3
	s_cselect_b32 s3, s6, s4
	s_load_b512 s[4:19], s[0:1], 0x0
	s_xor_b32 s3, s3, s24
	s_wait_alu 0xfffe
	s_sub_co_i32 s38, s3, s24
	s_delay_alu instid0(SALU_CYCLE_1) | instskip(NEXT) | instid1(SALU_CYCLE_1)
	s_abs_i32 s29, s38
	s_cvt_f32_u32 s3, s29
	s_wait_alu 0xfffe
	s_delay_alu instid0(SALU_CYCLE_2) | instskip(SKIP_2) | instid1(TRANS32_DEP_1)
	v_rcp_iflag_f32_e32 v1, s3
	s_wait_kmcnt 0x0
	s_cmp_eq_u64 s[10:11], 0
	v_readfirstlane_b32 s24, v1
	s_cbranch_scc1 .LBB84_2
; %bb.1:
	s_abs_i32 s3, s36
	s_wait_alu 0xfffe
	s_cvt_f32_u32 s25, s3
	s_sub_co_i32 s26, 0, s3
	s_delay_alu instid0(SALU_CYCLE_2) | instskip(NEXT) | instid1(TRANS32_DEP_1)
	v_rcp_iflag_f32_e32 v1, s25
	v_readfirstlane_b32 s25, v1
	s_mul_f32 s25, s25, 0x4f7ffffe
	s_wait_alu 0xfffe
	s_delay_alu instid0(SALU_CYCLE_2) | instskip(SKIP_1) | instid1(SALU_CYCLE_2)
	s_cvt_u32_f32 s25, s25
	s_wait_alu 0xfffe
	s_mul_i32 s26, s26, s25
	s_delay_alu instid0(SALU_CYCLE_1)
	s_mul_hi_u32 s30, s25, s26
	s_load_b64 s[26:27], s[0:1], 0xc8
	s_add_co_i32 s25, s25, s30
	s_wait_alu 0xfffe
	s_mul_hi_u32 s25, s2, s25
	s_wait_alu 0xfffe
	s_mul_i32 s25, s25, s3
	s_wait_alu 0xfffe
	s_sub_co_i32 s25, s2, s25
	s_wait_alu 0xfffe
	s_sub_co_i32 s30, s25, s3
	s_cmp_ge_u32 s25, s3
	s_cselect_b32 s25, s30, s25
	s_wait_alu 0xfffe
	s_sub_co_i32 s30, s25, s3
	s_cmp_ge_u32 s25, s3
	s_cselect_b32 s30, s30, s25
	s_delay_alu instid0(SALU_CYCLE_1) | instskip(SKIP_2) | instid1(SALU_CYCLE_1)
	s_ashr_i32 s31, s30, 31
	s_wait_kmcnt 0x0
	s_mul_u64 s[26:27], s[26:27], s[30:31]
	s_add_nc_u64 s[30:31], s[10:11], s[26:27]
.LBB84_2:
	v_lshrrev_b32_e32 v1, 10, v0
	s_load_b96 s[40:42], s[0:1], 0x70
	v_bfe_u32 v37, v0, 10, 1
	v_and_b32_e32 v17, 0x3ff, v0
	v_bfe_u32 v0, v0, 10, 10
	v_bfe_u32 v1, v1, 1, 9
	s_delay_alu instid0(VALU_DEP_3) | instskip(SKIP_1) | instid1(VALU_DEP_3)
	v_lshlrev_b32_e32 v6, 4, v17
	v_lshlrev_b32_e32 v36, 3, v17
	v_lshl_add_u32 v16, ttmp9, 1, v1
	v_lshl_add_u32 v39, v0, 8, 0x2400
	s_delay_alu instid0(VALU_DEP_2) | instskip(SKIP_3) | instid1(VALU_DEP_1)
	v_mul_hi_u32 v1, s20, v16
	s_wait_kmcnt 0x0
	s_mul_i32 s10, s33, s41
	s_mov_b32 s20, s41
	v_add_nc_u32_e32 v1, v16, v1
	s_delay_alu instid0(VALU_DEP_1)
	v_lshrrev_b32_e32 v1, s21, v1
	s_ashr_i32 s21, s41, 31
	s_ashr_i32 s41, s40, 31
	s_wait_alu 0xfffe
	s_lshr_b32 s3, s21, 2
	s_lshr_b64 s[26:27], s[40:41], 2
	v_mul_lo_u32 v1, v1, s22
	s_lshr_b32 s11, s41, 2
	s_wait_alu 0xfffe
	v_mul_lo_u32 v5, s3, v37
	s_load_b32 s3, s[0:1], 0x40
	s_delay_alu instid0(VALU_DEP_2) | instskip(NEXT) | instid1(VALU_DEP_1)
	v_sub_nc_u32_e32 v1, v16, v1
	v_mad_co_u64_u32 v[2:3], null, s26, v1, 0
	s_lshr_b64 s[26:27], s[20:21], 2
	s_mul_i32 s20, s2, s42
	s_wait_alu 0xfffe
	s_ashr_i32 s21, s20, 31
	s_wait_alu 0xfffe
	s_add_nc_u64 s[4:5], s[4:5], s[20:21]
	v_mad_co_u64_u32 v[3:4], null, s11, v1, v[3:4]
	v_mul_lo_u32 v4, s26, v37
	s_ashr_i32 s11, s10, 31
	s_cmp_eq_u64 s[14:15], 0
	s_wait_alu 0xfffe
	s_add_nc_u64 s[4:5], s[4:5], s[10:11]
	s_delay_alu instid0(VALU_DEP_2) | instskip(NEXT) | instid1(VALU_DEP_2)
	v_lshlrev_b64_e32 v[2:3], 2, v[2:3]
	v_lshlrev_b64_e32 v[4:5], 2, v[4:5]
	s_wait_alu 0xfffe
	s_delay_alu instid0(VALU_DEP_1) | instskip(NEXT) | instid1(VALU_DEP_1)
	v_add_co_u32 v4, vcc_lo, s4, v4
	v_add_co_ci_u32_e64 v5, null, s5, v5, vcc_lo
	s_delay_alu instid0(VALU_DEP_2) | instskip(SKIP_1) | instid1(VALU_DEP_2)
	v_add_co_u32 v2, vcc_lo, v4, v2
	s_wait_alu 0xfffd
	v_add_co_ci_u32_e64 v3, null, v5, v3, vcc_lo
	s_delay_alu instid0(VALU_DEP_2) | instskip(SKIP_1) | instid1(VALU_DEP_2)
	v_add_co_u32 v2, vcc_lo, v2, v6
	s_wait_alu 0xfffd
	v_add_co_ci_u32_e64 v3, null, 0, v3, vcc_lo
	v_add_nc_u32_e32 v6, v39, v36
	global_load_b128 v[2:5], v[2:3], off
	s_wait_loadcnt 0x0
	s_wait_kmcnt 0x0
	v_fma_mixlo_f16 v3, s3, v3, 0
	v_fma_mixlo_f16 v2, s3, v2, 0
	;; [unrolled: 1-line block ×4, first 2 shown]
	s_delay_alu instid0(VALU_DEP_4) | instskip(NEXT) | instid1(VALU_DEP_4)
	v_lshlrev_b32_e32 v3, 16, v3
	v_and_b32_e32 v2, 0xffff, v2
	s_delay_alu instid0(VALU_DEP_4) | instskip(NEXT) | instid1(VALU_DEP_4)
	v_and_b32_e32 v4, 0xffff, v4
	v_lshlrev_b32_e32 v5, 16, v5
	s_delay_alu instid0(VALU_DEP_3) | instskip(NEXT) | instid1(VALU_DEP_2)
	v_or_b32_e32 v2, v3, v2
	v_or3_b32 v3, v5, v4, 0
	s_delay_alu instid0(VALU_DEP_2)
	v_or3_b32 v2, 0, 0, v2
	ds_store_b64 v6, v[2:3]
	s_wait_dscnt 0x0
	s_barrier_signal -1
	s_barrier_wait -1
	global_inv scope:SCOPE_SE
	s_cbranch_scc1 .LBB84_4
; %bb.3:
	s_load_b32 s3, s[0:1], 0xd0
	s_mov_b32 s5, 0
	s_wait_kmcnt 0x0
	s_mul_i32 s3, s3, s2
	s_wait_alu 0xfffe
	s_add_co_i32 s4, s3, ttmp9
	s_wait_alu 0xfffe
	s_lshl_b64 s[4:5], s[4:5], 2
	s_wait_alu 0xfffe
	s_add_nc_u64 s[4:5], s[14:15], s[4:5]
	s_load_b32 s28, s[4:5], 0x0
.LBB84_4:
	s_and_b32 s4, ttmp7, 0xffff
	v_mbcnt_lo_u32_b32 v40, -1, 0
	s_wait_alu 0xfffe
	s_lshl_b32 s10, s4, 6
	s_wait_kmcnt 0x0
	s_wait_alu 0xfffe
	s_cmp_lt_i32 s10, s28
	s_cbranch_scc1 .LBB84_7
; %bb.5:
	v_mbcnt_lo_u32_b32 v3, -1, 0
	v_mov_b32_e32 v2, 32
	s_delay_alu instid0(VALU_DEP_2)
	v_xor_b32_e32 v59, 16, v3
	v_xor_b32_e32 v58, 8, v3
	;; [unrolled: 1-line block ×5, first 2 shown]
	v_lshlrev_b32_e32 v38, 2, v17
	s_mov_b32 s3, 0
	s_cbranch_execz .LBB84_8
; %bb.6:
	v_dual_mov_b32 v56, 0 :: v_dual_mov_b32 v1, 0
	v_mov_b32_e32 v35, 0xfeffffff
	v_mov_b32_e32 v55, 0
	s_branch .LBB84_20
.LBB84_7:
                                        ; implicit-def: $vgpr3
                                        ; implicit-def: $vgpr2
                                        ; implicit-def: $vgpr59
                                        ; implicit-def: $vgpr58
                                        ; implicit-def: $vgpr60
                                        ; implicit-def: $vgpr61
                                        ; implicit-def: $vgpr62
	v_lshlrev_b32_e32 v38, 2, v17
	s_mov_b32 s3, 0
.LBB84_8:
	s_mul_f32 s5, s24, 0x4f7ffffe
	s_clause 0x1
	s_load_b128 s[24:27], s[0:1], 0x98
	s_load_b64 s[20:21], s[0:1], 0x8c
	s_sub_co_i32 s14, 0, s29
	s_abs_i32 s34, s33
	s_cvt_u32_f32 s11, s5
	s_load_b32 s5, s[0:1], 0x54
	s_mov_b32 s15, s35
	s_ashr_i32 s36, s33, 31
	s_mul_i32 s14, s14, s11
	v_lshrrev_b32_e32 v2, 3, v17
	s_mul_hi_u32 s14, s11, s14
	s_ashr_i32 s37, s37, 1
	s_add_co_i32 s14, s11, s14
	s_ashr_i32 s11, s38, 31
	s_load_b64 s[38:39], s[0:1], 0xa8
	s_mul_u64 s[14:15], s[34:35], s[14:15]
	s_xor_b32 s11, s36, s11
	s_mul_i32 s35, s15, s29
	s_add_co_i32 s36, s15, 1
	v_lshl_add_u32 v3, v0, 2, v2
	s_wait_kmcnt 0x0
	s_ashr_i32 s14, s26, 2
	s_sub_co_i32 s26, s34, s35
	s_ashr_i32 s20, s20, 2
	s_wait_alu 0xfffe
	s_sub_co_i32 s34, s26, s29
	s_cmp_ge_u32 s26, s29
	v_dual_mov_b32 v56, 0 :: v_dual_and_b32 v21, 28, v38
	s_cselect_b32 s15, s36, s15
	s_cselect_b32 s26, s34, s26
	s_add_co_i32 s34, s15, 1
	s_wait_alu 0xfffe
	s_cmp_ge_u32 s26, s29
	v_mul_lo_u32 v2, s20, v3
	s_cselect_b32 s15, s34, s15
	v_lshrrev_b32_e32 v5, 4, v17
	s_xor_b32 s15, s15, s11
	v_dual_mov_b32 v55, 0 :: v_dual_lshlrev_b32 v4, 2, v21
	s_mul_u64 s[24:25], s[24:25], s[2:3]
	s_mul_u64 s[34:35], s[38:39], s[2:3]
	s_sub_co_i32 s3, s15, s11
	s_wait_alu 0xfffe
	s_add_nc_u64 s[6:7], s[6:7], s[24:25]
	s_mul_i32 s24, s3, s21
	s_mul_i32 s26, s3, s27
	s_lshl_b32 s3, s20, 4
	v_lshl_add_u32 v9, v0, 1, v5
	v_mad_u32_u24 v41, 0x90, v3, v4
	s_wait_alu 0xfffe
	v_dual_mov_b32 v57, 0xfeffffff :: v_dual_add_nc_u32 v4, s3, v2
	v_and_b32_e32 v29, 60, v38
	v_mul_lo_u32 v8, s14, v9
	v_lshl_add_u32 v46, v0, 7, 0x2800
	s_delay_alu instid0(VALU_DEP_4)
	v_add_nc_u32_e32 v6, s3, v4
	v_ashrrev_i32_e32 v3, 31, v2
	v_lshlrev_b32_e32 v13, 2, v29
	v_ashrrev_i32_e32 v5, 31, v4
	v_mad_co_u64_u32 v[18:19], null, v1, s37, v[17:18]
	v_add_nc_u32_e32 v10, s3, v6
	s_lshl_b32 s3, s14, 3
	v_ashrrev_i32_e32 v7, 31, v6
	s_wait_alu 0xfffe
	v_add_nc_u32_e32 v12, s3, v8
	v_lshl_or_b32 v47, v9, 8, v13
	v_ashrrev_i32_e32 v11, 31, v10
	v_ashrrev_i32_e32 v9, 31, v8
	v_lshlrev_b64_e32 v[19:20], 2, v[2:3]
	v_add_nc_u32_e32 v0, s3, v12
	v_ashrrev_i32_e32 v13, 31, v12
	v_lshlrev_b32_e32 v52, 2, v21
	v_lshlrev_b64_e32 v[21:22], 2, v[4:5]
	v_lshlrev_b64_e32 v[23:24], 2, v[6:7]
	v_add_nc_u32_e32 v14, s3, v0
	v_ashrrev_i32_e32 v1, 31, v0
	v_lshlrev_b64_e32 v[25:26], 2, v[10:11]
	v_lshlrev_b64_e32 v[27:28], 2, v[8:9]
	v_lshlrev_b32_e32 v53, 2, v29
	v_ashrrev_i32_e32 v15, 31, v14
	v_lshlrev_b64_e32 v[29:30], 2, v[12:13]
	v_lshlrev_b64_e32 v[31:32], 2, v[0:1]
	v_add_nc_u32_e32 v42, 0x900, v41
	v_dual_mov_b32 v54, 0 :: v_dual_add_nc_u32 v43, 0x1200, v41
	v_lshlrev_b64_e32 v[33:34], 2, v[14:15]
	v_add_nc_u32_e32 v44, 0x1b00, v41
	v_mul_u32_u24_e32 v45, 0x90, v17
	v_lshl_add_u32 v48, v17, 1, v46
	v_add_nc_u32_e32 v49, 0x800, v47
	v_add_nc_u32_e32 v50, 0x1000, v47
	;; [unrolled: 1-line block ×3, first 2 shown]
	s_add_nc_u64 s[8:9], s[8:9], s[34:35]
	s_ashr_i32 s25, s24, 31
	s_ashr_i32 s27, s26, 31
	s_wait_alu 0xfffe
	s_add_nc_u64 s[6:7], s[6:7], s[24:25]
	s_add_nc_u64 s[8:9], s[8:9], s[26:27]
	s_ashr_i32 s21, s20, 31
	s_ashr_i32 s15, s14, 31
	s_add_nc_u64 s[24:25], s[0:1], 0xd0
	s_mov_b32 s3, 0xbbbac73d
.LBB84_9:                               ; =>This Inner Loop Header: Depth=1
	s_ashr_i32 s11, s10, 31
	v_dual_mov_b32 v35, 0 :: v_dual_mov_b32 v58, 0
	s_wait_alu 0xfffe
	s_mul_u64 s[26:27], s[10:11], s[20:21]
	s_wait_alu 0xfffe
	s_lshl_b64 s[26:27], s[26:27], 2
	s_wait_alu 0xfffe
	s_add_nc_u64 s[26:27], s[6:7], s[26:27]
	s_wait_alu 0xfffe
	v_add_co_u32 v0, vcc_lo, s26, v19
	s_wait_alu 0xfffd
	v_add_co_ci_u32_e64 v1, null, s27, v20, vcc_lo
	v_add_co_u32 v2, vcc_lo, s26, v21
	s_wait_alu 0xfffd
	v_add_co_ci_u32_e64 v3, null, s27, v22, vcc_lo
	;; [unrolled: 3-line block ×8, first 2 shown]
	s_clause 0x3
	global_load_b128 v[0:3], v[59:60], off
	global_load_b128 v[4:7], v[61:62], off
	;; [unrolled: 1-line block ×4, first 2 shown]
	s_wait_loadcnt 0x3
	ds_store_b128 v41, v[0:3]
	s_wait_loadcnt 0x2
	ds_store_b128 v42, v[4:7]
	;; [unrolled: 2-line block ×4, first 2 shown]
	s_wait_dscnt 0x0
	s_barrier_signal -1
	s_barrier_wait -1
	global_inv scope:SCOPE_SE
	ds_load_b128 v[0:3], v45
	ds_load_b128 v[4:7], v39
	ds_load_b128 v[8:11], v45 offset:4608
	s_wait_dscnt 0x1
	;;#ASMSTART
	v_dot2_f32_f16 v35, v0, v4, v35
	;;#ASMEND
	;;#ASMSTART
	v_dot2_f32_f16 v35, v1, v5, v35
	;;#ASMEND
	;;#ASMSTART
	v_dot2_f32_f16 v35, v2, v6, v35
	;;#ASMEND
	;;#ASMSTART
	v_dot2_f32_f16 v35, v3, v7, v35
	;;#ASMEND
	s_wait_dscnt 0x0
	;;#ASMSTART
	v_dot2_f32_f16 v58, v8, v4, v58
	;;#ASMEND
	;;#ASMSTART
	v_dot2_f32_f16 v58, v9, v5, v58
	;;#ASMEND
	;;#ASMSTART
	v_dot2_f32_f16 v58, v10, v6, v58
	;;#ASMEND
	;;#ASMSTART
	v_dot2_f32_f16 v58, v11, v7, v58
	;;#ASMEND
	ds_load_b128 v[0:3], v45 offset:16
	ds_load_b128 v[4:7], v39 offset:16
	ds_load_b128 v[8:11], v45 offset:4624
	s_wait_dscnt 0x1
	;;#ASMSTART
	v_dot2_f32_f16 v35, v0, v4, v35
	;;#ASMEND
	;;#ASMSTART
	v_dot2_f32_f16 v35, v1, v5, v35
	;;#ASMEND
	;;#ASMSTART
	v_dot2_f32_f16 v35, v2, v6, v35
	;;#ASMEND
	;;#ASMSTART
	v_dot2_f32_f16 v35, v3, v7, v35
	;;#ASMEND
	s_wait_dscnt 0x0
	;;#ASMSTART
	v_dot2_f32_f16 v58, v8, v4, v58
	;;#ASMEND
	;;#ASMSTART
	v_dot2_f32_f16 v58, v9, v5, v58
	;;#ASMEND
	;;#ASMSTART
	v_dot2_f32_f16 v58, v10, v6, v58
	;;#ASMEND
	;;#ASMSTART
	v_dot2_f32_f16 v58, v11, v7, v58
	;;#ASMEND
	ds_load_b128 v[0:3], v45 offset:32
	ds_load_b128 v[4:7], v39 offset:32
	;; [unrolled: 29-line block ×7, first 2 shown]
	ds_load_b128 v[8:11], v45 offset:4720
	s_wait_dscnt 0x1
	;;#ASMSTART
	v_dot2_f32_f16 v35, v0, v4, v35
	;;#ASMEND
	;;#ASMSTART
	v_dot2_f32_f16 v35, v1, v5, v35
	;;#ASMEND
	;; [unrolled: 3-line block ×4, first 2 shown]
	s_wait_dscnt 0x0
	;;#ASMSTART
	v_dot2_f32_f16 v58, v8, v4, v58
	;;#ASMEND
	;;#ASMSTART
	v_dot2_f32_f16 v58, v9, v5, v58
	;;#ASMEND
	;; [unrolled: 3-line block ×4, first 2 shown]
	s_wait_loadcnt 0x0
	s_barrier_signal -1
	s_barrier_wait -1
	global_inv scope:SCOPE_SE
	s_clause 0x3
	global_load_b128 v[0:3], v[59:60], off offset:128
	global_load_b128 v[4:7], v[61:62], off offset:128
	global_load_b128 v[8:11], v[63:64], off offset:128
	global_load_b128 v[12:15], v[65:66], off offset:128
                                        ; implicit-def: $vgpr59
	s_wait_loadcnt 0x3
	ds_store_b128 v41, v[0:3]
	s_wait_loadcnt 0x2
	ds_store_b128 v42, v[4:7]
	;; [unrolled: 2-line block ×4, first 2 shown]
	s_wait_dscnt 0x0
	s_barrier_signal -1
	s_barrier_wait -1
	global_inv scope:SCOPE_SE
	ds_load_b128 v[0:3], v45
	ds_load_b128 v[4:7], v39 offset:128
	ds_load_b128 v[8:11], v45 offset:4608
	s_wait_dscnt 0x1
	;;#ASMSTART
	v_dot2_f32_f16 v35, v0, v4, v35
	;;#ASMEND
	;;#ASMSTART
	v_dot2_f32_f16 v35, v1, v5, v35
	;;#ASMEND
	;;#ASMSTART
	v_dot2_f32_f16 v35, v2, v6, v35
	;;#ASMEND
	;;#ASMSTART
	v_dot2_f32_f16 v35, v3, v7, v35
	;;#ASMEND
	s_wait_dscnt 0x0
	;;#ASMSTART
	v_dot2_f32_f16 v58, v8, v4, v58
	;;#ASMEND
	;;#ASMSTART
	v_dot2_f32_f16 v58, v9, v5, v58
	;;#ASMEND
	;;#ASMSTART
	v_dot2_f32_f16 v58, v10, v6, v58
	;;#ASMEND
	;;#ASMSTART
	v_dot2_f32_f16 v58, v11, v7, v58
	;;#ASMEND
	ds_load_b128 v[0:3], v45 offset:16
	ds_load_b128 v[4:7], v39 offset:144
	ds_load_b128 v[8:11], v45 offset:4624
	s_wait_dscnt 0x1
	;;#ASMSTART
	v_dot2_f32_f16 v35, v0, v4, v35
	;;#ASMEND
	;;#ASMSTART
	v_dot2_f32_f16 v35, v1, v5, v35
	;;#ASMEND
	;;#ASMSTART
	v_dot2_f32_f16 v35, v2, v6, v35
	;;#ASMEND
	;;#ASMSTART
	v_dot2_f32_f16 v35, v3, v7, v35
	;;#ASMEND
	s_wait_dscnt 0x0
	;;#ASMSTART
	v_dot2_f32_f16 v58, v8, v4, v58
	;;#ASMEND
	;;#ASMSTART
	v_dot2_f32_f16 v58, v9, v5, v58
	;;#ASMEND
	;;#ASMSTART
	v_dot2_f32_f16 v58, v10, v6, v58
	;;#ASMEND
	;;#ASMSTART
	v_dot2_f32_f16 v58, v11, v7, v58
	;;#ASMEND
	ds_load_b128 v[0:3], v45 offset:32
	;; [unrolled: 29-line block ×7, first 2 shown]
	ds_load_b128 v[4:7], v39 offset:240
	ds_load_b128 v[8:11], v45 offset:4720
	s_wait_dscnt 0x1
	;;#ASMSTART
	v_dot2_f32_f16 v35, v0, v4, v35
	;;#ASMEND
	;;#ASMSTART
	v_dot2_f32_f16 v35, v1, v5, v35
	;;#ASMEND
	;; [unrolled: 3-line block ×4, first 2 shown]
	v_cmp_ngt_f32_e64 s26, 0x3f200000, |v35|
	s_wait_dscnt 0x0
	;;#ASMSTART
	v_dot2_f32_f16 v58, v8, v4, v58
	;;#ASMEND
	;;#ASMSTART
	v_dot2_f32_f16 v58, v9, v5, v58
	;;#ASMEND
	;; [unrolled: 3-line block ×4, first 2 shown]
	s_and_saveexec_b32 s27, s26
	s_wait_alu 0xfffe
	s_xor_b32 s26, exec_lo, s27
	s_cbranch_execz .LBB84_11
; %bb.10:                               ;   in Loop: Header=BB84_9 Depth=1
	v_add_f32_e64 v0, |v35|, |v35|
	s_delay_alu instid0(VALU_DEP_1) | instskip(SKIP_1) | instid1(VALU_DEP_2)
	v_mul_f32_e32 v1, 0x3fb8aa3b, v0
	v_cmp_ngt_f32_e32 vcc_lo, 0xc2ce8ed0, v0
	v_rndne_f32_e32 v2, v1
	v_fma_f32 v3, 0x3fb8aa3b, v0, -v1
	s_delay_alu instid0(VALU_DEP_2) | instskip(NEXT) | instid1(VALU_DEP_2)
	v_sub_f32_e32 v1, v1, v2
	v_fmac_f32_e32 v3, 0x32a5705f, v0
	v_cvt_i32_f32_e32 v2, v2
	s_delay_alu instid0(VALU_DEP_2) | instskip(NEXT) | instid1(VALU_DEP_1)
	v_add_f32_e32 v1, v1, v3
	v_exp_f32_e32 v1, v1
	s_delay_alu instid0(TRANS32_DEP_1) | instskip(SKIP_1) | instid1(VALU_DEP_1)
	v_ldexp_f32 v1, v1, v2
	s_wait_alu 0xfffd
	v_cndmask_b32_e32 v1, 0, v1, vcc_lo
	v_cmp_nlt_f32_e32 vcc_lo, 0x42b17218, v0
	s_wait_alu 0xfffd
	s_delay_alu instid0(VALU_DEP_2) | instskip(NEXT) | instid1(VALU_DEP_1)
	v_cndmask_b32_e32 v0, 0x7f800000, v1, vcc_lo
	v_add_f32_e32 v0, 1.0, v0
	s_delay_alu instid0(VALU_DEP_1) | instskip(NEXT) | instid1(TRANS32_DEP_1)
	v_rcp_f32_e32 v0, v0
	v_fma_f32 v59, v0, -2.0, 1.0
.LBB84_11:                              ;   in Loop: Header=BB84_9 Depth=1
	s_wait_alu 0xfffe
	s_and_not1_saveexec_b32 s26, s26
	s_cbranch_execz .LBB84_13
; %bb.12:                               ;   in Loop: Header=BB84_9 Depth=1
	v_mul_f32_e32 v0, v35, v35
	s_delay_alu instid0(VALU_DEP_1) | instskip(NEXT) | instid1(VALU_DEP_1)
	v_fmaak_f32 v1, s3, v0, 0x3ca908c9
	v_fmaak_f32 v1, v0, v1, 0xbd5c1c4e
	s_delay_alu instid0(VALU_DEP_1) | instskip(NEXT) | instid1(VALU_DEP_1)
	v_fmaak_f32 v1, v0, v1, 0x3e088382
	v_fmaak_f32 v1, v0, v1, 0xbeaaaa99
	s_delay_alu instid0(VALU_DEP_1) | instskip(NEXT) | instid1(VALU_DEP_1)
	v_mul_f32_e64 v1, |v35|, v1
	v_fma_f32 v59, v0, v1, |v35|
.LBB84_13:                              ;   in Loop: Header=BB84_9 Depth=1
	s_wait_alu 0xfffe
	s_or_b32 exec_lo, exec_lo, s26
	v_add_nc_u32_e32 v0, s10, v18
	v_cmp_ngt_f32_e64 s26, 0x3f200000, |v58|
                                        ; implicit-def: $vgpr61
	s_delay_alu instid0(VALU_DEP_2) | instskip(NEXT) | instid1(VALU_DEP_1)
	v_ashrrev_i32_e32 v1, 31, v0
	v_lshlrev_b64_e32 v[0:1], 1, v[0:1]
	s_delay_alu instid0(VALU_DEP_1) | instskip(SKIP_1) | instid1(VALU_DEP_2)
	v_add_co_u32 v0, vcc_lo, s30, v0
	s_wait_alu 0xfffd
	v_add_co_ci_u32_e64 v1, null, s31, v1, vcc_lo
	global_load_u16 v60, v[0:1], off
	s_and_saveexec_b32 s27, s26
	s_wait_alu 0xfffe
	s_xor_b32 s26, exec_lo, s27
	s_cbranch_execz .LBB84_15
; %bb.14:                               ;   in Loop: Header=BB84_9 Depth=1
	v_add_f32_e64 v2, |v58|, |v58|
	s_delay_alu instid0(VALU_DEP_1) | instskip(SKIP_1) | instid1(VALU_DEP_2)
	v_mul_f32_e32 v3, 0x3fb8aa3b, v2
	v_cmp_ngt_f32_e32 vcc_lo, 0xc2ce8ed0, v2
	v_rndne_f32_e32 v4, v3
	v_fma_f32 v5, 0x3fb8aa3b, v2, -v3
	s_delay_alu instid0(VALU_DEP_2) | instskip(NEXT) | instid1(VALU_DEP_2)
	v_sub_f32_e32 v3, v3, v4
	v_fmac_f32_e32 v5, 0x32a5705f, v2
	v_cvt_i32_f32_e32 v4, v4
	s_delay_alu instid0(VALU_DEP_2) | instskip(NEXT) | instid1(VALU_DEP_1)
	v_add_f32_e32 v3, v3, v5
	v_exp_f32_e32 v3, v3
	s_delay_alu instid0(TRANS32_DEP_1) | instskip(SKIP_1) | instid1(VALU_DEP_1)
	v_ldexp_f32 v3, v3, v4
	s_wait_alu 0xfffd
	v_cndmask_b32_e32 v3, 0, v3, vcc_lo
	v_cmp_nlt_f32_e32 vcc_lo, 0x42b17218, v2
	s_wait_alu 0xfffd
	s_delay_alu instid0(VALU_DEP_2) | instskip(NEXT) | instid1(VALU_DEP_1)
	v_cndmask_b32_e32 v2, 0x7f800000, v3, vcc_lo
	v_add_f32_e32 v2, 1.0, v2
	s_delay_alu instid0(VALU_DEP_1) | instskip(NEXT) | instid1(TRANS32_DEP_1)
	v_rcp_f32_e32 v2, v2
	v_fma_f32 v61, v2, -2.0, 1.0
.LBB84_15:                              ;   in Loop: Header=BB84_9 Depth=1
	s_wait_alu 0xfffe
	s_and_not1_saveexec_b32 s26, s26
	s_cbranch_execz .LBB84_17
; %bb.16:                               ;   in Loop: Header=BB84_9 Depth=1
	v_mul_f32_e32 v2, v58, v58
	s_delay_alu instid0(VALU_DEP_1) | instskip(NEXT) | instid1(VALU_DEP_1)
	v_fmaak_f32 v3, s3, v2, 0x3ca908c9
	v_fmaak_f32 v3, v2, v3, 0xbd5c1c4e
	s_delay_alu instid0(VALU_DEP_1) | instskip(NEXT) | instid1(VALU_DEP_1)
	v_fmaak_f32 v3, v2, v3, 0x3e088382
	v_fmaak_f32 v3, v2, v3, 0xbeaaaa99
	s_delay_alu instid0(VALU_DEP_1) | instskip(NEXT) | instid1(VALU_DEP_1)
	v_mul_f32_e64 v3, |v58|, v3
	v_fma_f32 v61, v2, v3, |v58|
.LBB84_17:                              ;   in Loop: Header=BB84_9 Depth=1
	s_wait_alu 0xfffe
	s_or_b32 exec_lo, exec_lo, s26
	global_load_u16 v62, v[0:1], off offset:64
	s_mul_u64 s[26:27], s[10:11], s[14:15]
	s_wait_loadcnt 0x0
	s_wait_alu 0xfffe
	s_lshl_b64 s[26:27], s[26:27], 2
	s_barrier_signal -1
	s_wait_alu 0xfffe
	s_add_nc_u64 s[26:27], s[8:9], s[26:27]
	s_barrier_wait -1
	s_wait_alu 0xfffe
	v_add_co_u32 v0, vcc_lo, s26, v27
	s_wait_alu 0xfffd
	v_add_co_ci_u32_e64 v1, null, s27, v28, vcc_lo
	v_add_co_u32 v2, vcc_lo, s26, v29
	s_wait_alu 0xfffd
	v_add_co_ci_u32_e64 v3, null, s27, v30, vcc_lo
	;; [unrolled: 3-line block ×8, first 2 shown]
	global_inv scope:SCOPE_SE
	s_clause 0x3
	global_load_b128 v[0:3], v[0:1], off
	global_load_b128 v[4:7], v[4:5], off
	global_load_b128 v[8:11], v[8:9], off
	global_load_b128 v[12:15], v[12:13], off
	v_bfi_b32 v35, 0x7fffffff, v59, v35
	v_bfi_b32 v58, 0x7fffffff, v61, v58
	v_xor_b32_e32 v59, 16, v40
	s_or_b32 s26, s10, 32
	s_delay_alu instid0(VALU_DEP_3)
	v_fma_mix_f32 v63, s5, v35, v60 op_sel_hi:[0,0,1]
	s_wait_alu 0xfffe
	s_ashr_i32 s27, s26, 31
	v_cmp_gt_i32_e32 vcc_lo, 32, v59
	s_wait_alu 0xfffe
	s_mul_u64 s[26:27], s[26:27], s[14:15]
	s_wait_alu 0xfffe
	s_lshl_b64 s[26:27], s[26:27], 2
	s_wait_alu 0xfffe
	s_add_nc_u64 s[26:27], s[8:9], s[26:27]
	v_fma_mix_f32 v64, s5, v58, v62 op_sel_hi:[0,0,1]
	s_wait_alu 0xfffd
	v_cndmask_b32_e32 v35, v40, v59, vcc_lo
	v_add_f32_e32 v58, 0x40051340, v63
	s_delay_alu instid0(VALU_DEP_2) | instskip(NEXT) | instid1(VALU_DEP_1)
	v_dual_add_f32 v60, 0x40051340, v64 :: v_dual_lshlrev_b32 v35, 2, v35
	v_max3_num_f32 v60, v57, v58, v60
	v_xor_b32_e32 v58, 8, v40
	ds_bpermute_b32 v35, v35, v60
	v_cmp_gt_i32_e32 vcc_lo, 32, v58
	s_wait_alu 0xfffd
	v_cndmask_b32_e32 v61, v40, v58, vcc_lo
	s_delay_alu instid0(VALU_DEP_1) | instskip(SKIP_2) | instid1(VALU_DEP_1)
	v_lshlrev_b32_e32 v61, 2, v61
	s_wait_dscnt 0x0
	v_max_num_f32_e32 v35, v35, v35
	v_max_num_f32_e32 v35, v60, v35
	v_xor_b32_e32 v60, 4, v40
	ds_bpermute_b32 v61, v61, v35
	v_cmp_gt_i32_e32 vcc_lo, 32, v60
	s_wait_alu 0xfffd
	v_cndmask_b32_e32 v62, v40, v60, vcc_lo
	s_wait_dscnt 0x0
	s_delay_alu instid0(VALU_DEP_1) | instskip(NEXT) | instid1(VALU_DEP_1)
	v_dual_max_num_f32 v61, v61, v61 :: v_dual_lshlrev_b32 v62, 2, v62
	v_max_num_f32_e32 v35, v35, v61
	v_xor_b32_e32 v61, 2, v40
	ds_bpermute_b32 v62, v62, v35
	v_cmp_gt_i32_e32 vcc_lo, 32, v61
	s_wait_alu 0xfffd
	v_cndmask_b32_e32 v65, v40, v61, vcc_lo
	s_wait_dscnt 0x0
	s_delay_alu instid0(VALU_DEP_1) | instskip(NEXT) | instid1(VALU_DEP_1)
	v_dual_max_num_f32 v62, v62, v62 :: v_dual_lshlrev_b32 v65, 2, v65
	v_max_num_f32_e32 v35, v35, v62
	v_xor_b32_e32 v62, 1, v40
	ds_bpermute_b32 v65, v65, v35
	v_cmp_gt_i32_e32 vcc_lo, 32, v62
	s_wait_alu 0xfffd
	v_cndmask_b32_e32 v66, v40, v62, vcc_lo
	s_wait_alu 0xfffe
	v_add_co_u32 v74, vcc_lo, s26, v27
	s_wait_alu 0xfffd
	v_add_co_ci_u32_e64 v75, null, s27, v28, vcc_lo
	s_wait_dscnt 0x0
	v_dual_max_num_f32 v65, v65, v65 :: v_dual_lshlrev_b32 v66, 2, v66
	s_delay_alu instid0(VALU_DEP_1) | instskip(SKIP_3) | instid1(VALU_DEP_1)
	v_max_num_f32_e32 v35, v35, v65
	ds_bpermute_b32 v65, v66, v35
	s_wait_dscnt 0x0
	v_max_num_f32_e32 v65, v65, v65
	v_max_num_f32_e32 v35, v35, v65
	s_delay_alu instid0(VALU_DEP_1) | instskip(SKIP_3) | instid1(VALU_DEP_3)
	v_sub_f32_e32 v65, v63, v35
	v_sub_f32_e32 v66, v64, v35
	v_add_nc_u32_e32 v64, 0x1000, v36
	v_add_nc_u32_e32 v63, 0x1800, v36
	v_dual_mul_f32 v68, 0x3fb8aa3b, v65 :: v_dual_mul_f32 v69, 0x3fb8aa3b, v66
	s_delay_alu instid0(VALU_DEP_1) | instskip(SKIP_1) | instid1(VALU_DEP_3)
	v_fma_f32 v70, 0x3fb8aa3b, v65, -v68
	v_rndne_f32_e32 v71, v68
	v_fma_f32 v72, 0x3fb8aa3b, v66, -v69
	v_rndne_f32_e32 v73, v69
	s_delay_alu instid0(VALU_DEP_4) | instskip(NEXT) | instid1(VALU_DEP_4)
	v_fmac_f32_e32 v70, 0x32a5705f, v65
	v_sub_f32_e32 v68, v68, v71
	s_delay_alu instid0(VALU_DEP_3) | instskip(SKIP_2) | instid1(VALU_DEP_4)
	v_dual_fmac_f32 v72, 0x32a5705f, v66 :: v_dual_sub_f32 v69, v69, v73
	v_cvt_i32_f32_e32 v71, v71
	v_cvt_i32_f32_e32 v73, v73
	v_add_f32_e32 v68, v68, v70
	v_add_co_u32 v70, vcc_lo, s26, v29
	v_add_f32_e32 v69, v69, v72
	s_wait_alu 0xfffd
	v_add_co_ci_u32_e64 v72, null, s27, v30, vcc_lo
	v_exp_f32_e32 v68, v68
	v_add_co_u32 v76, vcc_lo, s26, v31
	v_exp_f32_e32 v69, v69
	s_wait_alu 0xfffd
	v_add_co_ci_u32_e64 v77, null, s27, v32, vcc_lo
	v_add_co_u32 v78, vcc_lo, s26, v33
	s_wait_alu 0xfffd
	v_add_co_ci_u32_e64 v79, null, s27, v34, vcc_lo
	v_add_co_u32 v136, vcc_lo, v74, v53
	s_delay_alu instid0(TRANS32_DEP_2)
	v_ldexp_f32 v68, v68, v71
	s_wait_alu 0xfffd
	v_add_co_ci_u32_e64 v137, null, 0, v75, vcc_lo
	v_cmp_ngt_f32_e32 vcc_lo, 0xc2ce8ed0, v65
	v_ldexp_f32 v69, v69, v73
	s_wait_alu 0xfffd
	v_cndmask_b32_e32 v68, 0, v68, vcc_lo
	v_cmp_ngt_f32_e32 vcc_lo, 0xc2ce8ed0, v66
	v_add_nc_u32_e32 v67, 0x800, v36
	s_wait_alu 0xfffd
	v_cndmask_b32_e32 v69, 0, v69, vcc_lo
	v_add_co_u32 v140, vcc_lo, v70, v53
	s_wait_alu 0xfffd
	v_add_co_ci_u32_e64 v141, null, 0, v72, vcc_lo
	v_cmp_nlt_f32_e32 vcc_lo, 0x42b17218, v65
	s_wait_alu 0xfffd
	v_cndmask_b32_e32 v65, 0x7f800000, v68, vcc_lo
	v_cmp_nlt_f32_e32 vcc_lo, 0x42b17218, v66
	s_delay_alu instid0(VALU_DEP_2)
	v_cvt_f16_f32_e32 v68, v65
	s_wait_alu 0xfffd
	v_cndmask_b32_e32 v66, 0x7f800000, v69, vcc_lo
	v_add_co_u32 v144, vcc_lo, v76, v53
	s_wait_alu 0xfffd
	v_add_co_ci_u32_e64 v145, null, 0, v77, vcc_lo
	s_delay_alu instid0(VALU_DEP_3)
	v_cvt_f16_f32_e32 v69, v66
	v_add_co_u32 v148, vcc_lo, v78, v53
	s_wait_alu 0xfffd
	v_add_co_ci_u32_e64 v149, null, 0, v79, vcc_lo
	ds_store_b16 v48, v68
	ds_store_b16 v48, v69 offset:64
	s_wait_loadcnt 0x3
	ds_store_b128 v47, v[0:3]
	s_wait_loadcnt 0x2
	ds_store_b128 v49, v[4:7]
	;; [unrolled: 2-line block ×4, first 2 shown]
	s_wait_dscnt 0x0
	s_barrier_signal -1
	s_barrier_wait -1
	global_inv scope:SCOPE_SE
	v_sub_f32_e32 v0, v57, v35
	ds_load_2addr_b64 v[1:4], v36 offset1:32
	ds_load_b128 v[5:8], v46
	ds_load_b128 v[9:12], v46 offset:16
	ds_load_b128 v[68:71], v46 offset:32
	;; [unrolled: 1-line block ×3, first 2 shown]
	ds_load_2addr_b64 v[76:79], v36 offset0:64 offset1:96
	ds_load_2addr_b64 v[80:83], v36 offset0:128 offset1:160
	ds_load_2addr_b64 v[84:87], v36 offset0:192 offset1:224
	ds_load_2addr_b64 v[88:91], v67 offset1:32
	ds_load_2addr_b64 v[92:95], v67 offset0:64 offset1:96
	ds_load_2addr_b64 v[96:99], v67 offset0:128 offset1:160
	ds_load_2addr_b64 v[100:103], v67 offset0:192 offset1:224
	ds_load_2addr_b64 v[104:107], v64 offset1:32
	;; [unrolled: 4-line block ×3, first 2 shown]
	ds_load_2addr_b64 v[124:127], v63 offset0:64 offset1:96
	ds_load_2addr_b64 v[128:131], v63 offset0:128 offset1:160
	;; [unrolled: 1-line block ×3, first 2 shown]
	s_wait_loadcnt_dscnt 0x0
	s_barrier_signal -1
	s_barrier_wait -1
	global_inv scope:SCOPE_SE
	s_clause 0x3
	global_load_b128 v[136:139], v[136:137], off
	global_load_b128 v[140:143], v[140:141], off
	;; [unrolled: 1-line block ×4, first 2 shown]
	v_mul_f32_e32 v13, 0x3fb8aa3b, v0
	v_cmp_ngt_f32_e32 vcc_lo, 0xc2ce8ed0, v0
	s_wait_loadcnt 0x3
	ds_store_b128 v47, v[136:139]
	s_wait_loadcnt 0x2
	ds_store_b128 v49, v[140:143]
	;; [unrolled: 2-line block ×4, first 2 shown]
	v_fma_f32 v14, 0x3fb8aa3b, v0, -v13
	v_rndne_f32_e32 v15, v13
	s_wait_dscnt 0x0
	s_barrier_signal -1
	s_barrier_wait -1
	s_delay_alu instid0(VALU_DEP_1)
	v_dual_fmac_f32 v14, 0x32a5705f, v0 :: v_dual_sub_f32 v13, v13, v15
	global_inv scope:SCOPE_SE
	v_add_f32_e32 v13, v13, v14
	v_cvt_i32_f32_e32 v14, v15
	v_and_b32_e32 v15, 0xffff, v6
	v_lshrrev_b32_e32 v6, 16, v6
	s_delay_alu instid0(VALU_DEP_4) | instskip(NEXT) | instid1(VALU_DEP_1)
	v_exp_f32_e32 v13, v13
	v_mul_u32_u24_e32 v6, 0x10001, v6
	s_delay_alu instid0(TRANS32_DEP_1) | instskip(SKIP_3) | instid1(VALU_DEP_3)
	v_ldexp_f32 v13, v13, v14
	v_and_b32_e32 v14, 0xffff, v5
	v_lshrrev_b32_e32 v5, 16, v5
	s_wait_alu 0xfffd
	v_cndmask_b32_e32 v13, 0, v13, vcc_lo
	v_cmp_nlt_f32_e32 vcc_lo, 0x42b17218, v0
	v_mul_u32_u24_e32 v14, 0x10001, v14
	v_mul_u32_u24_e32 v5, 0x10001, v5
	s_wait_alu 0xfffd
	v_cndmask_b32_e32 v0, 0x7f800000, v13, vcc_lo
	s_delay_alu instid0(VALU_DEP_3) | instskip(SKIP_2) | instid1(VALU_DEP_4)
	v_pk_mul_f16 v1, v1, v14
	v_pk_mul_f16 v2, v2, v14
	v_mul_u32_u24_e32 v14, 0x10001, v15
	v_cvt_f16_f32_e32 v13, v0
	s_delay_alu instid0(VALU_DEP_1) | instskip(NEXT) | instid1(VALU_DEP_1)
	v_and_b32_e32 v13, 0xffff, v13
	v_mul_u32_u24_e32 v13, 0x10001, v13
	s_delay_alu instid0(VALU_DEP_1) | instskip(SKIP_1) | instid1(VALU_DEP_2)
	v_pk_fma_f16 v1, v55, v13, v1
	v_pk_fma_f16 v2, v56, v13, v2
	;; [unrolled: 1-line block ×3, first 2 shown]
	s_delay_alu instid0(VALU_DEP_2)
	v_pk_fma_f16 v2, v4, v5, v2
	v_and_b32_e32 v3, 0xffff, v7
	v_lshrrev_b32_e32 v4, 16, v7
	v_and_b32_e32 v5, 0xffff, v8
	v_pk_fma_f16 v1, v76, v14, v1
	v_pk_fma_f16 v2, v77, v14, v2
	v_mul_u32_u24_e32 v3, 0x10001, v3
	v_mul_u32_u24_e32 v4, 0x10001, v4
	;; [unrolled: 1-line block ×3, first 2 shown]
	v_pk_fma_f16 v1, v78, v6, v1
	v_pk_fma_f16 v2, v79, v6, v2
	v_lshrrev_b32_e32 v6, 16, v8
	v_and_b32_e32 v7, 0xffff, v74
	v_lshrrev_b32_e32 v8, 16, v74
	v_pk_fma_f16 v1, v80, v3, v1
	v_pk_fma_f16 v2, v81, v3, v2
	v_and_b32_e32 v3, 0xffff, v9
	v_mul_u32_u24_e32 v6, 0x10001, v6
	v_lshrrev_b32_e32 v14, 16, v75
	v_pk_fma_f16 v1, v82, v4, v1
	v_pk_fma_f16 v2, v83, v4, v2
	v_lshrrev_b32_e32 v4, 16, v9
	v_mul_u32_u24_e32 v3, 0x10001, v3
	v_mul_u32_u24_e32 v9, 0x10001, v7
	v_pk_fma_f16 v1, v84, v5, v1
	v_pk_fma_f16 v2, v85, v5, v2
	v_and_b32_e32 v5, 0xffff, v10
	v_mul_u32_u24_e32 v4, 0x10001, v4
	s_delay_alu instid0(VALU_DEP_4) | instskip(NEXT) | instid1(VALU_DEP_4)
	v_pk_fma_f16 v1, v86, v6, v1
	v_pk_fma_f16 v2, v87, v6, v2
	v_lshrrev_b32_e32 v6, 16, v10
	v_mul_u32_u24_e32 v5, 0x10001, v5
	s_delay_alu instid0(VALU_DEP_4) | instskip(NEXT) | instid1(VALU_DEP_4)
	v_pk_fma_f16 v1, v88, v3, v1
	v_pk_fma_f16 v2, v89, v3, v2
	v_and_b32_e32 v3, 0xffff, v11
	v_mul_u32_u24_e32 v6, 0x10001, v6
	s_delay_alu instid0(VALU_DEP_4) | instskip(NEXT) | instid1(VALU_DEP_4)
	v_pk_fma_f16 v1, v90, v4, v1
	v_pk_fma_f16 v2, v91, v4, v2
	v_lshrrev_b32_e32 v4, 16, v11
	v_mul_u32_u24_e32 v3, 0x10001, v3
	v_mul_u32_u24_e32 v11, 0x10001, v8
	v_pk_fma_f16 v1, v92, v5, v1
	v_pk_fma_f16 v2, v93, v5, v2
	v_and_b32_e32 v5, 0xffff, v12
	v_mul_u32_u24_e32 v4, 0x10001, v4
	s_delay_alu instid0(VALU_DEP_4) | instskip(NEXT) | instid1(VALU_DEP_4)
	v_pk_fma_f16 v1, v94, v6, v1
	v_pk_fma_f16 v2, v95, v6, v2
	v_lshrrev_b32_e32 v6, 16, v12
	v_mul_u32_u24_e32 v5, 0x10001, v5
	s_delay_alu instid0(VALU_DEP_4) | instskip(NEXT) | instid1(VALU_DEP_4)
	v_pk_fma_f16 v1, v96, v3, v1
	v_pk_fma_f16 v2, v97, v3, v2
	v_and_b32_e32 v3, 0xffff, v68
	v_mul_u32_u24_e32 v6, 0x10001, v6
	s_delay_alu instid0(VALU_DEP_4) | instskip(NEXT) | instid1(VALU_DEP_4)
	v_pk_fma_f16 v1, v98, v4, v1
	v_pk_fma_f16 v2, v99, v4, v2
	v_lshrrev_b32_e32 v4, 16, v68
	v_mul_u32_u24_e32 v3, 0x10001, v3
	s_delay_alu instid0(VALU_DEP_4) | instskip(NEXT) | instid1(VALU_DEP_4)
	;; [unrolled: 10-line block ×7, first 2 shown]
	v_pk_fma_f16 v1, v120, v3, v1
	v_pk_fma_f16 v2, v121, v3, v2
	s_delay_alu instid0(VALU_DEP_4) | instskip(NEXT) | instid1(VALU_DEP_3)
	v_mul_u32_u24_e32 v6, 0x10001, v6
	v_pk_fma_f16 v1, v122, v4, v1
	s_delay_alu instid0(VALU_DEP_3) | instskip(NEXT) | instid1(VALU_DEP_2)
	v_pk_fma_f16 v7, v123, v4, v2
	v_pk_fma_f16 v10, v124, v5, v1
	ds_load_b128 v[1:4], v46 offset:64
	v_pk_fma_f16 v5, v125, v5, v7
	v_pk_fma_f16 v7, v126, v6, v10
	v_and_b32_e32 v10, 0xffff, v75
	s_delay_alu instid0(VALU_DEP_3) | instskip(NEXT) | instid1(VALU_DEP_3)
	v_pk_fma_f16 v12, v127, v6, v5
	v_pk_fma_f16 v13, v128, v9, v7
	ds_load_2addr_b64 v[5:8], v36 offset1:32
	v_pk_fma_f16 v9, v129, v9, v12
	v_mul_u32_u24_e32 v15, 0x10001, v10
	v_pk_fma_f16 v10, v130, v11, v13
	v_mul_u32_u24_e32 v13, 0x10001, v14
	s_delay_alu instid0(VALU_DEP_4) | instskip(NEXT) | instid1(VALU_DEP_3)
	v_pk_fma_f16 v14, v131, v11, v9
	v_pk_fma_f16 v55, v132, v15, v10
	s_wait_dscnt 0x1
	v_and_b32_e32 v56, 0xffff, v1
	s_delay_alu instid0(VALU_DEP_3)
	v_pk_fma_f16 v14, v133, v15, v14
	ds_load_2addr_b64 v[9:12], v36 offset0:64 offset1:96
	ds_load_b128 v[68:71], v46 offset:80
	v_lshrrev_b32_e32 v1, 16, v1
	v_pk_fma_f16 v15, v134, v13, v55
	v_mul_u32_u24_e32 v55, 0x10001, v56
	v_pk_fma_f16 v13, v135, v13, v14
	ds_load_2addr_b64 v[72:75], v36 offset0:128 offset1:160
	v_and_b32_e32 v14, 0xffff, v2
	v_mul_u32_u24_e32 v1, 0x10001, v1
	s_wait_dscnt 0x3
	v_pk_fma_f16 v5, v5, v55, v15
	v_pk_fma_f16 v6, v6, v55, v13
	v_lshrrev_b32_e32 v2, 16, v2
	v_mul_u32_u24_e32 v13, 0x10001, v14
	v_and_b32_e32 v15, 0xffff, v3
	v_pk_fma_f16 v14, v7, v1, v5
	v_pk_fma_f16 v1, v8, v1, v6
	ds_load_2addr_b64 v[5:8], v36 offset0:192 offset1:224
	v_mul_u32_u24_e32 v2, 0x10001, v2
	v_lshrrev_b32_e32 v3, 16, v3
	ds_load_2addr_b64 v[76:79], v63 offset1:32
	s_wait_dscnt 0x4
	v_pk_fma_f16 v9, v9, v13, v14
	v_pk_fma_f16 v1, v10, v13, v1
	v_mul_u32_u24_e32 v13, 0x10001, v15
	v_mul_u32_u24_e32 v3, 0x10001, v3
	s_wait_dscnt 0x3
	v_and_b32_e32 v56, 0xffff, v68
	v_pk_fma_f16 v14, v11, v2, v9
	v_pk_fma_f16 v1, v12, v2, v1
	ds_load_2addr_b64 v[9:12], v67 offset1:32
	v_and_b32_e32 v2, 0xffff, v4
	s_wait_dscnt 0x3
	v_pk_fma_f16 v14, v72, v13, v14
	v_pk_fma_f16 v1, v73, v13, v1
	v_lshrrev_b32_e32 v13, 16, v4
	v_mul_u32_u24_e32 v15, 0x10001, v2
	s_delay_alu instid0(VALU_DEP_4) | instskip(NEXT) | instid1(VALU_DEP_4)
	v_pk_fma_f16 v14, v74, v3, v14
	v_pk_fma_f16 v55, v75, v3, v1
	ds_load_2addr_b64 v[1:4], v67 offset0:64 offset1:96
	v_mul_u32_u24_e32 v13, 0x10001, v13
	ds_load_b128 v[72:75], v46 offset:96
	s_wait_dscnt 0x4
	v_pk_fma_f16 v5, v5, v15, v14
	v_pk_fma_f16 v6, v6, v15, v55
	v_lshrrev_b32_e32 v14, 16, v68
	v_mul_u32_u24_e32 v15, 0x10001, v56
	v_and_b32_e32 v56, 0xffff, v69
	v_pk_fma_f16 v55, v7, v13, v5
	v_pk_fma_f16 v13, v8, v13, v6
	ds_load_2addr_b64 v[5:8], v67 offset0:128 offset1:160
	v_mul_u32_u24_e32 v14, 0x10001, v14
	s_wait_dscnt 0x3
	v_pk_fma_f16 v9, v9, v15, v55
	v_pk_fma_f16 v10, v10, v15, v13
	v_lshrrev_b32_e32 v13, 16, v69
	v_mul_u32_u24_e32 v15, 0x10001, v56
	v_and_b32_e32 v56, 0xffff, v70
	v_pk_fma_f16 v55, v11, v14, v9
	v_pk_fma_f16 v14, v12, v14, v10
	ds_load_2addr_b64 v[9:12], v67 offset0:192 offset1:224
	v_mul_u32_u24_e32 v13, 0x10001, v13
	s_wait_dscnt 0x3
	v_pk_fma_f16 v1, v1, v15, v55
	v_pk_fma_f16 v2, v2, v15, v14
	v_lshrrev_b32_e32 v14, 16, v70
	v_mul_u32_u24_e32 v15, 0x10001, v56
	v_and_b32_e32 v56, 0xffff, v71
	v_pk_fma_f16 v55, v3, v13, v1
	v_pk_fma_f16 v13, v4, v13, v2
	ds_load_2addr_b64 v[1:4], v64 offset1:32
	v_mul_u32_u24_e32 v14, 0x10001, v14
	ds_load_2addr_b64 v[67:70], v64 offset0:64 offset1:96
	s_wait_dscnt 0x3
	v_pk_fma_f16 v5, v5, v15, v55
	v_pk_fma_f16 v6, v6, v15, v13
	v_lshrrev_b32_e32 v13, 16, v71
	v_mul_u32_u24_e32 v15, 0x10001, v56
	s_delay_alu instid0(VALU_DEP_4) | instskip(NEXT) | instid1(VALU_DEP_4)
	v_pk_fma_f16 v55, v7, v14, v5
	v_pk_fma_f16 v14, v8, v14, v6
	ds_load_b128 v[5:8], v46 offset:112
	v_and_b32_e32 v56, 0xffff, v72
	v_mul_u32_u24_e32 v13, 0x10001, v13
	s_wait_dscnt 0x3
	v_pk_fma_f16 v9, v9, v15, v55
	v_pk_fma_f16 v10, v10, v15, v14
	v_lshrrev_b32_e32 v14, 16, v72
	v_mul_u32_u24_e32 v15, 0x10001, v56
	v_and_b32_e32 v56, 0xffff, v73
	v_pk_fma_f16 v55, v11, v13, v9
	v_pk_fma_f16 v13, v12, v13, v10
	ds_load_2addr_b64 v[9:12], v64 offset0:128 offset1:160
	v_mul_u32_u24_e32 v14, 0x10001, v14
	s_wait_dscnt 0x3
	v_pk_fma_f16 v1, v1, v15, v55
	v_pk_fma_f16 v2, v2, v15, v13
	v_lshrrev_b32_e32 v13, 16, v73
	v_mul_u32_u24_e32 v15, 0x10001, v56
	v_and_b32_e32 v56, 0xffff, v74
	v_pk_fma_f16 v55, v3, v14, v1
	v_pk_fma_f16 v14, v4, v14, v2
	ds_load_2addr_b64 v[1:4], v64 offset0:192 offset1:224
	v_mul_u32_u24_e32 v13, 0x10001, v13
	v_mul_u32_u24_e32 v56, 0x10001, v56
	s_wait_dscnt 0x3
	v_pk_fma_f16 v55, v67, v15, v55
	v_pk_fma_f16 v14, v68, v15, v14
	v_lshrrev_b32_e32 v15, 16, v74
	ds_load_2addr_b64 v[71:74], v63 offset0:128 offset1:160
	v_pk_fma_f16 v55, v69, v13, v55
	v_pk_fma_f16 v13, v70, v13, v14
	v_and_b32_e32 v14, 0xffff, v75
	v_mul_u32_u24_e32 v15, 0x10001, v15
	ds_load_2addr_b64 v[67:70], v63 offset0:64 offset1:96
	s_wait_dscnt 0x3
	v_pk_fma_f16 v9, v9, v56, v55
	v_pk_fma_f16 v10, v10, v56, v13
	v_lshrrev_b32_e32 v13, 16, v75
	v_mul_u32_u24_e32 v14, 0x10001, v14
	v_and_b32_e32 v56, 0xffff, v5
	v_pk_fma_f16 v55, v11, v15, v9
	v_pk_fma_f16 v15, v12, v15, v10
	v_mul_u32_u24_e32 v13, 0x10001, v13
	v_lshrrev_b32_e32 v5, 16, v5
	ds_load_2addr_b64 v[9:12], v63 offset0:192 offset1:224
	s_wait_dscnt 0x3
	v_pk_fma_f16 v1, v1, v14, v55
	v_pk_fma_f16 v2, v2, v14, v15
	v_mul_u32_u24_e32 v14, 0x10001, v56
	s_wait_loadcnt_dscnt 0x0
	s_barrier_signal -1
	v_pk_fma_f16 v1, v3, v13, v1
	v_pk_fma_f16 v2, v4, v13, v2
	v_and_b32_e32 v3, 0xffff, v6
	v_mul_u32_u24_e32 v4, 0x10001, v5
	v_lshrrev_b32_e32 v5, 16, v6
	v_pk_fma_f16 v1, v76, v14, v1
	v_pk_fma_f16 v2, v77, v14, v2
	v_mul_u32_u24_e32 v3, 0x10001, v3
	s_barrier_wait -1
	v_mul_u32_u24_e32 v5, 0x10001, v5
	v_pk_fma_f16 v1, v78, v4, v1
	v_pk_fma_f16 v2, v79, v4, v2
	v_and_b32_e32 v4, 0xffff, v7
	global_inv scope:SCOPE_SE
	s_load_b32 s11, s[24:25], 0x4
	v_pk_fma_f16 v1, v67, v3, v1
	v_pk_fma_f16 v2, v68, v3, v2
	v_lshrrev_b32_e32 v3, 16, v7
	v_mul_u32_u24_e32 v4, 0x10001, v4
	s_delay_alu instid0(VALU_DEP_4) | instskip(NEXT) | instid1(VALU_DEP_4)
	v_pk_fma_f16 v1, v69, v5, v1
	v_pk_fma_f16 v2, v70, v5, v2
	v_and_b32_e32 v5, 0xffff, v8
	v_mul_u32_u24_e32 v3, 0x10001, v3
	s_delay_alu instid0(VALU_DEP_4) | instskip(NEXT) | instid1(VALU_DEP_4)
	v_pk_fma_f16 v1, v71, v4, v1
	v_pk_fma_f16 v2, v72, v4, v2
	v_lshrrev_b32_e32 v4, 16, v8
	v_mul_u32_u24_e32 v5, 0x10001, v5
	s_delay_alu instid0(VALU_DEP_4) | instskip(NEXT) | instid1(VALU_DEP_4)
	v_pk_fma_f16 v6, v73, v3, v1
	v_pk_fma_f16 v2, v74, v3, v2
	v_add_f32_e32 v1, v65, v66
	v_mul_u32_u24_e32 v3, 0x10001, v4
	s_wait_kmcnt 0x0
	s_lshl_b32 s11, s11, 6
	v_pk_fma_f16 v4, v9, v5, v6
	v_pk_fma_f16 v2, v10, v5, v2
	v_fmac_f32_e32 v1, v54, v0
	s_wait_alu 0xfffe
	s_add_co_i32 s10, s11, s10
	v_pk_fma_f16 v55, v11, v3, v4
	v_pk_fma_f16 v56, v12, v3, v2
	s_wait_alu 0xfffe
	s_cmp_ge_i32 s10, s28
	s_cbranch_scc1 .LBB84_19
; %bb.18:                               ;   in Loop: Header=BB84_9 Depth=1
	v_dual_mov_b32 v57, v35 :: v_dual_mov_b32 v54, v1
	s_branch .LBB84_9
.LBB84_19:
	v_dual_mov_b32 v2, 32 :: v_dual_mov_b32 v3, v40
.LBB84_20:
	s_delay_alu instid0(VALU_DEP_1)
	v_cmp_lt_i32_e32 vcc_lo, v59, v2
	s_cmp_lg_u64 s[12:13], 0
	s_cselect_b32 s3, -1, 0
	s_cmp_eq_u32 s4, 0
	s_wait_alu 0xfffd
	v_cndmask_b32_e32 v0, v3, v59, vcc_lo
	v_cmp_lt_i32_e32 vcc_lo, v58, v2
	s_cselect_b32 s5, -1, 0
	s_wait_alu 0xfffe
	s_and_b32 s3, s5, s3
	v_lshlrev_b32_e32 v0, 2, v0
	s_wait_alu 0xfffd
	v_cndmask_b32_e32 v4, v3, v58, vcc_lo
	v_cmp_lt_i32_e32 vcc_lo, v60, v2
	ds_bpermute_b32 v0, v0, v1
	v_lshlrev_b32_e32 v4, 2, v4
	s_wait_dscnt 0x0
	v_add_f32_e32 v0, v1, v0
	ds_bpermute_b32 v1, v4, v0
	s_wait_alu 0xfffd
	v_cndmask_b32_e32 v4, v3, v60, vcc_lo
	v_cmp_lt_i32_e32 vcc_lo, v61, v2
	s_delay_alu instid0(VALU_DEP_2)
	v_lshlrev_b32_e32 v4, 2, v4
	s_wait_dscnt 0x0
	v_add_f32_e32 v0, v0, v1
	ds_bpermute_b32 v1, v4, v0
	s_wait_alu 0xfffd
	v_cndmask_b32_e32 v4, v3, v61, vcc_lo
	v_cmp_lt_i32_e32 vcc_lo, v62, v2
	s_delay_alu instid0(VALU_DEP_2) | instskip(SKIP_4) | instid1(VALU_DEP_1)
	v_lshlrev_b32_e32 v4, 2, v4
	s_wait_alu 0xfffd
	v_cndmask_b32_e32 v2, v3, v62, vcc_lo
	s_wait_alu 0xfffe
	s_and_b32 vcc_lo, exec_lo, s3
	v_lshlrev_b32_e32 v2, 2, v2
	s_wait_dscnt 0x0
	v_add_f32_e32 v0, v0, v1
	ds_bpermute_b32 v1, v4, v0
	s_wait_dscnt 0x0
	v_add_f32_e32 v0, v0, v1
	ds_bpermute_b32 v1, v2, v0
	s_wait_dscnt 0x0
	v_add_f32_e32 v36, v0, v1
	s_wait_alu 0xfffe
	s_cbranch_vccz .LBB84_22
; %bb.21:
	v_add_nc_u32_e32 v0, s33, v37
	s_delay_alu instid0(VALU_DEP_1) | instskip(NEXT) | instid1(VALU_DEP_1)
	v_ashrrev_i32_e32 v1, 31, v0
	v_lshlrev_b64_e32 v[0:1], 2, v[0:1]
	s_delay_alu instid0(VALU_DEP_1) | instskip(SKIP_1) | instid1(VALU_DEP_2)
	v_add_co_u32 v0, vcc_lo, s12, v0
	s_wait_alu 0xfffd
	v_add_co_ci_u32_e64 v1, null, s13, v1, vcc_lo
	global_load_b32 v0, v[0:1], off
	s_wait_loadcnt 0x0
	v_dual_max_num_f32 v1, v35, v35 :: v_dual_max_num_f32 v2, v0, v0
	s_delay_alu instid0(VALU_DEP_1) | instskip(NEXT) | instid1(VALU_DEP_1)
	v_max_num_f32_e32 v1, v1, v2
	v_sub_f32_e32 v0, v0, v1
	s_delay_alu instid0(VALU_DEP_1) | instskip(NEXT) | instid1(VALU_DEP_1)
	v_mul_f32_e32 v6, 0x3fb8aa3b, v0
	v_fma_f32 v7, 0x3fb8aa3b, v0, -v6
	v_sub_f32_e32 v2, v35, v1
	v_rndne_f32_e32 v8, v6
	v_mov_b32_e32 v35, v1
	s_delay_alu instid0(VALU_DEP_4) | instskip(NEXT) | instid1(VALU_DEP_4)
	v_fmac_f32_e32 v7, 0x32a5705f, v0
	v_mul_f32_e32 v3, 0x3fb8aa3b, v2
	v_cmp_ngt_f32_e32 vcc_lo, 0xc2ce8ed0, v2
	s_delay_alu instid0(VALU_DEP_2) | instskip(SKIP_1) | instid1(VALU_DEP_1)
	v_fma_f32 v4, 0x3fb8aa3b, v2, -v3
	v_rndne_f32_e32 v5, v3
	v_dual_fmac_f32 v4, 0x32a5705f, v2 :: v_dual_sub_f32 v3, v3, v5
	v_cvt_i32_f32_e32 v5, v5
	s_delay_alu instid0(VALU_DEP_2) | instskip(SKIP_1) | instid1(VALU_DEP_2)
	v_add_f32_e32 v3, v3, v4
	v_sub_f32_e32 v4, v6, v8
	v_exp_f32_e32 v3, v3
	s_delay_alu instid0(VALU_DEP_1) | instskip(NEXT) | instid1(VALU_DEP_1)
	v_add_f32_e32 v4, v4, v7
	v_exp_f32_e32 v4, v4
	s_delay_alu instid0(TRANS32_DEP_2) | instskip(SKIP_2) | instid1(VALU_DEP_2)
	v_ldexp_f32 v3, v3, v5
	v_cvt_i32_f32_e32 v5, v8
	s_wait_alu 0xfffd
	v_cndmask_b32_e32 v3, 0, v3, vcc_lo
	v_cmp_nlt_f32_e32 vcc_lo, 0x42b17218, v2
	s_delay_alu instid0(TRANS32_DEP_1) | instid1(VALU_DEP_3)
	v_ldexp_f32 v4, v4, v5
	s_wait_alu 0xfffd
	s_delay_alu instid0(VALU_DEP_3)
	v_cndmask_b32_e32 v2, 0x7f800000, v3, vcc_lo
	v_cmp_ngt_f32_e32 vcc_lo, 0xc2ce8ed0, v0
	s_wait_alu 0xfffd
	v_cndmask_b32_e32 v3, 0, v4, vcc_lo
	v_cmp_nlt_f32_e32 vcc_lo, 0x42b17218, v0
	v_cvt_f16_f32_e32 v4, v2
	s_wait_alu 0xfffd
	s_delay_alu instid0(VALU_DEP_3) | instskip(NEXT) | instid1(VALU_DEP_1)
	v_cndmask_b32_e32 v0, 0x7f800000, v3, vcc_lo
	v_dual_fmac_f32 v0, v36, v2 :: v_dual_and_b32 v3, 0xffff, v4
	s_delay_alu instid0(VALU_DEP_1) | instskip(NEXT) | instid1(VALU_DEP_2)
	v_mov_b32_e32 v36, v0
	v_mul_u32_u24_e32 v2, 0x10001, v3
	s_delay_alu instid0(VALU_DEP_1)
	v_pk_mul_f16 v55, v55, v2
	v_pk_mul_f16 v56, v56, v2
.LBB84_22:
	s_mov_b32 s3, exec_lo
	v_cmpx_gt_i32_e64 s22, v16
	s_cbranch_execz .LBB84_25
; %bb.23:
	v_div_scale_f32 v3, null, v36, v36, 1.0
	v_mad_co_u64_u32 v[0:1], null, s2, s22, v[16:17]
	s_load_b32 s1, s[0:1], 0xd4
	v_rcp_f32_e32 v4, v3
	v_div_scale_f32 v5, vcc_lo, 1.0, v36, 1.0
	v_cvt_f32_f16_e32 v7, v56
	v_cmp_eq_u32_e64 s0, 0, v17
	v_mul_lo_u32 v0, v0, s23
	s_delay_alu instid0(TRANS32_DEP_1) | instskip(NEXT) | instid1(VALU_DEP_2)
	v_fma_f32 v2, -v3, v4, 1.0
	v_add3_u32 v0, s33, v37, v0
	s_delay_alu instid0(VALU_DEP_2) | instskip(SKIP_3) | instid1(VALU_DEP_2)
	v_fmac_f32_e32 v4, v2, v4
	v_mov_b32_e32 v2, 0
	s_wait_kmcnt 0x0
	s_cmp_lg_u32 s1, 1
	v_mul_f32_e32 v6, v5, v4
	s_delay_alu instid0(VALU_DEP_1) | instskip(NEXT) | instid1(VALU_DEP_1)
	v_fma_f32 v1, -v3, v6, v5
	v_fmac_f32_e32 v6, v1, v4
	v_mad_co_u64_u32 v[0:1], null, s1, v0, s[4:5]
	s_cselect_b32 s1, -1, 0
	s_wait_alu 0xfffe
	s_and_b32 s0, s0, s1
	v_fma_f32 v1, -v3, v6, v5
	v_lshrrev_b32_e32 v5, 16, v55
	v_cvt_f32_f16_e32 v3, v55
	s_wait_alu 0xfffd
	s_delay_alu instid0(VALU_DEP_3) | instskip(SKIP_3) | instid1(VALU_DEP_4)
	v_div_fmas_f32 v4, v1, v4, v6
	v_lshl_add_u32 v1, v0, 7, v38
	v_lshrrev_b32_e32 v6, 16, v56
	v_cvt_f32_f16_e32 v8, v5
	v_div_fixup_f32 v4, v4, v36, 1.0
	s_delay_alu instid0(VALU_DEP_4) | instskip(NEXT) | instid1(VALU_DEP_4)
	v_lshlrev_b64_e32 v[1:2], 2, v[1:2]
	v_cvt_f32_f16_e32 v9, v6
	s_delay_alu instid0(VALU_DEP_3) | instskip(NEXT) | instid1(VALU_DEP_3)
	v_cndmask_b32_e64 v4, v4, 1.0, s1
	v_add_co_u32 v5, vcc_lo, s16, v1
	s_wait_alu 0xfffd
	s_delay_alu instid0(VALU_DEP_4) | instskip(NEXT) | instid1(VALU_DEP_3)
	v_add_co_ci_u32_e64 v6, null, s17, v2, vcc_lo
	v_mul_f32_e32 v1, v4, v3
	v_mul_f32_e32 v2, v4, v8
	;; [unrolled: 1-line block ×4, first 2 shown]
	global_store_b128 v[5:6], v[1:4], off
	s_wait_alu 0xfffe
	s_and_b32 exec_lo, exec_lo, s0
	s_cbranch_execz .LBB84_25
; %bb.24:
	v_ashrrev_i32_e32 v1, 31, v0
	s_delay_alu instid0(VALU_DEP_1) | instskip(NEXT) | instid1(VALU_DEP_1)
	v_lshlrev_b64_e32 v[0:1], 3, v[0:1]
	v_add_co_u32 v0, vcc_lo, s18, v0
	s_wait_alu 0xfffd
	s_delay_alu instid0(VALU_DEP_2)
	v_add_co_ci_u32_e64 v1, null, s19, v1, vcc_lo
	global_store_b64 v[0:1], v[35:36], off
.LBB84_25:
	s_nop 0
	s_sendmsg sendmsg(MSG_DEALLOC_VGPRS)
	s_endpgm
	.section	.rodata,"a",@progbits
	.p2align	6, 0x0
	.amdhsa_kernel _ZL15flash_attn_tileILi128ELi128ELi2ELi2ELb1EEvPKcS1_S1_S1_S1_PKiPfP15HIP_vector_typeIfLj2EEffffjfiS5_IjLj3EEiiiiiiiiiiiliiliiiiil
		.amdhsa_group_segment_fixed_size 10752
		.amdhsa_private_segment_fixed_size 0
		.amdhsa_kernarg_size 464
		.amdhsa_user_sgpr_count 2
		.amdhsa_user_sgpr_dispatch_ptr 0
		.amdhsa_user_sgpr_queue_ptr 0
		.amdhsa_user_sgpr_kernarg_segment_ptr 1
		.amdhsa_user_sgpr_dispatch_id 0
		.amdhsa_user_sgpr_private_segment_size 0
		.amdhsa_wavefront_size32 1
		.amdhsa_uses_dynamic_stack 0
		.amdhsa_enable_private_segment 0
		.amdhsa_system_sgpr_workgroup_id_x 1
		.amdhsa_system_sgpr_workgroup_id_y 1
		.amdhsa_system_sgpr_workgroup_id_z 1
		.amdhsa_system_sgpr_workgroup_info 0
		.amdhsa_system_vgpr_workitem_id 1
		.amdhsa_next_free_vgpr 152
		.amdhsa_next_free_sgpr 43
		.amdhsa_reserve_vcc 1
		.amdhsa_float_round_mode_32 0
		.amdhsa_float_round_mode_16_64 0
		.amdhsa_float_denorm_mode_32 3
		.amdhsa_float_denorm_mode_16_64 3
		.amdhsa_fp16_overflow 0
		.amdhsa_workgroup_processor_mode 1
		.amdhsa_memory_ordered 1
		.amdhsa_forward_progress 1
		.amdhsa_inst_pref_size 64
		.amdhsa_round_robin_scheduling 0
		.amdhsa_exception_fp_ieee_invalid_op 0
		.amdhsa_exception_fp_denorm_src 0
		.amdhsa_exception_fp_ieee_div_zero 0
		.amdhsa_exception_fp_ieee_overflow 0
		.amdhsa_exception_fp_ieee_underflow 0
		.amdhsa_exception_fp_ieee_inexact 0
		.amdhsa_exception_int_div_zero 0
	.end_amdhsa_kernel
	.section	.text._ZL15flash_attn_tileILi128ELi128ELi2ELi2ELb1EEvPKcS1_S1_S1_S1_PKiPfP15HIP_vector_typeIfLj2EEffffjfiS5_IjLj3EEiiiiiiiiiiiliiliiiiil,"axG",@progbits,_ZL15flash_attn_tileILi128ELi128ELi2ELi2ELb1EEvPKcS1_S1_S1_S1_PKiPfP15HIP_vector_typeIfLj2EEffffjfiS5_IjLj3EEiiiiiiiiiiiliiliiiiil,comdat
.Lfunc_end84:
	.size	_ZL15flash_attn_tileILi128ELi128ELi2ELi2ELb1EEvPKcS1_S1_S1_S1_PKiPfP15HIP_vector_typeIfLj2EEffffjfiS5_IjLj3EEiiiiiiiiiiiliiliiiiil, .Lfunc_end84-_ZL15flash_attn_tileILi128ELi128ELi2ELi2ELb1EEvPKcS1_S1_S1_S1_PKiPfP15HIP_vector_typeIfLj2EEffffjfiS5_IjLj3EEiiiiiiiiiiiliiliiiiil
                                        ; -- End function
	.set _ZL15flash_attn_tileILi128ELi128ELi2ELi2ELb1EEvPKcS1_S1_S1_S1_PKiPfP15HIP_vector_typeIfLj2EEffffjfiS5_IjLj3EEiiiiiiiiiiiliiliiiiil.num_vgpr, 152
	.set _ZL15flash_attn_tileILi128ELi128ELi2ELi2ELb1EEvPKcS1_S1_S1_S1_PKiPfP15HIP_vector_typeIfLj2EEffffjfiS5_IjLj3EEiiiiiiiiiiiliiliiiiil.num_agpr, 0
	.set _ZL15flash_attn_tileILi128ELi128ELi2ELi2ELb1EEvPKcS1_S1_S1_S1_PKiPfP15HIP_vector_typeIfLj2EEffffjfiS5_IjLj3EEiiiiiiiiiiiliiliiiiil.numbered_sgpr, 43
	.set _ZL15flash_attn_tileILi128ELi128ELi2ELi2ELb1EEvPKcS1_S1_S1_S1_PKiPfP15HIP_vector_typeIfLj2EEffffjfiS5_IjLj3EEiiiiiiiiiiiliiliiiiil.num_named_barrier, 0
	.set _ZL15flash_attn_tileILi128ELi128ELi2ELi2ELb1EEvPKcS1_S1_S1_S1_PKiPfP15HIP_vector_typeIfLj2EEffffjfiS5_IjLj3EEiiiiiiiiiiiliiliiiiil.private_seg_size, 0
	.set _ZL15flash_attn_tileILi128ELi128ELi2ELi2ELb1EEvPKcS1_S1_S1_S1_PKiPfP15HIP_vector_typeIfLj2EEffffjfiS5_IjLj3EEiiiiiiiiiiiliiliiiiil.uses_vcc, 1
	.set _ZL15flash_attn_tileILi128ELi128ELi2ELi2ELb1EEvPKcS1_S1_S1_S1_PKiPfP15HIP_vector_typeIfLj2EEffffjfiS5_IjLj3EEiiiiiiiiiiiliiliiiiil.uses_flat_scratch, 0
	.set _ZL15flash_attn_tileILi128ELi128ELi2ELi2ELb1EEvPKcS1_S1_S1_S1_PKiPfP15HIP_vector_typeIfLj2EEffffjfiS5_IjLj3EEiiiiiiiiiiiliiliiiiil.has_dyn_sized_stack, 0
	.set _ZL15flash_attn_tileILi128ELi128ELi2ELi2ELb1EEvPKcS1_S1_S1_S1_PKiPfP15HIP_vector_typeIfLj2EEffffjfiS5_IjLj3EEiiiiiiiiiiiliiliiiiil.has_recursion, 0
	.set _ZL15flash_attn_tileILi128ELi128ELi2ELi2ELb1EEvPKcS1_S1_S1_S1_PKiPfP15HIP_vector_typeIfLj2EEffffjfiS5_IjLj3EEiiiiiiiiiiiliiliiiiil.has_indirect_call, 0
	.section	.AMDGPU.csdata,"",@progbits
; Kernel info:
; codeLenInByte = 8084
; TotalNumSgprs: 45
; NumVgprs: 152
; ScratchSize: 0
; MemoryBound: 0
; FloatMode: 240
; IeeeMode: 1
; LDSByteSize: 10752 bytes/workgroup (compile time only)
; SGPRBlocks: 0
; VGPRBlocks: 18
; NumSGPRsForWavesPerEU: 45
; NumVGPRsForWavesPerEU: 152
; Occupancy: 9
; WaveLimiterHint : 1
; COMPUTE_PGM_RSRC2:SCRATCH_EN: 0
; COMPUTE_PGM_RSRC2:USER_SGPR: 2
; COMPUTE_PGM_RSRC2:TRAP_HANDLER: 0
; COMPUTE_PGM_RSRC2:TGID_X_EN: 1
; COMPUTE_PGM_RSRC2:TGID_Y_EN: 1
; COMPUTE_PGM_RSRC2:TGID_Z_EN: 1
; COMPUTE_PGM_RSRC2:TIDIG_COMP_CNT: 1
	.section	.text._ZL15flash_attn_tileILi128ELi128ELi1ELi2ELb1EEvPKcS1_S1_S1_S1_PKiPfP15HIP_vector_typeIfLj2EEffffjfiS5_IjLj3EEiiiiiiiiiiiliiliiiiil,"axG",@progbits,_ZL15flash_attn_tileILi128ELi128ELi1ELi2ELb1EEvPKcS1_S1_S1_S1_PKiPfP15HIP_vector_typeIfLj2EEffffjfiS5_IjLj3EEiiiiiiiiiiiliiliiiiil,comdat
	.globl	_ZL15flash_attn_tileILi128ELi128ELi1ELi2ELb1EEvPKcS1_S1_S1_S1_PKiPfP15HIP_vector_typeIfLj2EEffffjfiS5_IjLj3EEiiiiiiiiiiiliiliiiiil ; -- Begin function _ZL15flash_attn_tileILi128ELi128ELi1ELi2ELb1EEvPKcS1_S1_S1_S1_PKiPfP15HIP_vector_typeIfLj2EEffffjfiS5_IjLj3EEiiiiiiiiiiiliiliiiiil
	.p2align	8
	.type	_ZL15flash_attn_tileILi128ELi128ELi1ELi2ELb1EEvPKcS1_S1_S1_S1_PKiPfP15HIP_vector_typeIfLj2EEffffjfiS5_IjLj3EEiiiiiiiiiiiliiliiiiil,@function
_ZL15flash_attn_tileILi128ELi128ELi1ELi2ELb1EEvPKcS1_S1_S1_S1_PKiPfP15HIP_vector_typeIfLj2EEffffjfiS5_IjLj3EEiiiiiiiiiiiliiliiiiil: ; @_ZL15flash_attn_tileILi128ELi128ELi1ELi2ELb1EEvPKcS1_S1_S1_S1_PKiPfP15HIP_vector_typeIfLj2EEffffjfiS5_IjLj3EEiiiiiiiiiiiliiliiiiil
; %bb.0:
	s_clause 0x1
	s_load_b128 s[20:23], s[0:1], 0x5c
	s_load_b64 s[28:29], s[0:1], 0x80
	s_lshr_b32 s5, ttmp7, 16
	s_load_b64 s[36:37], s[0:1], 0xb8
	s_mov_b32 s35, 0
	s_mov_b64 s[30:31], 0
	s_wait_kmcnt 0x0
	s_lshr_b32 s2, s23, 31
	s_delay_alu instid0(SALU_CYCLE_1) | instskip(NEXT) | instid1(SALU_CYCLE_1)
	s_add_co_i32 s2, s23, s2
	s_ashr_i32 s2, s2, 1
	s_delay_alu instid0(SALU_CYCLE_1) | instskip(SKIP_1) | instid1(SALU_CYCLE_2)
	s_cvt_f32_u32 s3, s2
	s_sub_co_i32 s4, 0, s2
	v_rcp_iflag_f32_e32 v1, s3
	s_delay_alu instid0(TRANS32_DEP_1) | instskip(SKIP_2) | instid1(SALU_CYCLE_2)
	v_readfirstlane_b32 s3, v1
	s_mul_f32 s3, s3, 0x4f7ffffe
	s_wait_alu 0xfffe
	s_cvt_u32_f32 s3, s3
	s_wait_alu 0xfffe
	s_delay_alu instid0(SALU_CYCLE_2) | instskip(NEXT) | instid1(SALU_CYCLE_1)
	s_mul_i32 s4, s4, s3
	s_mul_hi_u32 s4, s3, s4
	s_delay_alu instid0(SALU_CYCLE_1)
	s_add_co_i32 s3, s3, s4
	s_wait_alu 0xfffe
	s_mul_hi_u32 s3, s5, s3
	s_wait_alu 0xfffe
	s_mul_i32 s4, s3, s2
	s_add_co_i32 s6, s3, 1
	s_sub_co_i32 s4, s5, s4
	s_delay_alu instid0(SALU_CYCLE_1)
	s_sub_co_i32 s7, s4, s2
	s_cmp_ge_u32 s4, s2
	s_cselect_b32 s3, s6, s3
	s_cselect_b32 s4, s7, s4
	s_wait_alu 0xfffe
	s_add_co_i32 s6, s3, 1
	s_cmp_ge_u32 s4, s2
	s_cselect_b32 s2, s6, s3
	s_abs_i32 s3, s29
	s_abs_i32 s8, s23
	s_wait_alu 0xfffe
	s_cvt_f32_u32 s4, s3
	s_sub_co_i32 s6, 0, s3
	s_lshl_b32 s5, s5, 1
	s_mul_i32 s7, s2, s23
	v_rcp_iflag_f32_e32 v1, s4
	s_sub_co_i32 s33, s5, s7
	s_xor_b32 s5, s23, s29
	s_wait_alu 0xfffe
	s_ashr_i32 s24, s5, 31
	s_delay_alu instid0(TRANS32_DEP_1) | instskip(SKIP_2) | instid1(SALU_CYCLE_2)
	v_readfirstlane_b32 s4, v1
	s_mul_f32 s4, s4, 0x4f7ffffe
	s_wait_alu 0xfffe
	s_cvt_u32_f32 s4, s4
	s_wait_alu 0xfffe
	s_delay_alu instid0(SALU_CYCLE_2) | instskip(NEXT) | instid1(SALU_CYCLE_1)
	s_mul_i32 s6, s6, s4
	s_mul_hi_u32 s6, s4, s6
	s_delay_alu instid0(SALU_CYCLE_1) | instskip(SKIP_4) | instid1(SALU_CYCLE_1)
	s_add_co_i32 s4, s4, s6
	s_wait_alu 0xfffe
	s_mul_hi_u32 s4, s8, s4
	s_wait_alu 0xfffe
	s_mul_i32 s6, s4, s3
	s_sub_co_i32 s5, s8, s6
	s_add_co_i32 s6, s4, 1
	s_wait_alu 0xfffe
	s_sub_co_i32 s7, s5, s3
	s_cmp_ge_u32 s5, s3
	s_cselect_b32 s4, s6, s4
	s_cselect_b32 s5, s7, s5
	s_wait_alu 0xfffe
	s_add_co_i32 s6, s4, 1
	s_cmp_ge_u32 s5, s3
	s_cselect_b32 s3, s6, s4
	s_load_b512 s[4:19], s[0:1], 0x0
	s_xor_b32 s3, s3, s24
	s_wait_alu 0xfffe
	s_sub_co_i32 s38, s3, s24
	s_delay_alu instid0(SALU_CYCLE_1) | instskip(NEXT) | instid1(SALU_CYCLE_1)
	s_abs_i32 s29, s38
	s_cvt_f32_u32 s3, s29
	s_wait_alu 0xfffe
	s_delay_alu instid0(SALU_CYCLE_2) | instskip(SKIP_2) | instid1(TRANS32_DEP_1)
	v_rcp_iflag_f32_e32 v1, s3
	s_wait_kmcnt 0x0
	s_cmp_eq_u64 s[10:11], 0
	v_readfirstlane_b32 s24, v1
	s_cbranch_scc1 .LBB85_2
; %bb.1:
	s_abs_i32 s3, s36
	s_wait_alu 0xfffe
	s_cvt_f32_u32 s25, s3
	s_sub_co_i32 s26, 0, s3
	s_delay_alu instid0(SALU_CYCLE_2) | instskip(NEXT) | instid1(TRANS32_DEP_1)
	v_rcp_iflag_f32_e32 v1, s25
	v_readfirstlane_b32 s25, v1
	s_mul_f32 s25, s25, 0x4f7ffffe
	s_wait_alu 0xfffe
	s_delay_alu instid0(SALU_CYCLE_2) | instskip(SKIP_1) | instid1(SALU_CYCLE_2)
	s_cvt_u32_f32 s25, s25
	s_wait_alu 0xfffe
	s_mul_i32 s26, s26, s25
	s_delay_alu instid0(SALU_CYCLE_1)
	s_mul_hi_u32 s30, s25, s26
	s_load_b64 s[26:27], s[0:1], 0xc8
	s_add_co_i32 s25, s25, s30
	s_wait_alu 0xfffe
	s_mul_hi_u32 s25, s2, s25
	s_wait_alu 0xfffe
	s_mul_i32 s25, s25, s3
	s_wait_alu 0xfffe
	s_sub_co_i32 s25, s2, s25
	s_wait_alu 0xfffe
	s_sub_co_i32 s30, s25, s3
	s_cmp_ge_u32 s25, s3
	s_cselect_b32 s25, s30, s25
	s_wait_alu 0xfffe
	s_sub_co_i32 s30, s25, s3
	s_cmp_ge_u32 s25, s3
	s_cselect_b32 s30, s30, s25
	s_delay_alu instid0(SALU_CYCLE_1) | instskip(SKIP_2) | instid1(SALU_CYCLE_1)
	s_ashr_i32 s31, s30, 31
	s_wait_kmcnt 0x0
	s_mul_u64 s[26:27], s[26:27], s[30:31]
	s_add_nc_u64 s[30:31], s[10:11], s[26:27]
.LBB85_2:
	v_lshrrev_b32_e32 v1, 10, v0
	s_load_b96 s[40:42], s[0:1], 0x70
	v_bfe_u32 v21, v0, 10, 1
	s_delay_alu instid0(VALU_DEP_2) | instskip(NEXT) | instid1(VALU_DEP_1)
	v_bfe_u32 v1, v1, 1, 9
	v_add_nc_u32_e32 v1, ttmp9, v1
	s_delay_alu instid0(VALU_DEP_1) | instskip(SKIP_3) | instid1(VALU_DEP_1)
	v_mul_hi_u32 v2, s20, v1
	s_wait_kmcnt 0x0
	s_mul_i32 s10, s33, s41
	s_mov_b32 s20, s41
	v_add_nc_u32_e32 v2, v1, v2
	s_delay_alu instid0(VALU_DEP_1)
	v_lshrrev_b32_e32 v2, s21, v2
	s_ashr_i32 s21, s41, 31
	s_ashr_i32 s41, s40, 31
	s_wait_alu 0xfffe
	s_lshr_b32 s3, s21, 2
	s_lshr_b64 s[26:27], s[40:41], 2
	v_mul_lo_u32 v2, v2, s22
	s_lshr_b32 s11, s41, 2
	s_wait_alu 0xfffe
	v_mul_lo_u32 v7, s3, v21
	s_load_b32 s3, s[0:1], 0x40
	s_delay_alu instid0(VALU_DEP_2) | instskip(NEXT) | instid1(VALU_DEP_1)
	v_sub_nc_u32_e32 v3, v1, v2
	v_mad_co_u64_u32 v[4:5], null, s26, v3, 0
	s_lshr_b64 s[26:27], s[20:21], 2
	s_mul_i32 s20, s2, s42
	s_wait_alu 0xfffe
	s_ashr_i32 s21, s20, 31
	s_wait_alu 0xfffe
	s_add_nc_u64 s[4:5], s[4:5], s[20:21]
	v_mov_b32_e32 v2, v5
	s_delay_alu instid0(VALU_DEP_1)
	v_mad_co_u64_u32 v[5:6], null, s11, v3, v[2:3]
	v_mul_lo_u32 v6, s26, v21
	s_ashr_i32 s11, s10, 31
	v_and_b32_e32 v2, 0x3ff, v0
	s_wait_alu 0xfffe
	s_add_nc_u64 s[4:5], s[4:5], s[10:11]
	s_cmp_eq_u64 s[14:15], 0
	s_delay_alu instid0(VALU_DEP_3) | instskip(SKIP_3) | instid1(VALU_DEP_1)
	v_lshlrev_b64_e32 v[4:5], 2, v[4:5]
	v_lshlrev_b32_e32 v8, 4, v2
	v_lshlrev_b64_e32 v[6:7], 2, v[6:7]
	s_wait_alu 0xfffe
	v_add_co_u32 v6, vcc_lo, s4, v6
	s_delay_alu instid0(VALU_DEP_1) | instskip(NEXT) | instid1(VALU_DEP_2)
	v_add_co_ci_u32_e64 v7, null, s5, v7, vcc_lo
	v_add_co_u32 v4, vcc_lo, v6, v4
	s_wait_alu 0xfffd
	s_delay_alu instid0(VALU_DEP_2) | instskip(NEXT) | instid1(VALU_DEP_2)
	v_add_co_ci_u32_e64 v5, null, v7, v5, vcc_lo
	v_add_co_u32 v4, vcc_lo, v4, v8
	s_wait_alu 0xfffd
	s_delay_alu instid0(VALU_DEP_2)
	v_add_co_ci_u32_e64 v5, null, 0, v5, vcc_lo
	global_load_b128 v[4:7], v[4:5], off
	s_wait_loadcnt 0x0
	s_wait_kmcnt 0x0
	v_fma_mixlo_f16 v5, s3, v5, 0
	v_fma_mixlo_f16 v8, s3, v4, 0
	v_bfe_u32 v4, v0, 10, 10
	v_fma_mixlo_f16 v6, s3, v6, 0
	v_fma_mixlo_f16 v7, s3, v7, 0
	v_lshlrev_b32_e32 v5, 16, v5
	v_and_b32_e32 v8, 0xffff, v8
	v_lshlrev_b32_e32 v0, 3, v2
	v_lshl_add_u32 v23, v4, 8, 0x1200
	v_lshlrev_b32_e32 v7, 16, v7
	v_and_b32_e32 v6, 0xffff, v6
	v_or_b32_e32 v5, v5, v8
	s_delay_alu instid0(VALU_DEP_4) | instskip(NEXT) | instid1(VALU_DEP_3)
	v_add_nc_u32_e32 v8, v23, v0
	v_or3_b32 v6, v7, v6, 0
	s_delay_alu instid0(VALU_DEP_3)
	v_or3_b32 v5, 0, 0, v5
	ds_store_b64 v8, v[5:6]
	s_wait_dscnt 0x0
	s_barrier_signal -1
	s_barrier_wait -1
	global_inv scope:SCOPE_SE
	s_cbranch_scc1 .LBB85_4
; %bb.3:
	s_load_b32 s3, s[0:1], 0xd0
	s_mov_b32 s5, 0
	s_wait_kmcnt 0x0
	s_mul_i32 s3, s3, s2
	s_wait_alu 0xfffe
	s_add_co_i32 s4, s3, ttmp9
	s_wait_alu 0xfffe
	s_lshl_b64 s[4:5], s[4:5], 2
	s_wait_alu 0xfffe
	s_add_nc_u64 s[4:5], s[14:15], s[4:5]
	s_load_b32 s28, s[4:5], 0x0
.LBB85_4:
	s_and_b32 s4, ttmp7, 0xffff
	v_mbcnt_lo_u32_b32 v24, -1, 0
	s_wait_alu 0xfffe
	s_lshl_b32 s10, s4, 5
	s_wait_kmcnt 0x0
	s_wait_alu 0xfffe
	s_cmp_lt_i32 s10, s28
	s_cbranch_scc1 .LBB85_7
; %bb.5:
	v_mbcnt_lo_u32_b32 v5, -1, 0
	v_mov_b32_e32 v25, 32
	s_delay_alu instid0(VALU_DEP_2)
	v_xor_b32_e32 v45, 16, v5
	v_xor_b32_e32 v43, 8, v5
	;; [unrolled: 1-line block ×5, first 2 shown]
	v_lshlrev_b32_e32 v22, 2, v2
	s_mov_b32 s3, 0
	s_cbranch_execz .LBB85_8
; %bb.6:
	v_mov_b32_e32 v40, 0
	v_mov_b32_e32 v48, 0
	;; [unrolled: 1-line block ×4, first 2 shown]
	s_branch .LBB85_16
.LBB85_7:
                                        ; implicit-def: $vgpr5
                                        ; implicit-def: $vgpr25
                                        ; implicit-def: $vgpr45
                                        ; implicit-def: $vgpr43
                                        ; implicit-def: $vgpr44
                                        ; implicit-def: $vgpr46
                                        ; implicit-def: $vgpr47
	v_lshlrev_b32_e32 v22, 2, v2
	s_mov_b32 s3, 0
.LBB85_8:
	s_mul_f32 s5, s24, 0x4f7ffffe
	s_clause 0x1
	s_load_b128 s[24:27], s[0:1], 0x98
	s_load_b64 s[20:21], s[0:1], 0x8c
	s_sub_co_i32 s14, 0, s29
	s_abs_i32 s34, s33
	s_cvt_u32_f32 s11, s5
	s_load_b32 s5, s[0:1], 0x54
	s_mov_b32 s15, s35
	s_ashr_i32 s36, s33, 31
	s_mul_i32 s14, s14, s11
	v_lshrrev_b32_e32 v5, 3, v2
	s_mul_hi_u32 s14, s11, s14
	s_ashr_i32 s37, s37, 1
	s_add_co_i32 s14, s11, s14
	s_ashr_i32 s11, s38, 31
	s_load_b64 s[38:39], s[0:1], 0xa8
	s_mul_u64 s[14:15], s[34:35], s[14:15]
	s_xor_b32 s11, s36, s11
	s_mul_i32 s35, s15, s29
	s_add_co_i32 s36, s15, 1
	s_sub_co_i32 s34, s34, s35
	s_wait_kmcnt 0x0
	s_ashr_i32 s14, s26, 2
	s_ashr_i32 s20, s20, 2
	s_sub_co_i32 s35, s34, s29
	s_cmp_ge_u32 s34, s29
	v_lshl_add_u32 v6, v4, 2, v5
	s_cselect_b32 s15, s36, s15
	s_cselect_b32 s34, s35, s34
	s_add_co_i32 s35, s15, 1
	v_dual_mov_b32 v30, 0 :: v_dual_and_b32 v11, 28, v22
	s_cmp_ge_u32 s34, s29
	s_wait_alu 0xfffe
	v_mul_lo_u32 v5, s20, v6
	s_cselect_b32 s15, s35, s15
	v_lshrrev_b32_e32 v8, 4, v2
	s_xor_b32 s15, s15, s11
	v_dual_mov_b32 v42, 0xfeffffff :: v_dual_lshlrev_b32 v7, 2, v11
	s_mul_u64 s[24:25], s[24:25], s[2:3]
	s_mul_u64 s[34:35], s[38:39], s[2:3]
	s_sub_co_i32 s3, s15, s11
	s_wait_alu 0xfffe
	s_add_nc_u64 s[6:7], s[6:7], s[24:25]
	s_mul_i32 s24, s3, s21
	s_add_nc_u64 s[8:9], s[8:9], s[34:35]
	s_mul_i32 s34, s3, s27
	s_lshl_b32 s3, s20, 3
	v_lshl_add_u32 v13, v4, 1, v8
	v_mad_u32_u24 v26, 0x90, v6, v7
	s_wait_alu 0xfffe
	v_add_nc_u32_e32 v7, s3, v5
	v_and_b32_e32 v20, 60, v22
	v_ashrrev_i32_e32 v6, 31, v5
	v_mul_lo_u32 v12, s14, v13
	v_lshl_add_u32 v32, v4, 6, 0x1400
	v_add_nc_u32_e32 v9, s3, v7
	v_lshlrev_b32_e32 v17, 2, v20
	v_ashrrev_i32_e32 v8, 31, v7
	v_mad_co_u64_u32 v[3:4], null, v3, s37, v[2:3]
	s_delay_alu instid0(VALU_DEP_4)
	v_add_nc_u32_e32 v14, s3, v9
	s_and_b32 s3, s26, -4
	v_ashrrev_i32_e32 v10, 31, v9
	s_wait_alu 0xfffe
	v_add_nc_u32_e32 v16, s3, v12
	v_lshl_or_b32 v33, v13, 8, v17
	v_ashrrev_i32_e32 v15, 31, v14
	v_ashrrev_i32_e32 v13, 31, v12
	v_lshlrev_b64_e32 v[4:5], 2, v[5:6]
	v_add_nc_u32_e32 v18, s3, v16
	v_ashrrev_i32_e32 v17, 31, v16
	v_lshlrev_b32_e32 v38, 2, v11
	v_lshlrev_b64_e32 v[6:7], 2, v[7:8]
	v_lshlrev_b64_e32 v[8:9], 2, v[9:10]
	v_add_nc_u32_e32 v40, s3, v18
	v_ashrrev_i32_e32 v19, 31, v18
	v_lshlrev_b64_e32 v[10:11], 2, v[14:15]
	v_lshlrev_b64_e32 v[12:13], 2, v[12:13]
	;; [unrolled: 1-line block ×3, first 2 shown]
	v_ashrrev_i32_e32 v41, 31, v40
	v_lshlrev_b64_e32 v[16:17], 2, v[18:19]
	v_add_nc_u32_e32 v27, 0x480, v26
	v_dual_mov_b32 v25, 32 :: v_dual_add_nc_u32 v28, 0x900, v26
	s_delay_alu instid0(VALU_DEP_4)
	v_lshlrev_b64_e32 v[18:19], 2, v[40:41]
	v_add_nc_u32_e32 v29, 0xd80, v26
	v_mul_u32_u24_e32 v31, 0x90, v2
	v_lshl_add_u32 v34, v2, 1, v32
	v_add_nc_u32_e32 v35, 0x400, v33
	v_add_nc_u32_e32 v36, 0x800, v33
	v_dual_mov_b32 v40, 0 :: v_dual_add_nc_u32 v37, 0xc00, v33
	v_mov_b32_e32 v41, 0
	v_lshlrev_b32_e32 v39, 2, v20
	s_ashr_i32 s25, s24, 31
	s_ashr_i32 s35, s34, 31
	s_wait_alu 0xfffe
	s_add_nc_u64 s[6:7], s[6:7], s[24:25]
	s_add_nc_u64 s[8:9], s[8:9], s[34:35]
	s_ashr_i32 s21, s20, 31
	s_ashr_i32 s15, s14, 31
	s_add_nc_u64 s[24:25], s[0:1], 0xd0
	s_mov_b32 s3, 0xbbbac73d
.LBB85_9:                               ; =>This Inner Loop Header: Depth=1
	s_ashr_i32 s11, s10, 31
	s_wait_alu 0xfffe
	s_mul_u64 s[26:27], s[10:11], s[20:21]
	s_wait_alu 0xfffe
	s_lshl_b64 s[26:27], s[26:27], 2
	s_wait_alu 0xfffe
	s_add_nc_u64 s[26:27], s[6:7], s[26:27]
	s_wait_alu 0xfffe
	v_add_co_u32 v20, vcc_lo, s26, v4
	s_wait_alu 0xfffd
	v_add_co_ci_u32_e64 v43, null, s27, v5, vcc_lo
	v_add_co_u32 v44, vcc_lo, s26, v6
	s_wait_alu 0xfffd
	v_add_co_ci_u32_e64 v45, null, s27, v7, vcc_lo
	;; [unrolled: 3-line block ×8, first 2 shown]
	s_clause 0x3
	global_load_b128 v[43:46], v[59:60], off
	global_load_b128 v[47:50], v[61:62], off
	;; [unrolled: 1-line block ×4, first 2 shown]
	v_mov_b32_e32 v20, 0
	s_wait_loadcnt 0x3
	ds_store_b128 v26, v[43:46]
	s_wait_loadcnt 0x2
	ds_store_b128 v27, v[47:50]
	;; [unrolled: 2-line block ×4, first 2 shown]
	s_wait_dscnt 0x0
	s_barrier_signal -1
	s_barrier_wait -1
	global_inv scope:SCOPE_SE
	ds_load_b128 v[43:46], v31
	ds_load_b128 v[47:50], v23
	s_wait_dscnt 0x0
	;;#ASMSTART
	v_dot2_f32_f16 v20, v43, v47, v20
	;;#ASMEND
	;;#ASMSTART
	v_dot2_f32_f16 v20, v44, v48, v20
	;;#ASMEND
	;;#ASMSTART
	v_dot2_f32_f16 v20, v45, v49, v20
	;;#ASMEND
	;;#ASMSTART
	v_dot2_f32_f16 v20, v46, v50, v20
	;;#ASMEND
	ds_load_b128 v[43:46], v31 offset:16
	ds_load_b128 v[47:50], v23 offset:16
	s_wait_dscnt 0x0
	;;#ASMSTART
	v_dot2_f32_f16 v20, v43, v47, v20
	;;#ASMEND
	;;#ASMSTART
	v_dot2_f32_f16 v20, v44, v48, v20
	;;#ASMEND
	;;#ASMSTART
	v_dot2_f32_f16 v20, v45, v49, v20
	;;#ASMEND
	;;#ASMSTART
	v_dot2_f32_f16 v20, v46, v50, v20
	;;#ASMEND
	ds_load_b128 v[43:46], v31 offset:32
	ds_load_b128 v[47:50], v23 offset:32
	;; [unrolled: 15-line block ×7, first 2 shown]
	s_wait_dscnt 0x0
	;;#ASMSTART
	v_dot2_f32_f16 v20, v43, v47, v20
	;;#ASMEND
	;;#ASMSTART
	v_dot2_f32_f16 v20, v44, v48, v20
	;;#ASMEND
	;; [unrolled: 3-line block ×4, first 2 shown]
	s_wait_loadcnt 0x0
	s_barrier_signal -1
	s_barrier_wait -1
	global_inv scope:SCOPE_SE
	s_clause 0x3
	global_load_b128 v[43:46], v[59:60], off offset:128
	global_load_b128 v[47:50], v[61:62], off offset:128
	;; [unrolled: 1-line block ×4, first 2 shown]
	s_wait_loadcnt 0x3
	ds_store_b128 v26, v[43:46]
	s_wait_loadcnt 0x2
	ds_store_b128 v27, v[47:50]
	;; [unrolled: 2-line block ×4, first 2 shown]
	s_wait_dscnt 0x0
	s_barrier_signal -1
	s_barrier_wait -1
	global_inv scope:SCOPE_SE
	ds_load_b128 v[43:46], v31
	ds_load_b128 v[47:50], v23 offset:128
	s_wait_dscnt 0x0
	;;#ASMSTART
	v_dot2_f32_f16 v20, v43, v47, v20
	;;#ASMEND
	;;#ASMSTART
	v_dot2_f32_f16 v20, v44, v48, v20
	;;#ASMEND
	;;#ASMSTART
	v_dot2_f32_f16 v20, v45, v49, v20
	;;#ASMEND
	;;#ASMSTART
	v_dot2_f32_f16 v20, v46, v50, v20
	;;#ASMEND
	ds_load_b128 v[43:46], v31 offset:16
	ds_load_b128 v[47:50], v23 offset:144
	s_wait_dscnt 0x0
	;;#ASMSTART
	v_dot2_f32_f16 v20, v43, v47, v20
	;;#ASMEND
	;;#ASMSTART
	v_dot2_f32_f16 v20, v44, v48, v20
	;;#ASMEND
	;;#ASMSTART
	v_dot2_f32_f16 v20, v45, v49, v20
	;;#ASMEND
	;;#ASMSTART
	v_dot2_f32_f16 v20, v46, v50, v20
	;;#ASMEND
	ds_load_b128 v[43:46], v31 offset:32
	;; [unrolled: 15-line block ×7, first 2 shown]
	ds_load_b128 v[47:50], v23 offset:240
	v_add_nc_u32_e32 v51, s10, v3
	s_wait_dscnt 0x0
	;;#ASMSTART
	v_dot2_f32_f16 v20, v43, v47, v20
	;;#ASMEND
	s_delay_alu instid0(VALU_DEP_1)
	v_ashrrev_i32_e32 v52, 31, v51
	;;#ASMSTART
	v_dot2_f32_f16 v20, v44, v48, v20
	;;#ASMEND
	;;#ASMSTART
	v_dot2_f32_f16 v20, v45, v49, v20
	;;#ASMEND
	;; [unrolled: 3-line block ×3, first 2 shown]
	v_cmp_ngt_f32_e64 s26, 0x3f200000, |v20|
	v_lshlrev_b64_e32 v[51:52], 1, v[51:52]
                                        ; implicit-def: $vgpr44
	s_delay_alu instid0(VALU_DEP_1) | instskip(SKIP_1) | instid1(VALU_DEP_2)
	v_add_co_u32 v51, vcc_lo, s30, v51
	s_wait_alu 0xfffd
	v_add_co_ci_u32_e64 v52, null, s31, v52, vcc_lo
	global_load_u16 v43, v[51:52], off
	s_and_saveexec_b32 s27, s26
	s_wait_alu 0xfffe
	s_xor_b32 s26, exec_lo, s27
	s_cbranch_execz .LBB85_11
; %bb.10:                               ;   in Loop: Header=BB85_9 Depth=1
	v_add_f32_e64 v44, |v20|, |v20|
	s_delay_alu instid0(VALU_DEP_1) | instskip(SKIP_1) | instid1(VALU_DEP_2)
	v_mul_f32_e32 v45, 0x3fb8aa3b, v44
	v_cmp_ngt_f32_e32 vcc_lo, 0xc2ce8ed0, v44
	v_rndne_f32_e32 v46, v45
	v_fma_f32 v47, 0x3fb8aa3b, v44, -v45
	s_delay_alu instid0(VALU_DEP_2) | instskip(NEXT) | instid1(VALU_DEP_2)
	v_sub_f32_e32 v45, v45, v46
	v_fmac_f32_e32 v47, 0x32a5705f, v44
	v_cvt_i32_f32_e32 v46, v46
	s_delay_alu instid0(VALU_DEP_2) | instskip(NEXT) | instid1(VALU_DEP_1)
	v_add_f32_e32 v45, v45, v47
	v_exp_f32_e32 v45, v45
	s_delay_alu instid0(TRANS32_DEP_1) | instskip(SKIP_1) | instid1(VALU_DEP_1)
	v_ldexp_f32 v45, v45, v46
	s_wait_alu 0xfffd
	v_cndmask_b32_e32 v45, 0, v45, vcc_lo
	v_cmp_nlt_f32_e32 vcc_lo, 0x42b17218, v44
	s_wait_alu 0xfffd
	s_delay_alu instid0(VALU_DEP_2) | instskip(NEXT) | instid1(VALU_DEP_1)
	v_cndmask_b32_e32 v44, 0x7f800000, v45, vcc_lo
	v_add_f32_e32 v44, 1.0, v44
	s_delay_alu instid0(VALU_DEP_1) | instskip(NEXT) | instid1(TRANS32_DEP_1)
	v_rcp_f32_e32 v44, v44
	v_fma_f32 v44, v44, -2.0, 1.0
.LBB85_11:                              ;   in Loop: Header=BB85_9 Depth=1
	s_wait_alu 0xfffe
	s_and_not1_saveexec_b32 s26, s26
	s_cbranch_execz .LBB85_13
; %bb.12:                               ;   in Loop: Header=BB85_9 Depth=1
	v_mul_f32_e32 v44, v20, v20
	s_delay_alu instid0(VALU_DEP_1) | instskip(NEXT) | instid1(VALU_DEP_1)
	v_fmaak_f32 v45, s3, v44, 0x3ca908c9
	v_fmaak_f32 v45, v44, v45, 0xbd5c1c4e
	s_delay_alu instid0(VALU_DEP_1) | instskip(NEXT) | instid1(VALU_DEP_1)
	v_fmaak_f32 v45, v44, v45, 0x3e088382
	v_fmaak_f32 v45, v44, v45, 0xbeaaaa99
	s_delay_alu instid0(VALU_DEP_1) | instskip(NEXT) | instid1(VALU_DEP_1)
	v_mul_f32_e64 v45, |v20|, v45
	v_fma_f32 v44, v44, v45, |v20|
.LBB85_13:                              ;   in Loop: Header=BB85_9 Depth=1
	s_wait_alu 0xfffe
	s_or_b32 exec_lo, exec_lo, s26
	s_mul_u64 s[26:27], s[10:11], s[14:15]
	s_wait_loadcnt 0x0
	s_wait_alu 0xfffe
	s_lshl_b64 s[26:27], s[26:27], 2
	s_barrier_signal -1
	s_wait_alu 0xfffe
	s_add_nc_u64 s[26:27], s[8:9], s[26:27]
	s_barrier_wait -1
	s_wait_alu 0xfffe
	v_add_co_u32 v45, vcc_lo, s26, v12
	s_wait_alu 0xfffd
	v_add_co_ci_u32_e64 v46, null, s27, v13, vcc_lo
	v_add_co_u32 v47, vcc_lo, s26, v14
	s_wait_alu 0xfffd
	v_add_co_ci_u32_e64 v48, null, s27, v15, vcc_lo
	;; [unrolled: 3-line block ×8, first 2 shown]
	global_inv scope:SCOPE_SE
	s_clause 0x3
	global_load_b128 v[49:52], v[45:46], off
	global_load_b128 v[53:56], v[47:48], off
	;; [unrolled: 1-line block ×4, first 2 shown]
	v_bfi_b32 v20, 0x7fffffff, v44, v20
	v_xor_b32_e32 v45, 16, v24
	s_or_b32 s26, s10, 16
	v_add_nc_u32_e32 v105, 0x800, v0
	s_wait_alu 0xfffe
	s_ashr_i32 s27, s26, 31
	v_fma_mix_f32 v48, s5, v20, v43 op_sel_hi:[0,0,1]
	v_cmp_gt_i32_e32 vcc_lo, 32, v45
	v_max_num_f32_e32 v20, v42, v42
	s_wait_alu 0xfffe
	s_mul_u64 s[26:27], s[26:27], s[14:15]
	s_wait_alu 0xfffe
	s_lshl_b64 s[26:27], s[26:27], 2
	s_wait_alu 0xfffd
	v_dual_cndmask_b32 v43, v24, v45 :: v_dual_add_f32 v44, 0x40051340, v48
	s_wait_alu 0xfffe
	s_add_nc_u64 s[26:27], s[8:9], s[26:27]
	s_delay_alu instid0(VALU_DEP_1) | instskip(SKIP_2) | instid1(VALU_DEP_1)
	v_dual_max_num_f32 v20, v20, v44 :: v_dual_lshlrev_b32 v43, 2, v43
	ds_bpermute_b32 v44, v43, v20
	v_xor_b32_e32 v43, 8, v24
	v_cmp_gt_i32_e32 vcc_lo, 32, v43
	s_wait_alu 0xfffd
	v_cndmask_b32_e32 v46, v24, v43, vcc_lo
	s_wait_dscnt 0x0
	v_max_num_f32_e32 v44, v44, v44
	s_delay_alu instid0(VALU_DEP_1) | instskip(SKIP_1) | instid1(VALU_DEP_1)
	v_max_num_f32_e32 v20, v20, v44
	v_xor_b32_e32 v44, 4, v24
	v_cmp_gt_i32_e32 vcc_lo, 32, v44
	s_wait_alu 0xfffd
	v_dual_cndmask_b32 v47, v24, v44 :: v_dual_lshlrev_b32 v46, 2, v46
	ds_bpermute_b32 v46, v46, v20
	s_wait_dscnt 0x0
	v_dual_max_num_f32 v46, v46, v46 :: v_dual_lshlrev_b32 v47, 2, v47
	s_delay_alu instid0(VALU_DEP_1)
	v_max_num_f32_e32 v20, v20, v46
	v_xor_b32_e32 v46, 2, v24
	ds_bpermute_b32 v47, v47, v20
	v_cmp_gt_i32_e32 vcc_lo, 32, v46
	s_wait_alu 0xfffd
	v_cndmask_b32_e32 v65, v24, v46, vcc_lo
	s_delay_alu instid0(VALU_DEP_1) | instskip(SKIP_2) | instid1(VALU_DEP_1)
	v_lshlrev_b32_e32 v65, 2, v65
	s_wait_dscnt 0x0
	v_max_num_f32_e32 v47, v47, v47
	v_max_num_f32_e32 v20, v20, v47
	v_xor_b32_e32 v47, 1, v24
	ds_bpermute_b32 v65, v65, v20
	v_cmp_gt_i32_e32 vcc_lo, 32, v47
	s_wait_alu 0xfffd
	v_cndmask_b32_e32 v66, v24, v47, vcc_lo
	s_wait_alu 0xfffe
	v_add_co_u32 v68, vcc_lo, s26, v12
	s_wait_alu 0xfffd
	v_add_co_ci_u32_e64 v69, null, s27, v13, vcc_lo
	s_wait_dscnt 0x0
	v_dual_max_num_f32 v65, v65, v65 :: v_dual_lshlrev_b32 v66, 2, v66
	s_delay_alu instid0(VALU_DEP_1) | instskip(SKIP_3) | instid1(VALU_DEP_1)
	v_max_num_f32_e32 v20, v20, v65
	ds_bpermute_b32 v65, v66, v20
	s_wait_dscnt 0x0
	v_max_num_f32_e32 v65, v65, v65
	v_max_num_f32_e32 v20, v20, v65
	s_delay_alu instid0(VALU_DEP_1) | instskip(NEXT) | instid1(VALU_DEP_1)
	v_sub_f32_e32 v42, v42, v20
	v_mul_f32_e32 v106, 0x3fb8aa3b, v42
	s_delay_alu instid0(VALU_DEP_1) | instskip(SKIP_1) | instid1(VALU_DEP_2)
	v_fma_f32 v107, 0x3fb8aa3b, v42, -v106
	v_rndne_f32_e32 v108, v106
	v_dual_fmac_f32 v107, 0x32a5705f, v42 :: v_dual_sub_f32 v48, v48, v20
	s_delay_alu instid0(VALU_DEP_2) | instskip(NEXT) | instid1(VALU_DEP_2)
	v_sub_f32_e32 v106, v106, v108
	v_mul_f32_e32 v65, 0x3fb8aa3b, v48
	s_delay_alu instid0(VALU_DEP_1) | instskip(SKIP_1) | instid1(VALU_DEP_1)
	v_fma_f32 v66, 0x3fb8aa3b, v48, -v65
	v_rndne_f32_e32 v67, v65
	v_dual_fmac_f32 v66, 0x32a5705f, v48 :: v_dual_sub_f32 v65, v65, v67
	v_cvt_i32_f32_e32 v67, v67
	s_delay_alu instid0(VALU_DEP_2) | instskip(SKIP_3) | instid1(VALU_DEP_3)
	v_add_f32_e32 v65, v65, v66
	v_add_co_u32 v66, vcc_lo, s26, v14
	s_wait_alu 0xfffd
	v_add_co_ci_u32_e64 v70, null, s27, v15, vcc_lo
	v_exp_f32_e32 v65, v65
	v_add_co_u32 v71, vcc_lo, s26, v16
	s_wait_alu 0xfffd
	v_add_co_ci_u32_e64 v72, null, s27, v17, vcc_lo
	v_add_co_u32 v73, vcc_lo, s26, v18
	s_wait_alu 0xfffd
	v_add_co_ci_u32_e64 v74, null, s27, v19, vcc_lo
	v_add_co_u32 v89, vcc_lo, v68, v39
	s_delay_alu instid0(TRANS32_DEP_1)
	v_ldexp_f32 v65, v65, v67
	s_wait_alu 0xfffd
	v_add_co_ci_u32_e64 v90, null, 0, v69, vcc_lo
	v_cmp_ngt_f32_e32 vcc_lo, 0xc2ce8ed0, v48
	s_wait_alu 0xfffd
	v_cndmask_b32_e32 v65, 0, v65, vcc_lo
	v_add_co_u32 v93, vcc_lo, v66, v39
	s_wait_alu 0xfffd
	v_add_co_ci_u32_e64 v94, null, 0, v70, vcc_lo
	v_cmp_nlt_f32_e32 vcc_lo, 0x42b17218, v48
	s_wait_alu 0xfffd
	v_cndmask_b32_e32 v48, 0x7f800000, v65, vcc_lo
	v_add_co_u32 v97, vcc_lo, v71, v39
	s_wait_alu 0xfffd
	v_add_co_ci_u32_e64 v98, null, 0, v72, vcc_lo
	s_delay_alu instid0(VALU_DEP_3)
	v_cvt_f16_f32_e32 v65, v48
	v_add_co_u32 v101, vcc_lo, v73, v39
	s_wait_alu 0xfffd
	v_add_co_ci_u32_e64 v102, null, 0, v74, vcc_lo
	v_cmp_ngt_f32_e32 vcc_lo, 0xc2ce8ed0, v42
	ds_store_b16 v34, v65
	s_wait_loadcnt 0x3
	ds_store_b128 v33, v[49:52]
	s_wait_loadcnt 0x2
	ds_store_b128 v35, v[53:56]
	;; [unrolled: 2-line block ×4, first 2 shown]
	s_wait_dscnt 0x0
	s_barrier_signal -1
	s_barrier_wait -1
	global_inv scope:SCOPE_SE
	ds_load_2addr_b64 v[49:52], v0 offset1:32
	ds_load_b128 v[53:56], v32
	ds_load_b128 v[57:60], v32 offset:16
	ds_load_2addr_b64 v[61:64], v0 offset0:64 offset1:96
	ds_load_2addr_b64 v[65:68], v0 offset0:128 offset1:160
	;; [unrolled: 1-line block ×3, first 2 shown]
	ds_load_2addr_b64 v[73:76], v105 offset1:32
	ds_load_2addr_b64 v[77:80], v105 offset0:64 offset1:96
	ds_load_2addr_b64 v[81:84], v105 offset0:128 offset1:160
	;; [unrolled: 1-line block ×3, first 2 shown]
	s_wait_loadcnt_dscnt 0x0
	s_barrier_signal -1
	s_barrier_wait -1
	global_inv scope:SCOPE_SE
	s_clause 0x3
	global_load_b128 v[89:92], v[89:90], off
	global_load_b128 v[93:96], v[93:94], off
	;; [unrolled: 1-line block ×4, first 2 shown]
	v_add_f32_e32 v106, v106, v107
	v_cvt_i32_f32_e32 v107, v108
	s_wait_loadcnt 0x3
	ds_store_b128 v33, v[89:92]
	s_wait_loadcnt 0x2
	ds_store_b128 v35, v[93:96]
	;; [unrolled: 2-line block ×4, first 2 shown]
	v_exp_f32_e32 v106, v106
	v_and_b32_e32 v108, 0xffff, v54
	s_wait_dscnt 0x0
	s_barrier_signal -1
	s_barrier_wait -1
	global_inv scope:SCOPE_SE
	v_ldexp_f32 v106, v106, v107
	v_and_b32_e32 v107, 0xffff, v53
	v_lshrrev_b32_e32 v53, 16, v53
	s_wait_alu 0xfffd
	s_delay_alu instid0(VALU_DEP_3)
	v_cndmask_b32_e32 v106, 0, v106, vcc_lo
	v_cmp_nlt_f32_e32 vcc_lo, 0x42b17218, v42
	v_mul_u32_u24_e32 v107, 0x10001, v107
	v_mul_u32_u24_e32 v53, 0x10001, v53
	s_wait_alu 0xfffd
	v_cndmask_b32_e32 v42, 0x7f800000, v106, vcc_lo
	s_delay_alu instid0(VALU_DEP_3) | instskip(SKIP_1) | instid1(VALU_DEP_3)
	v_pk_mul_f16 v49, v49, v107
	v_pk_mul_f16 v50, v50, v107
	v_cvt_f16_f32_e32 v106, v42
	v_fmac_f32_e32 v48, v41, v42
	s_delay_alu instid0(VALU_DEP_2) | instskip(NEXT) | instid1(VALU_DEP_1)
	v_and_b32_e32 v106, 0xffff, v106
	v_mul_u32_u24_e32 v106, 0x10001, v106
	s_delay_alu instid0(VALU_DEP_1)
	v_pk_fma_f16 v30, v30, v106, v49
	v_pk_fma_f16 v40, v40, v106, v50
	v_lshrrev_b32_e32 v49, 16, v54
	v_mul_u32_u24_e32 v54, 0x10001, v108
	v_and_b32_e32 v50, 0xffff, v55
	v_pk_fma_f16 v30, v51, v53, v30
	v_pk_fma_f16 v40, v52, v53, v40
	v_mul_u32_u24_e32 v49, 0x10001, v49
	v_lshrrev_b32_e32 v51, 16, v55
	v_mul_u32_u24_e32 v50, 0x10001, v50
	v_pk_fma_f16 v30, v61, v54, v30
	v_pk_fma_f16 v40, v62, v54, v40
	v_and_b32_e32 v52, 0xffff, v56
	v_mul_u32_u24_e32 v51, 0x10001, v51
	v_and_b32_e32 v53, 0xffff, v59
	v_pk_fma_f16 v30, v63, v49, v30
	v_pk_fma_f16 v40, v64, v49, v40
	v_lshrrev_b32_e32 v49, 16, v56
	v_mul_u32_u24_e32 v52, 0x10001, v52
	v_lshrrev_b32_e32 v55, 16, v59
	v_pk_fma_f16 v30, v65, v50, v30
	v_pk_fma_f16 v40, v66, v50, v40
	v_and_b32_e32 v50, 0xffff, v57
	v_mul_u32_u24_e32 v49, 0x10001, v49
	v_lshrrev_b32_e32 v59, 16, v60
	v_pk_fma_f16 v30, v67, v51, v30
	v_pk_fma_f16 v40, v68, v51, v40
	v_lshrrev_b32_e32 v51, 16, v57
	v_mul_u32_u24_e32 v50, 0x10001, v50
	v_mul_u32_u24_e32 v57, 0x10001, v53
	v_pk_fma_f16 v30, v69, v52, v30
	v_pk_fma_f16 v40, v70, v52, v40
	v_and_b32_e32 v52, 0xffff, v58
	v_mul_u32_u24_e32 v51, 0x10001, v51
	v_and_b32_e32 v53, 0xffff, v60
	v_pk_fma_f16 v30, v71, v49, v30
	v_pk_fma_f16 v40, v72, v49, v40
	v_lshrrev_b32_e32 v49, 16, v58
	v_mul_u32_u24_e32 v54, 0x10001, v52
	v_mul_u32_u24_e32 v58, 0x10001, v55
	v_pk_fma_f16 v30, v73, v50, v30
	v_pk_fma_f16 v40, v74, v50, v40
	v_mul_u32_u24_e32 v56, 0x10001, v49
	v_mul_u32_u24_e32 v65, 0x10001, v53
	;; [unrolled: 1-line block ×3, first 2 shown]
	v_pk_fma_f16 v30, v75, v51, v30
	v_pk_fma_f16 v40, v76, v51, v40
	ds_load_b128 v[49:52], v32 offset:32
	v_pk_fma_f16 v30, v77, v54, v30
	v_pk_fma_f16 v40, v78, v54, v40
	s_delay_alu instid0(VALU_DEP_2) | instskip(NEXT) | instid1(VALU_DEP_2)
	v_pk_fma_f16 v30, v79, v56, v30
	v_pk_fma_f16 v40, v80, v56, v40
	ds_load_2addr_b64 v[53:56], v0 offset1:32
	v_pk_fma_f16 v30, v81, v57, v30
	v_pk_fma_f16 v40, v82, v57, v40
	s_delay_alu instid0(VALU_DEP_2) | instskip(NEXT) | instid1(VALU_DEP_2)
	v_pk_fma_f16 v30, v83, v58, v30
	v_pk_fma_f16 v40, v84, v58, v40
	ds_load_b128 v[57:60], v32 offset:48
	ds_load_2addr_b64 v[61:64], v0 offset0:64 offset1:96
	s_wait_dscnt 0x3
	v_and_b32_e32 v67, 0xffff, v49
	v_lshrrev_b32_e32 v49, 16, v49
	v_pk_fma_f16 v30, v85, v65, v30
	v_pk_fma_f16 v40, v86, v65, v40
	v_and_b32_e32 v70, 0xffff, v50
	v_mul_u32_u24_e32 v69, 0x10001, v67
	v_mul_u32_u24_e32 v49, 0x10001, v49
	v_pk_fma_f16 v30, v87, v66, v30
	v_pk_fma_f16 v40, v88, v66, v40
	ds_load_2addr_b64 v[65:68], v0 offset0:128 offset1:160
	v_lshrrev_b32_e32 v50, 16, v50
	ds_load_2addr_b64 v[73:76], v105 offset0:128 offset1:160
	s_wait_dscnt 0x4
	v_pk_fma_f16 v30, v53, v69, v30
	v_pk_fma_f16 v40, v54, v69, v40
	v_mul_u32_u24_e32 v69, 0x10001, v70
	v_mul_u32_u24_e32 v50, 0x10001, v50
	s_delay_alu instid0(VALU_DEP_4) | instskip(NEXT) | instid1(VALU_DEP_4)
	v_pk_fma_f16 v30, v55, v49, v30
	v_pk_fma_f16 v40, v56, v49, v40
	ds_load_2addr_b64 v[53:56], v0 offset0:192 offset1:224
	v_and_b32_e32 v49, 0xffff, v51
	v_lshrrev_b32_e32 v51, 16, v51
	s_wait_dscnt 0x3
	v_pk_fma_f16 v30, v61, v69, v30
	v_pk_fma_f16 v40, v62, v69, v40
	ds_load_2addr_b64 v[69:72], v105 offset1:32
	v_mul_u32_u24_e32 v49, 0x10001, v49
	v_mul_u32_u24_e32 v51, 0x10001, v51
	v_pk_fma_f16 v30, v63, v50, v30
	v_pk_fma_f16 v40, v64, v50, v40
	v_and_b32_e32 v50, 0xffff, v52
	ds_load_2addr_b64 v[61:64], v105 offset0:64 offset1:96
	s_wait_dscnt 0x4
	v_pk_fma_f16 v30, v65, v49, v30
	v_pk_fma_f16 v40, v66, v49, v40
	v_lshrrev_b32_e32 v65, 16, v52
	v_mul_u32_u24_e32 v66, 0x10001, v50
	s_delay_alu instid0(VALU_DEP_4) | instskip(NEXT) | instid1(VALU_DEP_4)
	v_pk_fma_f16 v30, v67, v51, v30
	v_pk_fma_f16 v40, v68, v51, v40
	v_and_b32_e32 v67, 0xffff, v57
	v_mul_u32_u24_e32 v65, 0x10001, v65
	ds_load_2addr_b64 v[49:52], v105 offset0:192 offset1:224
	s_wait_dscnt 0x3
	v_pk_fma_f16 v30, v53, v66, v30
	v_pk_fma_f16 v40, v54, v66, v40
	v_lshrrev_b32_e32 v53, 16, v57
	v_mul_u32_u24_e32 v54, 0x10001, v67
	s_wait_loadcnt_dscnt 0x0
	v_pk_fma_f16 v30, v55, v65, v30
	v_pk_fma_f16 v40, v56, v65, v40
	v_and_b32_e32 v55, 0xffff, v58
	v_mul_u32_u24_e32 v53, 0x10001, v53
	s_barrier_signal -1
	v_pk_fma_f16 v30, v69, v54, v30
	v_pk_fma_f16 v40, v70, v54, v40
	v_lshrrev_b32_e32 v54, 16, v58
	v_mul_u32_u24_e32 v55, 0x10001, v55
	s_barrier_wait -1
	v_pk_fma_f16 v30, v71, v53, v30
	v_pk_fma_f16 v40, v72, v53, v40
	v_and_b32_e32 v53, 0xffff, v59
	v_mul_u32_u24_e32 v54, 0x10001, v54
	global_inv scope:SCOPE_SE
	v_pk_fma_f16 v30, v61, v55, v30
	v_pk_fma_f16 v40, v62, v55, v40
	s_load_b32 s11, s[24:25], 0x4
	v_lshrrev_b32_e32 v55, 16, v59
	v_mul_u32_u24_e32 v53, 0x10001, v53
	v_pk_fma_f16 v30, v63, v54, v30
	v_pk_fma_f16 v40, v64, v54, v40
	v_and_b32_e32 v54, 0xffff, v60
	v_mul_u32_u24_e32 v55, 0x10001, v55
	s_delay_alu instid0(VALU_DEP_4) | instskip(NEXT) | instid1(VALU_DEP_4)
	v_pk_fma_f16 v30, v73, v53, v30
	v_pk_fma_f16 v40, v74, v53, v40
	v_lshrrev_b32_e32 v53, 16, v60
	v_mul_u32_u24_e32 v54, 0x10001, v54
	s_delay_alu instid0(VALU_DEP_4) | instskip(NEXT) | instid1(VALU_DEP_4)
	v_pk_fma_f16 v30, v75, v55, v30
	v_pk_fma_f16 v40, v76, v55, v40
	s_delay_alu instid0(VALU_DEP_4) | instskip(NEXT) | instid1(VALU_DEP_3)
	v_mul_u32_u24_e32 v53, 0x10001, v53
	v_pk_fma_f16 v30, v49, v54, v30
	s_delay_alu instid0(VALU_DEP_3)
	v_pk_fma_f16 v40, v50, v54, v40
	s_wait_kmcnt 0x0
	s_lshl_b32 s11, s11, 5
	s_wait_alu 0xfffe
	s_add_co_i32 s10, s11, s10
	v_pk_fma_f16 v30, v51, v53, v30
	v_pk_fma_f16 v40, v52, v53, v40
	s_wait_alu 0xfffe
	s_cmp_ge_i32 s10, s28
	s_cbranch_scc1 .LBB85_15
; %bb.14:                               ;   in Loop: Header=BB85_9 Depth=1
	v_dual_mov_b32 v42, v20 :: v_dual_mov_b32 v41, v48
	s_branch .LBB85_9
.LBB85_15:
	v_mov_b32_e32 v5, v24
.LBB85_16:
	v_cmp_lt_i32_e32 vcc_lo, v45, v25
	s_cmp_lg_u64 s[12:13], 0
	s_cselect_b32 s3, -1, 0
	s_cmp_eq_u32 s4, 0
	s_wait_alu 0xfffd
	v_cndmask_b32_e32 v0, v5, v45, vcc_lo
	v_cmp_lt_i32_e32 vcc_lo, v43, v25
	s_cselect_b32 s5, -1, 0
	s_wait_alu 0xfffe
	s_and_b32 s3, s5, s3
	s_wait_alu 0xfffd
	v_cndmask_b32_e32 v3, v5, v43, vcc_lo
	v_cmp_lt_i32_e32 vcc_lo, v44, v25
	s_delay_alu instid0(VALU_DEP_2)
	v_lshlrev_b32_e32 v3, 2, v3
	v_lshlrev_b32_e32 v0, 2, v0
	s_wait_alu 0xfffd
	v_cndmask_b32_e32 v4, v5, v44, vcc_lo
	v_cmp_lt_i32_e32 vcc_lo, v46, v25
	ds_bpermute_b32 v0, v0, v48
	v_lshlrev_b32_e32 v4, 2, v4
	s_wait_dscnt 0x0
	v_add_f32_e32 v0, v48, v0
	ds_bpermute_b32 v3, v3, v0
	s_wait_dscnt 0x0
	v_add_f32_e32 v0, v0, v3
	ds_bpermute_b32 v3, v4, v0
	s_wait_alu 0xfffd
	v_cndmask_b32_e32 v4, v5, v46, vcc_lo
	v_cmp_lt_i32_e32 vcc_lo, v47, v25
	s_delay_alu instid0(VALU_DEP_2)
	v_lshlrev_b32_e32 v4, 2, v4
	s_wait_dscnt 0x0
	v_add_f32_e32 v0, v0, v3
	ds_bpermute_b32 v3, v4, v0
	s_wait_alu 0xfffd
	v_cndmask_b32_e32 v4, v5, v47, vcc_lo
	s_wait_alu 0xfffe
	s_and_b32 vcc_lo, exec_lo, s3
	s_delay_alu instid0(VALU_DEP_1)
	v_lshlrev_b32_e32 v4, 2, v4
	s_wait_dscnt 0x0
	v_dual_add_f32 v0, v0, v3 :: v_dual_add_nc_u32 v3, s33, v21
	ds_bpermute_b32 v4, v4, v0
	s_wait_dscnt 0x0
	v_add_f32_e32 v21, v0, v4
	s_wait_alu 0xfffe
	s_cbranch_vccz .LBB85_18
; %bb.17:
	v_ashrrev_i32_e32 v4, 31, v3
	s_delay_alu instid0(VALU_DEP_1) | instskip(NEXT) | instid1(VALU_DEP_1)
	v_lshlrev_b64_e32 v[4:5], 2, v[3:4]
	v_add_co_u32 v4, vcc_lo, s12, v4
	s_wait_alu 0xfffd
	s_delay_alu instid0(VALU_DEP_2) | instskip(SKIP_4) | instid1(VALU_DEP_1)
	v_add_co_ci_u32_e64 v5, null, s13, v5, vcc_lo
	global_load_b32 v0, v[4:5], off
	v_max_num_f32_e32 v4, v20, v20
	s_wait_loadcnt 0x0
	v_max_num_f32_e32 v5, v0, v0
	v_max_num_f32_e32 v4, v4, v5
	s_delay_alu instid0(VALU_DEP_1) | instskip(NEXT) | instid1(VALU_DEP_1)
	v_sub_f32_e32 v0, v0, v4
	v_mul_f32_e32 v9, 0x3fb8aa3b, v0
	v_sub_f32_e32 v5, v20, v4
	v_mov_b32_e32 v20, v4
	s_delay_alu instid0(VALU_DEP_3) | instskip(NEXT) | instid1(VALU_DEP_3)
	v_rndne_f32_e32 v11, v9
	v_mul_f32_e32 v6, 0x3fb8aa3b, v5
	v_fma_f32 v10, 0x3fb8aa3b, v0, -v9
	v_cmp_ngt_f32_e32 vcc_lo, 0xc2ce8ed0, v5
	s_delay_alu instid0(VALU_DEP_3) | instskip(SKIP_1) | instid1(VALU_DEP_2)
	v_fma_f32 v7, 0x3fb8aa3b, v5, -v6
	v_rndne_f32_e32 v8, v6
	v_dual_fmac_f32 v10, 0x32a5705f, v0 :: v_dual_fmac_f32 v7, 0x32a5705f, v5
	s_delay_alu instid0(VALU_DEP_2) | instskip(SKIP_1) | instid1(VALU_DEP_2)
	v_sub_f32_e32 v6, v6, v8
	v_cvt_i32_f32_e32 v8, v8
	v_add_f32_e32 v6, v6, v7
	v_sub_f32_e32 v7, v9, v11
	s_delay_alu instid0(VALU_DEP_2) | instskip(NEXT) | instid1(VALU_DEP_1)
	v_exp_f32_e32 v6, v6
	v_add_f32_e32 v7, v7, v10
	s_delay_alu instid0(VALU_DEP_1) | instskip(NEXT) | instid1(TRANS32_DEP_2)
	v_exp_f32_e32 v7, v7
	v_ldexp_f32 v6, v6, v8
	v_cvt_i32_f32_e32 v8, v11
	s_wait_alu 0xfffd
	s_delay_alu instid0(VALU_DEP_2)
	v_cndmask_b32_e32 v6, 0, v6, vcc_lo
	v_cmp_nlt_f32_e32 vcc_lo, 0x42b17218, v5
	s_delay_alu instid0(TRANS32_DEP_1) | instid1(VALU_DEP_3)
	v_ldexp_f32 v7, v7, v8
	s_wait_alu 0xfffd
	s_delay_alu instid0(VALU_DEP_3) | instskip(SKIP_3) | instid1(VALU_DEP_3)
	v_cndmask_b32_e32 v5, 0x7f800000, v6, vcc_lo
	v_cmp_ngt_f32_e32 vcc_lo, 0xc2ce8ed0, v0
	s_wait_alu 0xfffd
	v_cndmask_b32_e32 v6, 0, v7, vcc_lo
	v_cvt_f16_f32_e32 v7, v5
	v_cmp_nlt_f32_e32 vcc_lo, 0x42b17218, v0
	s_wait_alu 0xfffd
	s_delay_alu instid0(VALU_DEP_3) | instskip(NEXT) | instid1(VALU_DEP_3)
	v_cndmask_b32_e32 v0, 0x7f800000, v6, vcc_lo
	v_and_b32_e32 v6, 0xffff, v7
	s_delay_alu instid0(VALU_DEP_2) | instskip(NEXT) | instid1(VALU_DEP_2)
	v_fmac_f32_e32 v0, v21, v5
	v_mul_u32_u24_e32 v5, 0x10001, v6
	s_delay_alu instid0(VALU_DEP_2) | instskip(NEXT) | instid1(VALU_DEP_2)
	v_mov_b32_e32 v21, v0
	v_pk_mul_f16 v30, v30, v5
	v_pk_mul_f16 v40, v40, v5
.LBB85_18:
	s_delay_alu instid0(VALU_DEP_1) | instskip(SKIP_4) | instid1(TRANS32_DEP_1)
	v_div_scale_f32 v4, null, v21, v21, 1.0
	v_div_scale_f32 v6, vcc_lo, 1.0, v21, 1.0
	s_load_b32 s0, s[0:1], 0xd4
	v_rcp_f32_e32 v5, v4
	v_cvt_f32_f16_e32 v9, v40
	v_fma_f32 v0, -v4, v5, 1.0
	s_delay_alu instid0(VALU_DEP_1) | instskip(SKIP_3) | instid1(VALU_DEP_2)
	v_fmac_f32_e32 v5, v0, v5
	v_mad_co_u64_u32 v[0:1], null, s2, s22, v[1:2]
	s_wait_kmcnt 0x0
	s_cmp_lg_u32 s0, 1
	v_mul_f32_e32 v7, v6, v5
	s_cselect_b32 s1, -1, 0
	s_delay_alu instid0(VALU_DEP_2) | instskip(NEXT) | instid1(VALU_DEP_2)
	v_mad_co_u64_u32 v[0:1], null, v0, s23, v[3:4]
	v_fma_f32 v8, -v4, v7, v6
	s_delay_alu instid0(VALU_DEP_1) | instskip(NEXT) | instid1(VALU_DEP_3)
	v_fmac_f32_e32 v7, v8, v5
	v_mad_co_u64_u32 v[0:1], null, s0, v0, s[4:5]
	s_delay_alu instid0(VALU_DEP_2) | instskip(SKIP_2) | instid1(VALU_DEP_3)
	v_fma_f32 v3, -v4, v7, v6
	v_lshrrev_b32_e32 v6, 16, v40
	v_cvt_f32_f16_e32 v4, v30
	v_div_fmas_f32 v1, v3, v5, v7
	v_cmp_eq_u32_e32 vcc_lo, 0, v2
	v_lshrrev_b32_e32 v5, 16, v30
	v_lshl_add_u32 v2, v0, 7, v22
	v_cvt_f32_f16_e32 v10, v6
	v_div_fixup_f32 v1, v1, v21, 1.0
	s_delay_alu instid0(VALU_DEP_4) | instskip(SKIP_1) | instid1(VALU_DEP_2)
	v_cvt_f32_f16_e32 v8, v5
	s_wait_alu 0xfffe
	v_cndmask_b32_e64 v7, v1, 1.0, s1
	v_mov_b32_e32 v3, 0
	s_delay_alu instid0(VALU_DEP_2) | instskip(SKIP_1) | instid1(VALU_DEP_3)
	v_mul_f32_e32 v1, v7, v4
	v_mul_f32_e32 v4, v7, v10
	v_lshlrev_b64_e32 v[5:6], 2, v[2:3]
	v_mul_f32_e32 v2, v7, v8
	v_mul_f32_e32 v3, v7, v9
	s_delay_alu instid0(VALU_DEP_3) | instskip(SKIP_1) | instid1(VALU_DEP_4)
	v_add_co_u32 v5, s0, s16, v5
	s_wait_alu 0xf1ff
	v_add_co_ci_u32_e64 v6, null, s17, v6, s0
	s_and_b32 s0, vcc_lo, s1
	global_store_b128 v[5:6], v[1:4], off
	s_wait_alu 0xfffe
	s_and_saveexec_b32 s1, s0
	s_cbranch_execz .LBB85_20
; %bb.19:
	v_ashrrev_i32_e32 v1, 31, v0
	s_delay_alu instid0(VALU_DEP_1) | instskip(NEXT) | instid1(VALU_DEP_1)
	v_lshlrev_b64_e32 v[0:1], 3, v[0:1]
	v_add_co_u32 v0, vcc_lo, s18, v0
	s_wait_alu 0xfffd
	s_delay_alu instid0(VALU_DEP_2)
	v_add_co_ci_u32_e64 v1, null, s19, v1, vcc_lo
	global_store_b64 v[0:1], v[20:21], off
.LBB85_20:
	s_nop 0
	s_sendmsg sendmsg(MSG_DEALLOC_VGPRS)
	s_endpgm
	.section	.rodata,"a",@progbits
	.p2align	6, 0x0
	.amdhsa_kernel _ZL15flash_attn_tileILi128ELi128ELi1ELi2ELb1EEvPKcS1_S1_S1_S1_PKiPfP15HIP_vector_typeIfLj2EEffffjfiS5_IjLj3EEiiiiiiiiiiiliiliiiiil
		.amdhsa_group_segment_fixed_size 5248
		.amdhsa_private_segment_fixed_size 0
		.amdhsa_kernarg_size 464
		.amdhsa_user_sgpr_count 2
		.amdhsa_user_sgpr_dispatch_ptr 0
		.amdhsa_user_sgpr_queue_ptr 0
		.amdhsa_user_sgpr_kernarg_segment_ptr 1
		.amdhsa_user_sgpr_dispatch_id 0
		.amdhsa_user_sgpr_private_segment_size 0
		.amdhsa_wavefront_size32 1
		.amdhsa_uses_dynamic_stack 0
		.amdhsa_enable_private_segment 0
		.amdhsa_system_sgpr_workgroup_id_x 1
		.amdhsa_system_sgpr_workgroup_id_y 1
		.amdhsa_system_sgpr_workgroup_id_z 1
		.amdhsa_system_sgpr_workgroup_info 0
		.amdhsa_system_vgpr_workitem_id 1
		.amdhsa_next_free_vgpr 109
		.amdhsa_next_free_sgpr 43
		.amdhsa_reserve_vcc 1
		.amdhsa_float_round_mode_32 0
		.amdhsa_float_round_mode_16_64 0
		.amdhsa_float_denorm_mode_32 3
		.amdhsa_float_denorm_mode_16_64 3
		.amdhsa_fp16_overflow 0
		.amdhsa_workgroup_processor_mode 1
		.amdhsa_memory_ordered 1
		.amdhsa_forward_progress 1
		.amdhsa_inst_pref_size 49
		.amdhsa_round_robin_scheduling 0
		.amdhsa_exception_fp_ieee_invalid_op 0
		.amdhsa_exception_fp_denorm_src 0
		.amdhsa_exception_fp_ieee_div_zero 0
		.amdhsa_exception_fp_ieee_overflow 0
		.amdhsa_exception_fp_ieee_underflow 0
		.amdhsa_exception_fp_ieee_inexact 0
		.amdhsa_exception_int_div_zero 0
	.end_amdhsa_kernel
	.section	.text._ZL15flash_attn_tileILi128ELi128ELi1ELi2ELb1EEvPKcS1_S1_S1_S1_PKiPfP15HIP_vector_typeIfLj2EEffffjfiS5_IjLj3EEiiiiiiiiiiiliiliiiiil,"axG",@progbits,_ZL15flash_attn_tileILi128ELi128ELi1ELi2ELb1EEvPKcS1_S1_S1_S1_PKiPfP15HIP_vector_typeIfLj2EEffffjfiS5_IjLj3EEiiiiiiiiiiiliiliiiiil,comdat
.Lfunc_end85:
	.size	_ZL15flash_attn_tileILi128ELi128ELi1ELi2ELb1EEvPKcS1_S1_S1_S1_PKiPfP15HIP_vector_typeIfLj2EEffffjfiS5_IjLj3EEiiiiiiiiiiiliiliiiiil, .Lfunc_end85-_ZL15flash_attn_tileILi128ELi128ELi1ELi2ELb1EEvPKcS1_S1_S1_S1_PKiPfP15HIP_vector_typeIfLj2EEffffjfiS5_IjLj3EEiiiiiiiiiiiliiliiiiil
                                        ; -- End function
	.set _ZL15flash_attn_tileILi128ELi128ELi1ELi2ELb1EEvPKcS1_S1_S1_S1_PKiPfP15HIP_vector_typeIfLj2EEffffjfiS5_IjLj3EEiiiiiiiiiiiliiliiiiil.num_vgpr, 109
	.set _ZL15flash_attn_tileILi128ELi128ELi1ELi2ELb1EEvPKcS1_S1_S1_S1_PKiPfP15HIP_vector_typeIfLj2EEffffjfiS5_IjLj3EEiiiiiiiiiiiliiliiiiil.num_agpr, 0
	.set _ZL15flash_attn_tileILi128ELi128ELi1ELi2ELb1EEvPKcS1_S1_S1_S1_PKiPfP15HIP_vector_typeIfLj2EEffffjfiS5_IjLj3EEiiiiiiiiiiiliiliiiiil.numbered_sgpr, 43
	.set _ZL15flash_attn_tileILi128ELi128ELi1ELi2ELb1EEvPKcS1_S1_S1_S1_PKiPfP15HIP_vector_typeIfLj2EEffffjfiS5_IjLj3EEiiiiiiiiiiiliiliiiiil.num_named_barrier, 0
	.set _ZL15flash_attn_tileILi128ELi128ELi1ELi2ELb1EEvPKcS1_S1_S1_S1_PKiPfP15HIP_vector_typeIfLj2EEffffjfiS5_IjLj3EEiiiiiiiiiiiliiliiiiil.private_seg_size, 0
	.set _ZL15flash_attn_tileILi128ELi128ELi1ELi2ELb1EEvPKcS1_S1_S1_S1_PKiPfP15HIP_vector_typeIfLj2EEffffjfiS5_IjLj3EEiiiiiiiiiiiliiliiiiil.uses_vcc, 1
	.set _ZL15flash_attn_tileILi128ELi128ELi1ELi2ELb1EEvPKcS1_S1_S1_S1_PKiPfP15HIP_vector_typeIfLj2EEffffjfiS5_IjLj3EEiiiiiiiiiiiliiliiiiil.uses_flat_scratch, 0
	.set _ZL15flash_attn_tileILi128ELi128ELi1ELi2ELb1EEvPKcS1_S1_S1_S1_PKiPfP15HIP_vector_typeIfLj2EEffffjfiS5_IjLj3EEiiiiiiiiiiiliiliiiiil.has_dyn_sized_stack, 0
	.set _ZL15flash_attn_tileILi128ELi128ELi1ELi2ELb1EEvPKcS1_S1_S1_S1_PKiPfP15HIP_vector_typeIfLj2EEffffjfiS5_IjLj3EEiiiiiiiiiiiliiliiiiil.has_recursion, 0
	.set _ZL15flash_attn_tileILi128ELi128ELi1ELi2ELb1EEvPKcS1_S1_S1_S1_PKiPfP15HIP_vector_typeIfLj2EEffffjfiS5_IjLj3EEiiiiiiiiiiiliiliiiiil.has_indirect_call, 0
	.section	.AMDGPU.csdata,"",@progbits
; Kernel info:
; codeLenInByte = 6188
; TotalNumSgprs: 45
; NumVgprs: 109
; ScratchSize: 0
; MemoryBound: 0
; FloatMode: 240
; IeeeMode: 1
; LDSByteSize: 5248 bytes/workgroup (compile time only)
; SGPRBlocks: 0
; VGPRBlocks: 13
; NumSGPRsForWavesPerEU: 45
; NumVGPRsForWavesPerEU: 109
; Occupancy: 12
; WaveLimiterHint : 1
; COMPUTE_PGM_RSRC2:SCRATCH_EN: 0
; COMPUTE_PGM_RSRC2:USER_SGPR: 2
; COMPUTE_PGM_RSRC2:TRAP_HANDLER: 0
; COMPUTE_PGM_RSRC2:TGID_X_EN: 1
; COMPUTE_PGM_RSRC2:TGID_Y_EN: 1
; COMPUTE_PGM_RSRC2:TGID_Z_EN: 1
; COMPUTE_PGM_RSRC2:TIDIG_COMP_CNT: 1
	.section	.text._ZL15flash_attn_tileILi128ELi128ELi64ELi1ELb1EEvPKcS1_S1_S1_S1_PKiPfP15HIP_vector_typeIfLj2EEffffjfiS5_IjLj3EEiiiiiiiiiiiliiliiiiil,"axG",@progbits,_ZL15flash_attn_tileILi128ELi128ELi64ELi1ELb1EEvPKcS1_S1_S1_S1_PKiPfP15HIP_vector_typeIfLj2EEffffjfiS5_IjLj3EEiiiiiiiiiiiliiliiiiil,comdat
	.globl	_ZL15flash_attn_tileILi128ELi128ELi64ELi1ELb1EEvPKcS1_S1_S1_S1_PKiPfP15HIP_vector_typeIfLj2EEffffjfiS5_IjLj3EEiiiiiiiiiiiliiliiiiil ; -- Begin function _ZL15flash_attn_tileILi128ELi128ELi64ELi1ELb1EEvPKcS1_S1_S1_S1_PKiPfP15HIP_vector_typeIfLj2EEffffjfiS5_IjLj3EEiiiiiiiiiiiliiliiiiil
	.p2align	8
	.type	_ZL15flash_attn_tileILi128ELi128ELi64ELi1ELb1EEvPKcS1_S1_S1_S1_PKiPfP15HIP_vector_typeIfLj2EEffffjfiS5_IjLj3EEiiiiiiiiiiiliiliiiiil,@function
_ZL15flash_attn_tileILi128ELi128ELi64ELi1ELb1EEvPKcS1_S1_S1_S1_PKiPfP15HIP_vector_typeIfLj2EEffffjfiS5_IjLj3EEiiiiiiiiiiiliiliiiiil: ; @_ZL15flash_attn_tileILi128ELi128ELi64ELi1ELb1EEvPKcS1_S1_S1_S1_PKiPfP15HIP_vector_typeIfLj2EEffffjfiS5_IjLj3EEiiiiiiiiiiiliiliiiiil
; %bb.0:
	s_clause 0x1
	s_load_b128 s[24:27], s[0:1], 0x5c
	s_load_b64 s[2:3], s[0:1], 0x80
	s_lshr_b32 s6, ttmp7, 16
	s_load_b64 s[30:31], s[0:1], 0xb8
	s_mov_b32 s39, 0
	s_mov_b64 s[40:41], 0
	s_wait_kmcnt 0x0
	s_cvt_f32_u32 s4, s27
	s_sub_co_i32 s5, 0, s27
	s_delay_alu instid0(SALU_CYCLE_2) | instskip(NEXT) | instid1(TRANS32_DEP_1)
	v_rcp_iflag_f32_e32 v1, s4
	v_readfirstlane_b32 s4, v1
	s_mul_f32 s4, s4, 0x4f7ffffe
	s_wait_alu 0xfffe
	s_delay_alu instid0(SALU_CYCLE_2) | instskip(SKIP_1) | instid1(SALU_CYCLE_2)
	s_cvt_u32_f32 s4, s4
	s_wait_alu 0xfffe
	s_mul_i32 s5, s5, s4
	s_wait_alu 0xfffe
	s_mul_hi_u32 s5, s4, s5
	s_wait_alu 0xfffe
	s_add_co_i32 s4, s4, s5
	s_wait_alu 0xfffe
	s_mul_hi_u32 s4, s6, s4
	s_wait_alu 0xfffe
	s_mul_i32 s5, s4, s27
	s_add_co_i32 s7, s4, 1
	s_wait_alu 0xfffe
	s_sub_co_i32 s5, s6, s5
	s_wait_alu 0xfffe
	s_sub_co_i32 s8, s5, s27
	s_cmp_ge_u32 s5, s27
	s_cselect_b32 s4, s7, s4
	s_cselect_b32 s5, s8, s5
	s_wait_alu 0xfffe
	s_add_co_i32 s7, s4, 1
	s_cmp_ge_u32 s5, s27
	s_cselect_b32 s36, s7, s4
	s_abs_i32 s4, s3
	s_abs_i32 s9, s27
	s_wait_alu 0xfffe
	s_cvt_f32_u32 s5, s4
	s_sub_co_i32 s7, 0, s4
	s_mul_i32 s8, s36, s27
	s_xor_b32 s3, s27, s3
	s_wait_alu 0xfffe
	v_rcp_iflag_f32_e32 v1, s5
	s_sub_co_i32 s34, s6, s8
	s_ashr_i32 s3, s3, 31
	s_delay_alu instid0(TRANS32_DEP_1) | instskip(SKIP_2) | instid1(SALU_CYCLE_2)
	v_readfirstlane_b32 s5, v1
	s_mul_f32 s5, s5, 0x4f7ffffe
	s_wait_alu 0xfffe
	s_cvt_u32_f32 s5, s5
	s_wait_alu 0xfffe
	s_delay_alu instid0(SALU_CYCLE_2) | instskip(NEXT) | instid1(SALU_CYCLE_1)
	s_mul_i32 s7, s7, s5
	s_mul_hi_u32 s7, s5, s7
	s_delay_alu instid0(SALU_CYCLE_1)
	s_add_co_i32 s5, s5, s7
	s_wait_alu 0xfffe
	s_mul_hi_u32 s5, s9, s5
	s_wait_alu 0xfffe
	s_mul_i32 s6, s5, s4
	s_add_co_i32 s7, s5, 1
	s_sub_co_i32 s6, s9, s6
	s_delay_alu instid0(SALU_CYCLE_1)
	s_sub_co_i32 s8, s6, s4
	s_cmp_ge_u32 s6, s4
	s_cselect_b32 s5, s7, s5
	s_cselect_b32 s6, s8, s6
	s_wait_alu 0xfffe
	s_add_co_i32 s7, s5, 1
	s_cmp_ge_u32 s6, s4
	s_load_b512 s[8:23], s[0:1], 0x0
	s_cselect_b32 s4, s7, s5
	s_abs_i32 s38, s34
	s_wait_alu 0xfffe
	s_xor_b32 s4, s4, s3
	s_wait_alu 0xfffe
	s_sub_co_i32 s37, s4, s3
	s_delay_alu instid0(SALU_CYCLE_1) | instskip(NEXT) | instid1(SALU_CYCLE_1)
	s_abs_i32 s3, s37
	s_cvt_f32_u32 s4, s3
	s_sub_co_i32 s5, 0, s3
	s_wait_alu 0xfffe
	s_delay_alu instid0(SALU_CYCLE_1) | instskip(NEXT) | instid1(TRANS32_DEP_1)
	v_rcp_iflag_f32_e32 v1, s4
	v_readfirstlane_b32 s4, v1
	s_mul_f32 s4, s4, 0x4f7ffffe
	s_wait_alu 0xfffe
	s_delay_alu instid0(SALU_CYCLE_2) | instskip(SKIP_1) | instid1(SALU_CYCLE_2)
	s_cvt_u32_f32 s4, s4
	s_wait_alu 0xfffe
	s_mul_i32 s5, s5, s4
	s_wait_alu 0xfffe
	s_mul_hi_u32 s5, s4, s5
	s_wait_alu 0xfffe
	s_add_co_i32 s42, s4, s5
	s_wait_kmcnt 0x0
	s_cmp_eq_u64 s[14:15], 0
	s_cbranch_scc1 .LBB86_2
; %bb.1:
	s_abs_i32 s6, s30
	s_delay_alu instid0(SALU_CYCLE_1) | instskip(SKIP_1) | instid1(SALU_CYCLE_2)
	s_cvt_f32_u32 s4, s6
	s_wait_alu 0xfffe
	v_rcp_iflag_f32_e32 v1, s4
	s_delay_alu instid0(TRANS32_DEP_1) | instskip(SKIP_2) | instid1(SALU_CYCLE_2)
	v_readfirstlane_b32 s4, v1
	s_mul_f32 s4, s4, 0x4f7ffffe
	s_wait_alu 0xfffe
	s_cvt_u32_f32 s7, s4
	s_sub_co_i32 s4, 0, s6
	s_wait_alu 0xfffe
	s_delay_alu instid0(SALU_CYCLE_1) | instskip(SKIP_4) | instid1(SALU_CYCLE_1)
	s_mul_i32 s4, s4, s7
	s_wait_alu 0xfffe
	s_mul_hi_u32 s28, s7, s4
	s_load_b64 s[4:5], s[0:1], 0xc8
	s_add_co_i32 s7, s7, s28
	s_mul_hi_u32 s7, s36, s7
	s_delay_alu instid0(SALU_CYCLE_1) | instskip(NEXT) | instid1(SALU_CYCLE_1)
	s_mul_i32 s7, s7, s6
	s_sub_co_i32 s7, s36, s7
	s_delay_alu instid0(SALU_CYCLE_1) | instskip(SKIP_2) | instid1(SALU_CYCLE_1)
	s_sub_co_i32 s28, s7, s6
	s_cmp_ge_u32 s7, s6
	s_cselect_b32 s7, s28, s7
	s_sub_co_i32 s28, s7, s6
	s_cmp_ge_u32 s7, s6
	s_cselect_b32 s6, s28, s7
	s_delay_alu instid0(SALU_CYCLE_1)
	s_ashr_i32 s7, s6, 31
	s_wait_kmcnt 0x0
	s_mul_u64 s[4:5], s[4:5], s[6:7]
	s_wait_alu 0xfffe
	s_add_nc_u64 s[40:41], s[14:15], s[4:5]
.LBB86_2:
	s_clause 0x1
	s_load_b128 s[4:7], s[0:1], 0x40
	s_load_b64 s[14:15], s[0:1], 0x50
	v_mov_b32_e32 v51, 1.0
	s_mov_b32 s43, s39
	s_wait_kmcnt 0x0
	s_cmp_le_f32 s5, 0
	s_cbranch_scc1 .LBB86_4
; %bb.3:
	v_sub_co_u32 v1, s5, s34, s14
	s_and_b32 s28, s5, exec_lo
	s_cselect_b32 s7, s6, s7
	v_readfirstlane_b32 s14, v1
	s_lshl_b32 s6, s14, 1
	s_add_co_i32 s14, s34, 1
	s_or_b32 s6, s6, 1
	s_and_b32 s5, s5, exec_lo
	s_wait_alu 0xfffe
	s_cselect_b32 s5, s14, s6
	s_cmp_neq_f32 s7, 1.0
	s_wait_alu 0xfffe
	s_cvt_f32_i32 s5, s5
	s_wait_alu 0xfffe
	s_delay_alu instid0(SALU_CYCLE_2) | instskip(NEXT) | instid1(SALU_CYCLE_1)
	s_cselect_b32 s6, s5, 1.0
	s_cmp_neq_f32 s6, 0
	s_cselect_b32 s5, s7, 1.0
	s_wait_alu 0xfffe
	v_frexp_mant_f32_e64 v1, |s5|
	s_delay_alu instid0(VALU_DEP_1)
	v_readfirstlane_b32 s7, v1
	v_cvt_f64_f32_e64 v[1:2], |s5|
	s_cmp_lt_f32 s7, 0x3f2aaaab
	s_cselect_b32 s14, -1, 0
	s_wait_alu 0xfffe
	s_and_b32 s28, s14, exec_lo
	s_cselect_b32 s28, 2.0, 1.0
	s_delay_alu instid0(SALU_CYCLE_1) | instskip(NEXT) | instid1(SALU_CYCLE_3)
	s_mul_f32 s7, s7, s28
	s_add_f32 s28, s7, 1.0
	s_add_f32 s30, s7, -1.0
	s_delay_alu instid0(SALU_CYCLE_2) | instskip(SKIP_1) | instid1(SALU_CYCLE_3)
	v_s_rcp_f32 s29, s28
	s_add_f32 s44, s28, -1.0
	s_sub_f32 s7, s7, s44
	s_delay_alu instid0(TRANS32_DEP_1) | instskip(NEXT) | instid1(SALU_CYCLE_3)
	s_mul_f32 s33, s30, s29
	s_mul_f32 s35, s28, s33
	s_wait_alu 0xfffe
	s_delay_alu instid0(SALU_CYCLE_2) | instskip(NEXT) | instid1(VALU_DEP_1)
	s_xor_b32 s45, s35, 0x80000000
	v_frexp_exp_i32_f64_e32 v1, v[1:2]
	s_fmac_f32 s45, s33, s28
	s_delay_alu instid0(SALU_CYCLE_3) | instskip(NEXT) | instid1(SALU_CYCLE_3)
	s_fmac_f32 s45, s33, s7
	s_add_f32 s7, s35, s45
	s_delay_alu instid0(SALU_CYCLE_3) | instskip(SKIP_2) | instid1(SALU_CYCLE_1)
	s_sub_f32 s28, s30, s7
	s_sub_f32 s35, s7, s35
	s_wait_alu 0xfffe
	s_sub_f32 s30, s30, s28
	s_delay_alu instid0(SALU_CYCLE_1) | instskip(NEXT) | instid1(SALU_CYCLE_2)
	s_sub_f32 s35, s35, s45
	s_sub_f32 s7, s30, s7
	s_wait_alu 0xfffe
	s_delay_alu instid0(SALU_CYCLE_2) | instskip(SKIP_1) | instid1(SALU_CYCLE_2)
	s_add_f32 s7, s35, s7
	s_mov_b32 s35, 0x3e76c4e1
	s_add_f32 s7, s28, s7
	s_delay_alu instid0(SALU_CYCLE_3) | instskip(NEXT) | instid1(SALU_CYCLE_3)
	s_mul_f32 s7, s29, s7
	s_add_f32 s28, s33, s7
	s_wait_alu 0xfffe
	s_delay_alu instid0(SALU_CYCLE_2) | instskip(SKIP_2) | instid1(SALU_CYCLE_1)
	s_sub_f32 s29, s28, s33
	s_mul_f32 s30, s28, s28
	s_wait_alu 0xfffe
	s_sub_f32 s7, s7, s29
	s_delay_alu instid0(SALU_CYCLE_1) | instskip(SKIP_4) | instid1(SALU_CYCLE_2)
	s_xor_b32 s29, s30, 0x80000000
	s_wait_alu 0xfffe
	s_fmac_f32 s29, s28, s28
	s_add_f32 s33, s7, s7
	s_wait_alu 0xfffe
	s_fmac_f32 s29, s28, s33
	s_wait_alu 0xfffe
	s_delay_alu instid0(SALU_CYCLE_2) | instskip(NEXT) | instid1(SALU_CYCLE_3)
	s_add_f32 s33, s30, s29
	s_fmaak_f32 s35, s33, s35, 0x3e91f4c4
	s_sub_f32 s30, s33, s30
	s_wait_alu 0xfffe
	s_delay_alu instid0(SALU_CYCLE_1) | instskip(NEXT) | instid1(SALU_CYCLE_1)
	s_fmaak_f32 s35, s33, s35, 0x3ecccdef
	s_sub_f32 s29, s29, s30
	s_mul_f32 s30, s28, s33
	s_wait_alu 0xfffe
	s_mul_f32 s44, s33, s35
	s_delay_alu instid0(SALU_CYCLE_1) | instskip(NEXT) | instid1(SALU_CYCLE_2)
	s_xor_b32 s46, s30, 0x80000000
	s_xor_b32 s45, s44, 0x80000000
	s_fmac_f32 s46, s33, s28
	s_fmac_f32 s45, s33, s35
	s_delay_alu instid0(SALU_CYCLE_2) | instskip(NEXT) | instid1(SALU_CYCLE_2)
	s_fmac_f32 s46, s33, s7
	s_fmac_f32 s45, s29, s35
	s_delay_alu instid0(SALU_CYCLE_2) | instskip(NEXT) | instid1(SALU_CYCLE_2)
	s_fmac_f32 s46, s29, s28
	s_add_f32 s35, s44, s45
	s_wait_alu 0xfffe
	s_delay_alu instid0(SALU_CYCLE_2) | instskip(SKIP_1) | instid1(SALU_CYCLE_2)
	s_sub_f32 s44, s35, s44
	s_add_f32 s47, s35, 0x3f2aaaaa
	s_sub_f32 s44, s45, s44
	s_delay_alu instid0(SALU_CYCLE_2) | instskip(NEXT) | instid1(SALU_CYCLE_2)
	s_add_f32 s45, s47, 0xbf2aaaaa
	s_add_f32 s33, s44, 0x31739010
	s_delay_alu instid0(SALU_CYCLE_2) | instskip(SKIP_1) | instid1(SALU_CYCLE_2)
	s_sub_f32 s35, s35, s45
	s_wait_alu 0xfffe
	s_add_f32 s29, s33, s35
	s_add_f32 s33, s30, s46
	s_wait_alu 0xfffe
	s_delay_alu instid0(SALU_CYCLE_1) | instskip(NEXT) | instid1(SALU_CYCLE_1)
	s_add_f32 s35, s47, s29
	s_sub_f32 s30, s33, s30
	s_wait_alu 0xfffe
	s_delay_alu instid0(SALU_CYCLE_1) | instskip(SKIP_2) | instid1(SALU_CYCLE_1)
	s_mul_f32 s44, s33, s35
	s_sub_f32 s45, s47, s35
	s_sub_f32 s30, s46, s30
	s_xor_b32 s47, s44, 0x80000000
	s_delay_alu instid0(SALU_CYCLE_1)
	s_add_f32 s29, s29, s45
	s_fmac_f32 s47, s33, s35
	v_readfirstlane_b32 s45, v1
	v_ldexp_f32 v1, s28, 1
	s_cmp_lg_u32 s14, 0
	s_wait_alu 0xfffe
	s_fmac_f32 s47, s33, s29
	s_sub_co_ci_u32 s14, s45, 0
	v_readfirstlane_b32 s28, v1
	s_delay_alu instid0(SALU_CYCLE_1)
	s_fmac_f32 s47, s30, s35
	s_wait_alu 0xfffe
	s_cvt_f32_i32 s14, s14
	v_ldexp_f32 v1, s7, 1
	s_add_f32 s29, s44, s47
	s_wait_alu 0xfffe
	s_mul_f32 s7, s14, 0x3f317218
	s_delay_alu instid0(VALU_DEP_1)
	v_readfirstlane_b32 s35, v1
	s_add_f32 s30, s28, s29
	s_sub_f32 s33, s29, s44
	s_wait_alu 0xfffe
	s_xor_b32 s44, s7, 0x80000000
	s_sub_f32 s28, s30, s28
	s_sub_f32 s33, s47, s33
	s_fmamk_f32 s44, s14, 0x3f317218, s44
	s_wait_alu 0xfffe
	s_sub_f32 s28, s29, s28
	s_add_f32 s29, s35, s33
	s_fmamk_f32 s14, s14, 0xb102e308, s44
	s_wait_alu 0xfffe
	s_delay_alu instid0(SALU_CYCLE_1) | instskip(NEXT) | instid1(SALU_CYCLE_1)
	s_add_f32 s28, s29, s28
	s_add_f32 s29, s7, s14
	s_wait_alu 0xfffe
	s_delay_alu instid0(SALU_CYCLE_1) | instskip(NEXT) | instid1(SALU_CYCLE_1)
	s_add_f32 s33, s30, s28
	s_sub_f32 s7, s29, s7
	s_delay_alu instid0(SALU_CYCLE_2)
	s_add_f32 s35, s29, s33
	s_sub_f32 s30, s33, s30
	s_wait_alu 0xfffe
	s_sub_f32 s7, s14, s7
	s_sub_f32 s44, s35, s29
	;; [unrolled: 1-line block ×3, first 2 shown]
	s_delay_alu instid0(SALU_CYCLE_2)
	s_sub_f32 s45, s35, s44
	s_sub_f32 s28, s33, s44
	s_wait_alu 0xfffe
	s_add_f32 s30, s7, s14
	s_sub_f32 s29, s29, s45
	s_wait_alu 0xfffe
	s_delay_alu instid0(SALU_CYCLE_2) | instskip(SKIP_2) | instid1(SALU_CYCLE_1)
	s_add_f32 s28, s28, s29
	s_sub_f32 s29, s30, s7
	s_wait_alu 0xfffe
	s_add_f32 s28, s30, s28
	s_delay_alu instid0(SALU_CYCLE_1) | instskip(SKIP_4) | instid1(SALU_CYCLE_2)
	s_sub_f32 s30, s30, s29
	s_sub_f32 s14, s14, s29
	s_wait_alu 0xfffe
	s_add_f32 s33, s35, s28
	s_sub_f32 s7, s7, s30
	s_sub_f32 s29, s33, s35
	s_wait_alu 0xfffe
	s_delay_alu instid0(SALU_CYCLE_1) | instskip(NEXT) | instid1(SALU_CYCLE_1)
	s_add_f32 s7, s14, s7
	s_sub_f32 s14, s28, s29
	s_wait_alu 0xfffe
	s_delay_alu instid0(SALU_CYCLE_2) | instskip(SKIP_1) | instid1(SALU_CYCLE_2)
	s_add_f32 s7, s7, s14
	s_wait_alu 0xfffe
	s_add_f32 s14, s33, s7
	s_wait_alu 0xfffe
	s_delay_alu instid0(SALU_CYCLE_2) | instskip(SKIP_2) | instid1(SALU_CYCLE_1)
	s_mul_f32 s28, s6, s14
	s_sub_f32 s29, s14, s33
	s_wait_alu 0xfffe
	s_xor_b32 s30, s28, 0x80000000
	s_delay_alu instid0(SALU_CYCLE_1) | instskip(SKIP_2) | instid1(SALU_CYCLE_2)
	s_sub_f32 s7, s7, s29
	s_fmac_f32 s30, s6, s14
	s_wait_alu 0xfffe
	s_fmac_f32 s30, s6, s7
	v_cmp_class_f32_e64 s7, s28, 0x204
	s_delay_alu instid0(SALU_CYCLE_2) | instskip(SKIP_2) | instid1(SALU_CYCLE_1)
	s_add_f32 s14, s28, s30
	s_and_b32 s7, s7, exec_lo
	s_wait_alu 0xfffe
	s_sub_f32 s7, s14, s28
	s_cselect_b32 s14, s28, s14
	s_wait_alu 0xfffe
	s_and_b32 s28, s14, 0x7fffffff
	s_sub_f32 s7, s30, s7
	s_wait_alu 0xfffe
	s_cmp_neq_f32 s28, 0x7f800000
	s_delay_alu instid0(SALU_CYCLE_1)
	s_cselect_b32 s7, s7, 0
	s_cmp_eq_f32 s14, 0x42b17218
	s_cselect_b32 s28, 0x37000000, 0
	s_wait_alu 0xfffe
	s_sub_f32 s14, s14, s28
	s_add_f32 s7, s28, s7
	s_wait_alu 0xfffe
	s_delay_alu instid0(SALU_CYCLE_1) | instskip(SKIP_1) | instid1(SALU_CYCLE_2)
	s_mul_f32 s29, s14, 0x3fb8aa3b
	s_wait_alu 0xfffe
	s_xor_b32 s30, s29, 0x80000000
	s_rndne_f32 s33, s29
	s_fmamk_f32 s30, s14, 0x3fb8aa3b, s30
	s_cmp_nlt_f32 s14, 0xc2ce8ed0
	s_delay_alu instid0(SALU_CYCLE_1) | instskip(NEXT) | instid1(SALU_CYCLE_1)
	s_sub_f32 s29, s29, s33
	s_fmamk_f32 s30, s14, 0x32a5705f, s30
	s_cselect_b32 vcc_lo, -1, 0
	s_cmp_ngt_f32 s14, 0x42b17218
	s_trunc_f32 s14, s6
	s_wait_alu 0xfffe
	s_add_f32 s29, s29, s30
	s_cvt_i32_f32 s30, s33
	s_wait_alu 0xfffe
	s_delay_alu instid0(SALU_CYCLE_1) | instskip(SKIP_1) | instid1(TRANS32_DEP_1)
	v_s_exp_f32 s29, s29
	s_wait_alu 0xf1ff
	v_ldexp_f32 v1, s29, s30
	s_mul_f32 s29, s6, 0.5
	s_delay_alu instid0(VALU_DEP_1)
	v_cndmask_b32_e32 v1, 0, v1, vcc_lo
	s_cselect_b32 vcc_lo, -1, 0
	s_cmp_eq_f32 s14, s6
	s_wait_alu 0xfffe
	s_trunc_f32 s30, s29
	v_cndmask_b32_e32 v1, 0x7f800000, v1, vcc_lo
	s_cselect_b32 s33, -1, 0
	s_wait_alu 0xfffe
	s_cmp_neq_f32 s30, s29
	s_delay_alu instid0(VALU_DEP_1)
	v_fma_f32 v2, s7, v1, v1
	v_cmp_class_f32_e64 vcc_lo, v1, 0x204
	s_cselect_b32 s28, -1, 0
	s_wait_alu 0xfffe
	s_and_b32 s7, s33, s28
	s_wait_alu 0xfffd
	v_cndmask_b32_e32 v1, v2, v1, vcc_lo
	s_wait_alu 0xfffe
	s_and_b32 s28, s7, exec_lo
	s_cselect_b32 s28, s5, 1.0
	s_cmp_eq_f32 s14, s6
	v_cmp_class_f32_e64 s14, s5, 0x204
	s_wait_alu 0xfffe
	v_bfi_b32 v1, 0x7fffffff, v1, s28
	s_cselect_b32 vcc_lo, -1, 0
	s_cmp_lt_f32 s5, 0
	s_wait_alu 0xfffe
	s_delay_alu instid0(VALU_DEP_1) | instskip(SKIP_3) | instid1(VALU_DEP_1)
	v_cndmask_b32_e32 v2, 0x7fc00000, v1, vcc_lo
	s_cselect_b32 vcc_lo, -1, 0
	s_cmp_eq_f32 s5, 0
	s_wait_alu 0xfffe
	v_cndmask_b32_e32 v1, v1, v2, vcc_lo
	s_cselect_b32 s28, -1, 0
	s_wait_alu 0xfffe
	s_or_b32 vcc_lo, s28, s14
	s_cmp_lt_f32 s6, 0
	s_cselect_b32 s6, -1, 0
	s_wait_alu 0xfffe
	s_xor_b32 s6, s6, s28
	s_wait_alu 0xfffe
	s_and_b32 s6, s6, exec_lo
	s_cselect_b32 s6, 0, 0x7f800000
	s_and_b32 s7, s7, exec_lo
	s_cselect_b32 s7, s5, 0
	s_cmp_o_f32 s5, s5
	s_wait_alu 0xfffe
	v_mov_b32_e32 v2, s7
	s_delay_alu instid0(VALU_DEP_1) | instskip(NEXT) | instid1(VALU_DEP_1)
	v_bfi_b32 v2, 0x7fffffff, s6, v2
	v_cndmask_b32_e32 v1, v1, v2, vcc_lo
	s_cselect_b32 vcc_lo, -1, 0
	s_wait_alu 0xfffe
	s_delay_alu instid0(VALU_DEP_1)
	v_cndmask_b32_e32 v51, 0x7fc00000, v1, vcc_lo
.LBB86_4:
	v_bfe_u32 v48, v0, 10, 10
	s_lshl_b32 s33, ttmp9, 6
	s_load_b96 s[28:30], s[0:1], 0x70
	s_ashr_i32 s35, s34, 31
	s_delay_alu instid0(VALU_DEP_1) | instskip(SKIP_1) | instid1(VALU_DEP_2)
	v_lshlrev_b32_e32 v24, 3, v48
	v_lshlrev_b32_e32 v76, 11, v48
	v_or_b32_e32 v37, 1, v24
	v_or_b32_e32 v36, 2, v24
	;; [unrolled: 1-line block ×5, first 2 shown]
	v_add_nc_u32_e32 v41, s33, v37
	v_add_nc_u32_e32 v39, s33, v36
	;; [unrolled: 1-line block ×5, first 2 shown]
	v_mul_hi_u32 v2, v41, s24
	v_mul_hi_u32 v3, v39, s24
	v_mul_hi_u32 v4, v38, s24
	s_wait_kmcnt 0x0
	s_mul_i32 s44, s34, s29
	s_ashr_i32 s29, s28, 31
	v_mul_hi_u32 v7, v35, s24
	s_wait_alu 0xfffe
	s_lshr_b64 s[46:47], s[28:29], 2
	s_lshr_b32 s5, s29, 2
	v_add_nc_u32_e32 v2, v41, v2
	v_add_nc_u32_e32 v3, v39, v3
	;; [unrolled: 1-line block ×3, first 2 shown]
	s_mul_i32 s6, s36, s30
	s_ashr_i32 s45, s44, 31
	v_lshrrev_b32_e32 v2, s25, v2
	v_lshrrev_b32_e32 v3, s25, v3
	;; [unrolled: 1-line block ×3, first 2 shown]
	v_add_nc_u32_e32 v12, v35, v7
	s_wait_alu 0xfffe
	s_ashr_i32 s7, s6, 31
	v_mul_lo_u32 v5, v2, s26
	v_mul_lo_u32 v3, v3, s26
	s_wait_alu 0xfffe
	s_add_nc_u64 s[6:7], s[8:9], s[6:7]
	v_lshrrev_b32_e32 v12, s25, v12
	s_wait_alu 0xfffe
	s_add_nc_u64 s[6:7], s[6:7], s[44:45]
	v_mul_hi_u32 v11, v32, s24
	v_or_b32_e32 v26, 6, v24
	s_ashr_i32 s28, s37, 31
	v_sub_nc_u32_e32 v9, v41, v5
	v_sub_nc_u32_e32 v10, v39, v3
	v_mul_lo_u32 v12, v12, s26
	v_add_nc_u32_e32 v31, s33, v26
	s_mul_u64 s[8:9], s[38:39], s[42:43]
	v_mad_co_u64_u32 v[3:4], null, s46, v9, 0
	v_add_nc_u32_e32 v25, s33, v24
	v_mad_co_u64_u32 v[5:6], null, s46, v10, 0
	s_mov_b32 s37, 0
	s_cmp_eq_u64 s[18:19], 0
	v_mul_hi_u32 v1, v25, s24
	s_delay_alu instid0(VALU_DEP_1) | instskip(NEXT) | instid1(VALU_DEP_1)
	v_add_nc_u32_e32 v1, v25, v1
	v_lshrrev_b32_e32 v1, s25, v1
	s_delay_alu instid0(VALU_DEP_1) | instskip(NEXT) | instid1(VALU_DEP_1)
	v_mul_lo_u32 v1, v1, s26
	v_sub_nc_u32_e32 v70, v25, v1
	s_delay_alu instid0(VALU_DEP_1) | instskip(NEXT) | instid1(VALU_DEP_1)
	v_mad_co_u64_u32 v[1:2], null, s46, v70, 0
	v_mad_co_u64_u32 v[7:8], null, s5, v70, v[2:3]
	v_mov_b32_e32 v2, v4
	v_mov_b32_e32 v4, v6
	v_mul_lo_u32 v6, v13, s26
	s_delay_alu instid0(VALU_DEP_3) | instskip(NEXT) | instid1(VALU_DEP_3)
	v_mad_co_u64_u32 v[8:9], null, s5, v9, v[2:3]
	v_mad_co_u64_u32 v[9:10], null, s5, v10, v[4:5]
	v_mov_b32_e32 v2, v7
	s_delay_alu instid0(VALU_DEP_4) | instskip(NEXT) | instid1(VALU_DEP_4)
	v_sub_nc_u32_e32 v10, v38, v6
	v_mov_b32_e32 v4, v8
	s_delay_alu instid0(VALU_DEP_3) | instskip(NEXT) | instid1(VALU_DEP_3)
	v_lshlrev_b64_e32 v[1:2], 2, v[1:2]
	v_mad_co_u64_u32 v[13:14], null, s46, v10, 0
	v_and_b32_e32 v40, 0x3ff, v0
	s_delay_alu instid0(VALU_DEP_4) | instskip(SKIP_2) | instid1(VALU_DEP_4)
	v_lshlrev_b64_e32 v[3:4], 2, v[3:4]
	v_mov_b32_e32 v6, v9
	v_mul_hi_u32 v9, v31, s24
	v_lshlrev_b32_e32 v0, 4, v40
	s_wait_alu 0xfffe
	s_delay_alu instid0(VALU_DEP_1) | instskip(SKIP_2) | instid1(VALU_DEP_4)
	v_add_co_u32 v34, s6, s6, v0
	s_wait_alu 0xf1ff
	v_add_co_ci_u32_e64 v49, null, s7, 0, s6
	v_add_nc_u32_e32 v17, v31, v9
	s_delay_alu instid0(VALU_DEP_3) | instskip(SKIP_1) | instid1(VALU_DEP_3)
	v_add_co_u32 v1, vcc_lo, v34, v1
	s_wait_alu 0xfffd
	v_add_co_ci_u32_e64 v2, null, v49, v2, vcc_lo
	v_add_co_u32 v7, vcc_lo, v34, v3
	s_wait_alu 0xfffd
	v_add_co_ci_u32_e64 v8, null, v49, v4, vcc_lo
	v_lshlrev_b64_e32 v[3:4], 2, v[5:6]
	v_add_nc_u32_e32 v6, v32, v11
	v_sub_nc_u32_e32 v11, v35, v12
	v_mov_b32_e32 v5, v14
	s_delay_alu instid0(VALU_DEP_4) | instskip(NEXT) | instid1(VALU_DEP_3)
	v_add_co_u32 v9, vcc_lo, v34, v3
	v_mad_co_u64_u32 v[15:16], null, s46, v11, 0
	v_lshrrev_b32_e32 v12, s25, v6
	s_delay_alu instid0(VALU_DEP_4) | instskip(SKIP_2) | instid1(VALU_DEP_3)
	v_mad_co_u64_u32 v[5:6], null, s5, v10, v[5:6]
	s_wait_alu 0xfffd
	v_add_co_ci_u32_e64 v10, null, v49, v4, vcc_lo
	v_mul_lo_u32 v12, v12, s26
	v_mov_b32_e32 v3, v16
	v_or_b32_e32 v27, 7, v24
	v_mov_b32_e32 v14, v5
	v_lshrrev_b32_e32 v5, s25, v17
	s_delay_alu instid0(VALU_DEP_3) | instskip(SKIP_1) | instid1(VALU_DEP_4)
	v_add_nc_u32_e32 v28, s33, v27
	v_sub_nc_u32_e32 v21, v32, v12
	v_lshlrev_b64_e32 v[13:14], 2, v[13:14]
	s_delay_alu instid0(VALU_DEP_4) | instskip(NEXT) | instid1(VALU_DEP_4)
	v_mul_lo_u32 v19, v5, s26
	v_mul_hi_u32 v6, v28, s24
	s_delay_alu instid0(VALU_DEP_3) | instskip(SKIP_1) | instid1(VALU_DEP_4)
	v_add_co_u32 v13, vcc_lo, v34, v13
	s_wait_alu 0xfffd
	v_add_co_ci_u32_e64 v14, null, v49, v14, vcc_lo
	s_delay_alu instid0(VALU_DEP_4) | instskip(NEXT) | instid1(VALU_DEP_4)
	v_sub_nc_u32_e32 v42, v31, v19
	v_add_nc_u32_e32 v4, v28, v6
	s_delay_alu instid0(VALU_DEP_1) | instskip(NEXT) | instid1(VALU_DEP_1)
	v_lshrrev_b32_e32 v4, s25, v4
	v_mul_lo_u32 v20, v4, s26
	v_mad_co_u64_u32 v[16:17], null, s5, v11, v[3:4]
	v_mad_co_u64_u32 v[17:18], null, s46, v21, 0
	s_clause 0x2
	global_load_b128 v[1:4], v[1:2], off
	global_load_b128 v[5:8], v[7:8], off
	;; [unrolled: 1-line block ×3, first 2 shown]
	v_sub_nc_u32_e32 v44, v28, v20
	v_mad_co_u64_u32 v[19:20], null, s46, v42, 0
	v_lshlrev_b64_e32 v[15:16], 2, v[15:16]
	s_delay_alu instid0(VALU_DEP_2) | instskip(NEXT) | instid1(VALU_DEP_4)
	v_mad_co_u64_u32 v[21:22], null, s5, v21, v[18:19]
	v_mad_co_u64_u32 v[22:23], null, s46, v44, 0
	s_delay_alu instid0(VALU_DEP_1) | instskip(NEXT) | instid1(VALU_DEP_1)
	v_dual_mov_b32 v18, v21 :: v_dual_mov_b32 v21, v23
	v_lshlrev_b64_e32 v[17:18], 2, v[17:18]
	s_delay_alu instid0(VALU_DEP_2) | instskip(NEXT) | instid1(VALU_DEP_4)
	v_mad_co_u64_u32 v[42:43], null, s5, v42, v[20:21]
	v_mad_co_u64_u32 v[43:44], null, s5, v44, v[21:22]
	v_add_co_u32 v44, vcc_lo, v34, v15
	s_wait_alu 0xfffd
	v_add_co_ci_u32_e64 v45, null, v49, v16, vcc_lo
	s_delay_alu instid0(VALU_DEP_4)
	v_mov_b32_e32 v20, v42
	v_add_co_u32 v46, vcc_lo, v34, v17
	v_mov_b32_e32 v23, v43
	s_wait_alu 0xfffd
	v_add_co_ci_u32_e64 v47, null, v49, v18, vcc_lo
	v_lshlrev_b64_e32 v[42:43], 2, v[19:20]
	s_clause 0x2
	global_load_b128 v[13:16], v[13:14], off
	global_load_b128 v[17:20], v[44:45], off
	;; [unrolled: 1-line block ×3, first 2 shown]
	v_lshlrev_b64_e32 v[21:22], 2, v[22:23]
	v_add_co_u32 v42, vcc_lo, v34, v42
	s_wait_alu 0xfffd
	v_add_co_ci_u32_e64 v43, null, v49, v43, vcc_lo
	s_delay_alu instid0(VALU_DEP_3)
	v_add_co_u32 v21, vcc_lo, v34, v21
	s_wait_alu 0xfffd
	v_add_co_ci_u32_e64 v22, null, v49, v22, vcc_lo
	s_clause 0x1
	global_load_b128 v[52:55], v[42:43], off
	global_load_b128 v[56:59], v[21:22], off
	v_lshlrev_b32_e32 v21, 3, v40
	s_delay_alu instid0(VALU_DEP_1)
	v_dual_mov_b32 v43, 0 :: v_dual_add_nc_u32 v22, v21, v76
	v_lshl_add_u32 v23, v37, 8, v21
	v_lshl_add_u32 v34, v36, 8, v21
	;; [unrolled: 1-line block ×7, first 2 shown]
	s_wait_loadcnt 0x7
	v_fma_mixlo_f16 v2, s4, v2, 0
	v_fma_mixlo_f16 v1, s4, v1, 0
	;; [unrolled: 1-line block ×4, first 2 shown]
	s_wait_loadcnt 0x6
	v_fma_mixlo_f16 v5, s4, v5, 0
	v_lshlrev_b32_e32 v2, 16, v2
	v_and_b32_e32 v1, 0xffff, v1
	v_lshlrev_b32_e32 v4, 16, v4
	v_and_b32_e32 v3, 0xffff, v3
	v_fma_mixlo_f16 v6, s4, v6, 0
	v_fma_mixlo_f16 v7, s4, v7, 0
	;; [unrolled: 1-line block ×3, first 2 shown]
	s_wait_loadcnt 0x5
	v_fma_mixlo_f16 v9, s4, v9, 0
	v_fma_mixlo_f16 v10, s4, v10, 0
	;; [unrolled: 1-line block ×4, first 2 shown]
	v_or_b32_e32 v1, v2, v1
	v_or3_b32 v2, v4, v3, 0
	v_lshlrev_b32_e32 v3, 16, v6
	v_and_b32_e32 v4, 0xffff, v5
	v_lshlrev_b32_e32 v5, 16, v8
	v_and_b32_e32 v6, 0xffff, v7
	;; [unrolled: 2-line block ×4, first 2 shown]
	v_or_b32_e32 v3, v3, v4
	v_or3_b32 v4, v5, v6, 0
	v_or_b32_e32 v5, v7, v8
	v_or3_b32 v1, 0, 0, v1
	v_or3_b32 v6, v9, v10, 0
	;; [unrolled: 1-line block ×3, first 2 shown]
	s_delay_alu instid0(VALU_DEP_4)
	v_or3_b32 v5, 0, 0, v5
	s_wait_loadcnt 0x4
	v_fma_mixlo_f16 v13, s4, v13, 0
	v_fma_mixlo_f16 v14, s4, v14, 0
	v_fma_mixlo_f16 v15, s4, v15, 0
	v_fma_mixlo_f16 v16, s4, v16, 0
	s_wait_loadcnt 0x3
	v_fma_mixlo_f16 v17, s4, v17, 0
	v_fma_mixlo_f16 v18, s4, v18, 0
	v_fma_mixlo_f16 v19, s4, v19, 0
	v_fma_mixlo_f16 v20, s4, v20, 0
	;; [unrolled: 5-line block ×3, first 2 shown]
	v_lshlrev_b32_e32 v11, 16, v14
	v_and_b32_e32 v12, 0xffff, v13
	v_lshlrev_b32_e32 v13, 16, v16
	v_and_b32_e32 v14, 0xffff, v15
	s_wait_loadcnt 0x1
	v_fma_mixlo_f16 v52, s4, v52, 0
	v_fma_mixlo_f16 v53, s4, v53, 0
	v_fma_mixlo_f16 v54, s4, v54, 0
	v_fma_mixlo_f16 v55, s4, v55, 0
	s_wait_loadcnt 0x0
	v_fma_mixlo_f16 v56, s4, v56, 0
	v_fma_mixlo_f16 v57, s4, v57, 0
	v_lshlrev_b32_e32 v15, 16, v18
	v_and_b32_e32 v16, 0xffff, v17
	v_fma_mixlo_f16 v58, s4, v58, 0
	v_fma_mixlo_f16 v59, s4, v59, 0
	v_lshlrev_b32_e32 v17, 16, v20
	v_and_b32_e32 v18, 0xffff, v19
	v_lshlrev_b32_e32 v19, 16, v45
	v_and_b32_e32 v20, 0xffff, v44
	v_lshlrev_b32_e32 v44, 16, v47
	v_and_b32_e32 v45, 0xffff, v46
	v_lshlrev_b32_e32 v46, 16, v53
	v_and_b32_e32 v47, 0xffff, v52
	v_lshlrev_b32_e32 v52, 16, v55
	v_and_b32_e32 v53, 0xffff, v54
	v_lshlrev_b32_e32 v54, 16, v57
	v_and_b32_e32 v55, 0xffff, v56
	v_or_b32_e32 v7, v11, v12
	v_or_b32_e32 v9, v15, v16
	v_lshlrev_b32_e32 v56, 16, v59
	v_and_b32_e32 v57, 0xffff, v58
	v_or3_b32 v8, v13, v14, 0
	v_or_b32_e32 v11, v19, v20
	v_or_b32_e32 v13, v46, v47
	;; [unrolled: 1-line block ×3, first 2 shown]
	v_or3_b32 v7, 0, 0, v7
	v_or3_b32 v10, v17, v18, 0
	v_or3_b32 v9, 0, 0, v9
	v_or3_b32 v12, v44, v45, 0
	v_or3_b32 v14, v52, v53, 0
	v_or3_b32 v16, v56, v57, 0
	v_or3_b32 v11, 0, 0, v11
	v_or3_b32 v13, 0, 0, v13
	v_or3_b32 v15, 0, 0, v15
	ds_store_b64 v22, v[1:2]
	ds_store_b64 v23, v[3:4]
	;; [unrolled: 1-line block ×8, first 2 shown]
	s_wait_dscnt 0x0
	s_barrier_signal -1
	s_barrier_wait -1
	global_inv scope:SCOPE_SE
	s_cbranch_scc1 .LBB86_6
; %bb.5:
	s_load_b32 s2, s[0:1], 0xd0
	s_mov_b32 s5, s37
	s_wait_kmcnt 0x0
	s_mul_i32 s2, s2, s36
	s_delay_alu instid0(SALU_CYCLE_1)
	s_add_co_i32 s4, s2, ttmp9
	s_wait_alu 0xfffe
	s_lshl_b64 s[4:5], s[4:5], 2
	s_wait_alu 0xfffe
	s_add_nc_u64 s[4:5], s[18:19], s[4:5]
	s_load_b32 s2, s[4:5], 0x0
.LBB86_6:
	s_clause 0x2
	s_load_b64 s[18:19], s[0:1], 0x8c
	s_load_b128 s[4:7], s[0:1], 0x98
	s_load_b64 s[42:43], s[0:1], 0xa8
	s_mul_i32 s8, s9, s3
	s_ashr_i32 s14, s31, 1
	s_sub_co_i32 s38, s38, s8
	s_xor_b32 s29, s35, s28
	s_add_co_i32 s39, s9, 1
	s_sub_co_i32 s44, s38, s3
	v_lshlrev_b32_e32 v34, 2, v40
	v_lshrrev_b32_e32 v78, 3, v40
	v_or_b32_e32 v71, 1, v25
	v_or_b32_e32 v65, 2, v25
	;; [unrolled: 1-line block ×6, first 2 shown]
	v_and_b32_e32 v77, 28, v34
	v_or_b32_e32 v52, 7, v25
	v_lshrrev_b32_e32 v50, 4, v40
	s_wait_kmcnt 0x0
	s_ashr_i32 s8, s18, 2
	s_ashr_i32 s28, s6, 2
	s_cmp_ge_u32 s38, s3
	s_mul_u64 s[4:5], s[4:5], s[36:37]
	s_cselect_b32 s6, s39, s9
	s_cselect_b32 s9, s44, s38
	s_wait_alu 0xfffe
	s_add_co_i32 s18, s6, 1
	s_cmp_ge_u32 s9, s3
	s_mul_u64 s[30:31], s[42:43], s[36:37]
	s_cselect_b32 s3, s18, s6
	s_add_nc_u64 s[4:5], s[10:11], s[4:5]
	s_xor_b32 s3, s3, s29
	s_wait_alu 0xfffe
	s_add_nc_u64 s[10:11], s[12:13], s[30:31]
	s_sub_co_i32 s6, s3, s29
	s_and_b32 s18, ttmp7, 0xffff
	s_wait_alu 0xfffe
	s_mul_i32 s12, s6, s19
	s_mul_i32 s6, s6, s7
	v_and_b32_e32 v49, 60, v34
	v_mbcnt_lo_u32_b32 v20, -1, 0
	s_sub_co_i32 s3, s2, 64
	s_lshl_b32 s38, s18, 6
	s_ashr_i32 s13, s12, 31
	s_wait_alu 0xfffe
	s_ashr_i32 s7, s6, 31
	s_add_nc_u64 s[4:5], s[4:5], s[12:13]
	s_cmp_ge_i32 s38, s3
	s_wait_alu 0xfffe
	s_add_nc_u64 s[30:31], s[10:11], s[6:7]
	s_cbranch_scc1 .LBB86_114
; %bb.7:
	v_mul_hi_u32 v1, s24, v71
	v_mul_hi_u32 v4, s24, v65
	;; [unrolled: 1-line block ×5, first 2 shown]
	v_mov_b32_e32 v55, 0
	v_mul_hi_u32 v10, s24, v53
	v_mul_hi_u32 v11, s24, v52
	v_dual_mov_b32 v60, 0 :: v_dual_add_nc_u32 v5, v71, v1
	v_dual_mov_b32 v64, 0 :: v_dual_add_nc_u32 v9, v65, v4
	v_add_nc_u32_e32 v6, v62, v6
	s_delay_alu instid0(VALU_DEP_3) | instskip(SKIP_1) | instid1(VALU_DEP_4)
	v_lshrrev_b32_e32 v5, s25, v5
	v_dual_mov_b32 v68, 0 :: v_dual_add_nc_u32 v7, v58, v7
	v_lshrrev_b32_e32 v9, s25, v9
	s_delay_alu instid0(VALU_DEP_4) | instskip(NEXT) | instid1(VALU_DEP_4)
	v_lshrrev_b32_e32 v6, s25, v6
	v_mul_lo_u32 v5, v5, s26
	s_delay_alu instid0(VALU_DEP_4)
	v_lshrrev_b32_e32 v7, s25, v7
	v_lshl_add_u32 v2, v48, 2, v78
	v_mul_lo_u32 v9, v9, s26
	v_mul_lo_u32 v6, v6, s26
	v_dual_mov_b32 v56, 0 :: v_dual_lshlrev_b32 v3, 2, v77
	v_mul_lo_u32 v7, v7, s26
	v_sub_nc_u32_e32 v5, v71, v5
	v_mul_lo_u32 v1, s8, v2
	s_delay_alu instid0(VALU_DEP_4)
	v_mad_u32_u24 v2, 0x90, v2, v3
	v_sub_nc_u32_e32 v9, v65, v9
	v_sub_nc_u32_e32 v6, v62, v6
	v_mul_lo_u32 v83, v5, s14
	v_dual_mov_b32 v72, 0 :: v_dual_add_nc_u32 v5, v54, v8
	v_dual_mov_b32 v107, 0xfeffffff :: v_dual_add_nc_u32 v8, v53, v10
	;; [unrolled: 1-line block ×3, first 2 shown]
	s_delay_alu instid0(VALU_DEP_3) | instskip(NEXT) | instid1(VALU_DEP_3)
	v_lshrrev_b32_e32 v5, s25, v5
	v_lshrrev_b32_e32 v8, s25, v8
	v_mul_lo_u32 v84, v9, s14
	s_delay_alu instid0(VALU_DEP_4)
	v_lshrrev_b32_e32 v10, s25, v10
	v_mul_lo_u32 v85, v6, s14
	v_mul_lo_u32 v5, v5, s26
	;; [unrolled: 1-line block ×3, first 2 shown]
	v_sub_nc_u32_e32 v6, v58, v7
	v_mul_lo_u32 v9, v10, s26
	v_lshl_add_u32 v10, v48, 1, v50
	v_lshl_add_u32 v3, s8, 5, v1
	v_dual_mov_b32 v74, 0 :: v_dual_lshlrev_b32 v11, 2, v49
	v_sub_nc_u32_e32 v7, v54, v5
	s_delay_alu instid0(VALU_DEP_4)
	v_mul_lo_u32 v5, s28, v10
	v_sub_nc_u32_e32 v8, v53, v8
	v_sub_nc_u32_e32 v9, v52, v9
	v_dual_mov_b32 v66, 0 :: v_dual_add_nc_u32 v81, 0x4000, v2
	v_mul_lo_u32 v87, v7, s14
	v_dual_mov_b32 v59, 0 :: v_dual_add_nc_u32 v82, 0x5200, v2
	v_lshl_add_u32 v7, s28, 4, v5
	v_ashrrev_i32_e32 v2, 31, v1
	v_ashrrev_i32_e32 v4, 31, v3
	v_mul_lo_u32 v86, v6, s14
	v_mul_lo_u32 v88, v8, s14
	v_ashrrev_i32_e32 v6, 31, v5
	v_ashrrev_i32_e32 v8, 31, v7
	v_lshl_or_b32 v10, v10, 8, v11
	v_lshl_add_u32 v90, v48, 10, 0x6400
	v_mul_lo_u32 v79, v70, s14
	v_mul_lo_u32 v89, v9, s14
	s_movk_i32 s6, 0x4000
	v_lshlrev_b64_e32 v[12:13], 2, v[1:2]
	v_lshlrev_b64_e32 v[14:15], 2, v[3:4]
	;; [unrolled: 1-line block ×4, first 2 shown]
	s_ashr_i32 s9, s8, 31
	s_wait_alu 0xfffe
	v_mad_u32_u24 v80, 0x90, v40, s6
	v_dual_mov_b32 v106, 0 :: v_dual_add_nc_u32 v91, 0x4000, v10
	v_dual_mov_b32 v61, 0 :: v_dual_add_nc_u32 v92, 0x5000, v10
	v_or_b32_e32 v93, 0x4000, v21
	v_dual_mov_b32 v63, 0 :: v_dual_lshlrev_b32 v94, 2, v77
	v_dual_mov_b32 v108, 0xfeffffff :: v_dual_add_nc_u32 v95, v90, v0
	v_dual_mov_b32 v67, 0 :: v_dual_lshlrev_b32 v96, 2, v49
	v_mbcnt_lo_u32_b32 v97, -1, 0
	v_dual_mov_b32 v69, 0 :: v_dual_mov_b32 v104, 0xfeffffff
	v_dual_mov_b32 v73, 0 :: v_dual_mov_b32 v102, 0xfeffffff
	v_dual_mov_b32 v75, 0 :: v_dual_mov_b32 v98, 0xfeffffff
	v_dual_mov_b32 v105, 0xfeffffff :: v_dual_mov_b32 v100, 0
	v_dual_mov_b32 v99, 0xfeffffff :: v_dual_mov_b32 v10, 0
	v_dual_mov_b32 v11, 0xfeffffff :: v_dual_mov_b32 v8, 0
	v_mov_b32_e32 v7, 0
	v_mov_b32_e32 v103, 0
	;; [unrolled: 1-line block ×4, first 2 shown]
	s_cmp_lg_u64 s[40:41], 0
	s_add_nc_u64 s[6:7], s[0:1], 0xd0
	s_cselect_b32 s10, -1, 0
	s_ashr_i32 s29, s28, 31
	s_mov_b32 s11, 0xbbbac73d
.LBB86_8:                               ; =>This Inner Loop Header: Depth=1
	s_ashr_i32 s39, s38, 31
	v_dual_mov_b32 v112, 0 :: v_dual_mov_b32 v47, 0
	s_wait_alu 0xfffe
	s_mul_u64 s[12:13], s[38:39], s[8:9]
	v_dual_mov_b32 v110, 0 :: v_dual_mov_b32 v45, 0
	s_wait_alu 0xfffe
	s_lshl_b64 s[12:13], s[12:13], 2
	v_dual_mov_b32 v43, 0 :: v_dual_mov_b32 v6, 0
	s_wait_alu 0xfffe
	s_add_nc_u64 s[12:13], s[4:5], s[12:13]
	v_dual_mov_b32 v23, 0 :: v_dual_mov_b32 v4, 0
	s_wait_alu 0xfffe
	v_add_co_u32 v0, vcc_lo, s12, v12
	s_wait_alu 0xfffd
	v_add_co_ci_u32_e64 v1, null, s13, v13, vcc_lo
	v_add_co_u32 v2, vcc_lo, s12, v14
	s_wait_alu 0xfffd
	v_add_co_ci_u32_e64 v3, null, s13, v15, vcc_lo
	;; [unrolled: 3-line block ×4, first 2 shown]
	s_clause 0x1
	global_load_b128 v[113:116], v[0:1], off
	global_load_b128 v[117:120], v[2:3], off
	v_dual_mov_b32 v111, 0 :: v_dual_mov_b32 v44, 0
	v_dual_mov_b32 v109, 0 :: v_dual_mov_b32 v42, 0
	;; [unrolled: 1-line block ×3, first 2 shown]
	s_wait_loadcnt 0x1
	ds_store_b128 v81, v[113:116]
	s_wait_loadcnt 0x0
	ds_store_b128 v82, v[117:120]
	s_wait_dscnt 0x0
	s_barrier_signal -1
	s_barrier_wait -1
	global_inv scope:SCOPE_SE
	ds_load_b128 v[114:117], v80
	ds_load_b128 v[118:121], v76
	ds_load_b128 v[122:125], v76 offset:256
	ds_load_b128 v[126:129], v76 offset:512
	;; [unrolled: 1-line block ×8, first 2 shown]
	v_dual_mov_b32 v113, 0 :: v_dual_mov_b32 v46, 0
	s_wait_dscnt 0x8
	;;#ASMSTART
	v_dot2_f32_f16 v112, v114, v118, v112
	;;#ASMEND
	;;#ASMSTART
	v_dot2_f32_f16 v112, v115, v119, v112
	;;#ASMEND
	;;#ASMSTART
	v_dot2_f32_f16 v112, v116, v120, v112
	;;#ASMEND
	;;#ASMSTART
	v_dot2_f32_f16 v112, v117, v121, v112
	;;#ASMEND
	s_wait_dscnt 0x7
	;;#ASMSTART
	v_dot2_f32_f16 v110, v114, v122, v110
	;;#ASMEND
	;;#ASMSTART
	v_dot2_f32_f16 v110, v115, v123, v110
	;;#ASMEND
	;;#ASMSTART
	v_dot2_f32_f16 v110, v116, v124, v110
	;;#ASMEND
	;;#ASMSTART
	v_dot2_f32_f16 v110, v117, v125, v110
	;;#ASMEND
	;; [unrolled: 13-line block ×8, first 2 shown]
	;;#ASMSTART
	v_dot2_f32_f16 v113, v134, v118, v113
	;;#ASMEND
	;;#ASMSTART
	v_dot2_f32_f16 v113, v135, v119, v113
	;;#ASMEND
	;; [unrolled: 3-line block ×32, first 2 shown]
	ds_load_b128 v[114:117], v80 offset:16
	ds_load_b128 v[118:121], v76 offset:16
	;; [unrolled: 1-line block ×10, first 2 shown]
	s_wait_dscnt 0x8
	;;#ASMSTART
	v_dot2_f32_f16 v112, v114, v118, v112
	;;#ASMEND
	;;#ASMSTART
	v_dot2_f32_f16 v112, v115, v119, v112
	;;#ASMEND
	;;#ASMSTART
	v_dot2_f32_f16 v112, v116, v120, v112
	;;#ASMEND
	;;#ASMSTART
	v_dot2_f32_f16 v112, v117, v121, v112
	;;#ASMEND
	s_wait_dscnt 0x7
	;;#ASMSTART
	v_dot2_f32_f16 v110, v114, v122, v110
	;;#ASMEND
	;;#ASMSTART
	v_dot2_f32_f16 v110, v115, v123, v110
	;;#ASMEND
	;;#ASMSTART
	v_dot2_f32_f16 v110, v116, v124, v110
	;;#ASMEND
	;;#ASMSTART
	v_dot2_f32_f16 v110, v117, v125, v110
	;;#ASMEND
	;; [unrolled: 13-line block ×8, first 2 shown]
	;;#ASMSTART
	v_dot2_f32_f16 v113, v134, v118, v113
	;;#ASMEND
	;;#ASMSTART
	v_dot2_f32_f16 v113, v135, v119, v113
	;;#ASMEND
	;; [unrolled: 3-line block ×32, first 2 shown]
	ds_load_b128 v[114:117], v80 offset:32
	ds_load_b128 v[118:121], v76 offset:32
	;; [unrolled: 1-line block ×10, first 2 shown]
	s_wait_dscnt 0x8
	;;#ASMSTART
	v_dot2_f32_f16 v112, v114, v118, v112
	;;#ASMEND
	;;#ASMSTART
	v_dot2_f32_f16 v112, v115, v119, v112
	;;#ASMEND
	;;#ASMSTART
	v_dot2_f32_f16 v112, v116, v120, v112
	;;#ASMEND
	;;#ASMSTART
	v_dot2_f32_f16 v112, v117, v121, v112
	;;#ASMEND
	s_wait_dscnt 0x7
	;;#ASMSTART
	v_dot2_f32_f16 v110, v114, v122, v110
	;;#ASMEND
	;;#ASMSTART
	v_dot2_f32_f16 v110, v115, v123, v110
	;;#ASMEND
	;;#ASMSTART
	v_dot2_f32_f16 v110, v116, v124, v110
	;;#ASMEND
	;;#ASMSTART
	v_dot2_f32_f16 v110, v117, v125, v110
	;;#ASMEND
	;; [unrolled: 13-line block ×8, first 2 shown]
	;;#ASMSTART
	v_dot2_f32_f16 v113, v134, v118, v113
	;;#ASMEND
	;;#ASMSTART
	v_dot2_f32_f16 v113, v135, v119, v113
	;;#ASMEND
	;; [unrolled: 3-line block ×32, first 2 shown]
	ds_load_b128 v[114:117], v80 offset:48
	ds_load_b128 v[118:121], v76 offset:48
	;; [unrolled: 1-line block ×10, first 2 shown]
	s_wait_dscnt 0x8
	;;#ASMSTART
	v_dot2_f32_f16 v112, v114, v118, v112
	;;#ASMEND
	;;#ASMSTART
	v_dot2_f32_f16 v112, v115, v119, v112
	;;#ASMEND
	;;#ASMSTART
	v_dot2_f32_f16 v112, v116, v120, v112
	;;#ASMEND
	;;#ASMSTART
	v_dot2_f32_f16 v112, v117, v121, v112
	;;#ASMEND
	s_wait_dscnt 0x7
	;;#ASMSTART
	v_dot2_f32_f16 v110, v114, v122, v110
	;;#ASMEND
	;;#ASMSTART
	v_dot2_f32_f16 v110, v115, v123, v110
	;;#ASMEND
	;;#ASMSTART
	v_dot2_f32_f16 v110, v116, v124, v110
	;;#ASMEND
	;;#ASMSTART
	v_dot2_f32_f16 v110, v117, v125, v110
	;;#ASMEND
	;; [unrolled: 13-line block ×8, first 2 shown]
	;;#ASMSTART
	v_dot2_f32_f16 v113, v134, v118, v113
	;;#ASMEND
	;;#ASMSTART
	v_dot2_f32_f16 v113, v135, v119, v113
	;;#ASMEND
	;; [unrolled: 3-line block ×32, first 2 shown]
	ds_load_b128 v[114:117], v80 offset:64
	ds_load_b128 v[118:121], v76 offset:64
	;; [unrolled: 1-line block ×10, first 2 shown]
	s_wait_dscnt 0x8
	;;#ASMSTART
	v_dot2_f32_f16 v112, v114, v118, v112
	;;#ASMEND
	;;#ASMSTART
	v_dot2_f32_f16 v112, v115, v119, v112
	;;#ASMEND
	;;#ASMSTART
	v_dot2_f32_f16 v112, v116, v120, v112
	;;#ASMEND
	;;#ASMSTART
	v_dot2_f32_f16 v112, v117, v121, v112
	;;#ASMEND
	s_wait_dscnt 0x7
	;;#ASMSTART
	v_dot2_f32_f16 v110, v114, v122, v110
	;;#ASMEND
	;;#ASMSTART
	v_dot2_f32_f16 v110, v115, v123, v110
	;;#ASMEND
	;;#ASMSTART
	v_dot2_f32_f16 v110, v116, v124, v110
	;;#ASMEND
	;;#ASMSTART
	v_dot2_f32_f16 v110, v117, v125, v110
	;;#ASMEND
	;; [unrolled: 13-line block ×8, first 2 shown]
	;;#ASMSTART
	v_dot2_f32_f16 v113, v134, v118, v113
	;;#ASMEND
	;;#ASMSTART
	v_dot2_f32_f16 v113, v135, v119, v113
	;;#ASMEND
	;; [unrolled: 3-line block ×32, first 2 shown]
	ds_load_b128 v[114:117], v80 offset:80
	ds_load_b128 v[118:121], v76 offset:80
	;; [unrolled: 1-line block ×10, first 2 shown]
	s_wait_dscnt 0x8
	;;#ASMSTART
	v_dot2_f32_f16 v112, v114, v118, v112
	;;#ASMEND
	;;#ASMSTART
	v_dot2_f32_f16 v112, v115, v119, v112
	;;#ASMEND
	;;#ASMSTART
	v_dot2_f32_f16 v112, v116, v120, v112
	;;#ASMEND
	;;#ASMSTART
	v_dot2_f32_f16 v112, v117, v121, v112
	;;#ASMEND
	s_wait_dscnt 0x7
	;;#ASMSTART
	v_dot2_f32_f16 v110, v114, v122, v110
	;;#ASMEND
	;;#ASMSTART
	v_dot2_f32_f16 v110, v115, v123, v110
	;;#ASMEND
	;;#ASMSTART
	v_dot2_f32_f16 v110, v116, v124, v110
	;;#ASMEND
	;;#ASMSTART
	v_dot2_f32_f16 v110, v117, v125, v110
	;;#ASMEND
	s_wait_dscnt 0x6
	;;#ASMSTART
	v_dot2_f32_f16 v47, v114, v126, v47
	;;#ASMEND
	;;#ASMSTART
	v_dot2_f32_f16 v47, v115, v127, v47
	;;#ASMEND
	;;#ASMSTART
	v_dot2_f32_f16 v47, v116, v128, v47
	;;#ASMEND
	;;#ASMSTART
	v_dot2_f32_f16 v47, v117, v129, v47
	;;#ASMEND
	s_wait_dscnt 0x5
	;;#ASMSTART
	v_dot2_f32_f16 v45, v114, v130, v45
	;;#ASMEND
	;;#ASMSTART
	v_dot2_f32_f16 v45, v115, v131, v45
	;;#ASMEND
	;;#ASMSTART
	v_dot2_f32_f16 v45, v116, v132, v45
	;;#ASMEND
	;;#ASMSTART
	v_dot2_f32_f16 v45, v117, v133, v45
	;;#ASMEND
	s_wait_dscnt 0x3
	;;#ASMSTART
	v_dot2_f32_f16 v43, v114, v138, v43
	;;#ASMEND
	;;#ASMSTART
	v_dot2_f32_f16 v43, v115, v139, v43
	;;#ASMEND
	;;#ASMSTART
	v_dot2_f32_f16 v43, v116, v140, v43
	;;#ASMEND
	;;#ASMSTART
	v_dot2_f32_f16 v43, v117, v141, v43
	;;#ASMEND
	s_wait_dscnt 0x2
	;;#ASMSTART
	v_dot2_f32_f16 v23, v114, v142, v23
	;;#ASMEND
	;;#ASMSTART
	v_dot2_f32_f16 v23, v115, v143, v23
	;;#ASMEND
	;;#ASMSTART
	v_dot2_f32_f16 v23, v116, v144, v23
	;;#ASMEND
	;;#ASMSTART
	v_dot2_f32_f16 v23, v117, v145, v23
	;;#ASMEND
	s_wait_dscnt 0x1
	;;#ASMSTART
	v_dot2_f32_f16 v6, v114, v146, v6
	;;#ASMEND
	;;#ASMSTART
	v_dot2_f32_f16 v6, v115, v147, v6
	;;#ASMEND
	;;#ASMSTART
	v_dot2_f32_f16 v6, v116, v148, v6
	;;#ASMEND
	;;#ASMSTART
	v_dot2_f32_f16 v6, v117, v149, v6
	;;#ASMEND
	s_wait_dscnt 0x0
	;;#ASMSTART
	v_dot2_f32_f16 v4, v114, v150, v4
	;;#ASMEND
	;;#ASMSTART
	v_dot2_f32_f16 v4, v115, v151, v4
	;;#ASMEND
	;;#ASMSTART
	v_dot2_f32_f16 v4, v116, v152, v4
	;;#ASMEND
	;;#ASMSTART
	v_dot2_f32_f16 v4, v117, v153, v4
	;;#ASMEND
	;;#ASMSTART
	v_dot2_f32_f16 v113, v134, v118, v113
	;;#ASMEND
	;;#ASMSTART
	v_dot2_f32_f16 v113, v135, v119, v113
	;;#ASMEND
	;; [unrolled: 3-line block ×32, first 2 shown]
	ds_load_b128 v[114:117], v80 offset:96
	ds_load_b128 v[118:121], v76 offset:96
	;; [unrolled: 1-line block ×10, first 2 shown]
	s_wait_dscnt 0x8
	;;#ASMSTART
	v_dot2_f32_f16 v112, v114, v118, v112
	;;#ASMEND
	;;#ASMSTART
	v_dot2_f32_f16 v112, v115, v119, v112
	;;#ASMEND
	;;#ASMSTART
	v_dot2_f32_f16 v112, v116, v120, v112
	;;#ASMEND
	;;#ASMSTART
	v_dot2_f32_f16 v112, v117, v121, v112
	;;#ASMEND
	s_wait_dscnt 0x7
	;;#ASMSTART
	v_dot2_f32_f16 v110, v114, v122, v110
	;;#ASMEND
	;;#ASMSTART
	v_dot2_f32_f16 v110, v115, v123, v110
	;;#ASMEND
	;;#ASMSTART
	v_dot2_f32_f16 v110, v116, v124, v110
	;;#ASMEND
	;;#ASMSTART
	v_dot2_f32_f16 v110, v117, v125, v110
	;;#ASMEND
	;; [unrolled: 13-line block ×8, first 2 shown]
	;;#ASMSTART
	v_dot2_f32_f16 v113, v134, v118, v113
	;;#ASMEND
	;;#ASMSTART
	v_dot2_f32_f16 v113, v135, v119, v113
	;;#ASMEND
	;; [unrolled: 3-line block ×32, first 2 shown]
	ds_load_b128 v[114:117], v80 offset:112
	ds_load_b128 v[118:121], v76 offset:112
	;; [unrolled: 1-line block ×10, first 2 shown]
	s_wait_dscnt 0x8
	;;#ASMSTART
	v_dot2_f32_f16 v112, v114, v118, v112
	;;#ASMEND
	;;#ASMSTART
	v_dot2_f32_f16 v112, v115, v119, v112
	;;#ASMEND
	;;#ASMSTART
	v_dot2_f32_f16 v112, v116, v120, v112
	;;#ASMEND
	;;#ASMSTART
	v_dot2_f32_f16 v112, v117, v121, v112
	;;#ASMEND
	s_wait_dscnt 0x7
	;;#ASMSTART
	v_dot2_f32_f16 v110, v114, v122, v110
	;;#ASMEND
	;;#ASMSTART
	v_dot2_f32_f16 v110, v115, v123, v110
	;;#ASMEND
	;;#ASMSTART
	v_dot2_f32_f16 v110, v116, v124, v110
	;;#ASMEND
	;;#ASMSTART
	v_dot2_f32_f16 v110, v117, v125, v110
	;;#ASMEND
	;; [unrolled: 13-line block ×8, first 2 shown]
	;;#ASMSTART
	v_dot2_f32_f16 v113, v134, v118, v113
	;;#ASMEND
	;;#ASMSTART
	v_dot2_f32_f16 v113, v135, v119, v113
	;;#ASMEND
	;; [unrolled: 3-line block ×32, first 2 shown]
	s_wait_loadcnt 0x0
	s_barrier_signal -1
	s_barrier_wait -1
	global_inv scope:SCOPE_SE
	s_clause 0x1
	global_load_b128 v[114:117], v[0:1], off offset:128
	global_load_b128 v[0:3], v[2:3], off offset:128
	s_wait_loadcnt 0x1
	ds_store_b128 v81, v[114:117]
	s_wait_loadcnt 0x0
	ds_store_b128 v82, v[0:3]
	s_wait_dscnt 0x0
	s_barrier_signal -1
	s_barrier_wait -1
	global_inv scope:SCOPE_SE
	ds_load_b128 v[0:3], v80
	ds_load_b128 v[114:117], v76 offset:128
	ds_load_b128 v[118:121], v76 offset:384
	;; [unrolled: 1-line block ×9, first 2 shown]
	s_wait_dscnt 0x8
	;;#ASMSTART
	v_dot2_f32_f16 v112, v0, v114, v112
	;;#ASMEND
	;;#ASMSTART
	v_dot2_f32_f16 v112, v1, v115, v112
	;;#ASMEND
	;;#ASMSTART
	v_dot2_f32_f16 v112, v2, v116, v112
	;;#ASMEND
	;;#ASMSTART
	v_dot2_f32_f16 v112, v3, v117, v112
	;;#ASMEND
	s_wait_dscnt 0x7
	;;#ASMSTART
	v_dot2_f32_f16 v110, v0, v118, v110
	;;#ASMEND
	;;#ASMSTART
	v_dot2_f32_f16 v110, v1, v119, v110
	;;#ASMEND
	;;#ASMSTART
	v_dot2_f32_f16 v110, v2, v120, v110
	;;#ASMEND
	;;#ASMSTART
	v_dot2_f32_f16 v110, v3, v121, v110
	;;#ASMEND
	;; [unrolled: 13-line block ×8, first 2 shown]
	;;#ASMSTART
	v_dot2_f32_f16 v113, v130, v114, v113
	;;#ASMEND
	;;#ASMSTART
	v_dot2_f32_f16 v113, v131, v115, v113
	;;#ASMEND
	;; [unrolled: 3-line block ×32, first 2 shown]
	ds_load_b128 v[0:3], v80 offset:16
	ds_load_b128 v[114:117], v76 offset:144
	;; [unrolled: 1-line block ×10, first 2 shown]
	s_wait_dscnt 0x8
	;;#ASMSTART
	v_dot2_f32_f16 v112, v0, v114, v112
	;;#ASMEND
	;;#ASMSTART
	v_dot2_f32_f16 v112, v1, v115, v112
	;;#ASMEND
	;;#ASMSTART
	v_dot2_f32_f16 v112, v2, v116, v112
	;;#ASMEND
	;;#ASMSTART
	v_dot2_f32_f16 v112, v3, v117, v112
	;;#ASMEND
	s_wait_dscnt 0x7
	;;#ASMSTART
	v_dot2_f32_f16 v110, v0, v118, v110
	;;#ASMEND
	;;#ASMSTART
	v_dot2_f32_f16 v110, v1, v119, v110
	;;#ASMEND
	;;#ASMSTART
	v_dot2_f32_f16 v110, v2, v120, v110
	;;#ASMEND
	;;#ASMSTART
	v_dot2_f32_f16 v110, v3, v121, v110
	;;#ASMEND
	;; [unrolled: 13-line block ×8, first 2 shown]
	;;#ASMSTART
	v_dot2_f32_f16 v113, v130, v114, v113
	;;#ASMEND
	;;#ASMSTART
	v_dot2_f32_f16 v113, v131, v115, v113
	;;#ASMEND
	;;#ASMSTART
	v_dot2_f32_f16 v113, v132, v116, v113
	;;#ASMEND
	;;#ASMSTART
	v_dot2_f32_f16 v113, v133, v117, v113
	;;#ASMEND
	;;#ASMSTART
	v_dot2_f32_f16 v111, v130, v118, v111
	;;#ASMEND
	;;#ASMSTART
	v_dot2_f32_f16 v111, v131, v119, v111
	;;#ASMEND
	;;#ASMSTART
	v_dot2_f32_f16 v111, v132, v120, v111
	;;#ASMEND
	;;#ASMSTART
	v_dot2_f32_f16 v111, v133, v121, v111
	;;#ASMEND
	;;#ASMSTART
	v_dot2_f32_f16 v109, v130, v122, v109
	;;#ASMEND
	;;#ASMSTART
	v_dot2_f32_f16 v109, v131, v123, v109
	;;#ASMEND
	;;#ASMSTART
	v_dot2_f32_f16 v109, v132, v124, v109
	;;#ASMEND
	;;#ASMSTART
	v_dot2_f32_f16 v109, v133, v125, v109
	;;#ASMEND
	;;#ASMSTART
	v_dot2_f32_f16 v46, v130, v126, v46
	;;#ASMEND
	;;#ASMSTART
	v_dot2_f32_f16 v46, v131, v127, v46
	;;#ASMEND
	;;#ASMSTART
	v_dot2_f32_f16 v46, v132, v128, v46
	;;#ASMEND
	;;#ASMSTART
	v_dot2_f32_f16 v46, v133, v129, v46
	;;#ASMEND
	;;#ASMSTART
	v_dot2_f32_f16 v44, v130, v134, v44
	;;#ASMEND
	;;#ASMSTART
	v_dot2_f32_f16 v44, v131, v135, v44
	;;#ASMEND
	;;#ASMSTART
	v_dot2_f32_f16 v44, v132, v136, v44
	;;#ASMEND
	;;#ASMSTART
	v_dot2_f32_f16 v44, v133, v137, v44
	;;#ASMEND
	;;#ASMSTART
	v_dot2_f32_f16 v42, v130, v138, v42
	;;#ASMEND
	;;#ASMSTART
	v_dot2_f32_f16 v42, v131, v139, v42
	;;#ASMEND
	;;#ASMSTART
	v_dot2_f32_f16 v42, v132, v140, v42
	;;#ASMEND
	;;#ASMSTART
	v_dot2_f32_f16 v42, v133, v141, v42
	;;#ASMEND
	;;#ASMSTART
	v_dot2_f32_f16 v22, v130, v142, v22
	;;#ASMEND
	;;#ASMSTART
	v_dot2_f32_f16 v22, v131, v143, v22
	;;#ASMEND
	;;#ASMSTART
	v_dot2_f32_f16 v22, v132, v144, v22
	;;#ASMEND
	;;#ASMSTART
	v_dot2_f32_f16 v22, v133, v145, v22
	;;#ASMEND
	;;#ASMSTART
	v_dot2_f32_f16 v5, v130, v146, v5
	;;#ASMEND
	;;#ASMSTART
	v_dot2_f32_f16 v5, v131, v147, v5
	;;#ASMEND
	;;#ASMSTART
	v_dot2_f32_f16 v5, v132, v148, v5
	;;#ASMEND
	;;#ASMSTART
	v_dot2_f32_f16 v5, v133, v149, v5
	;;#ASMEND
	ds_load_b128 v[0:3], v80 offset:32
	ds_load_b128 v[114:117], v76 offset:160
	;; [unrolled: 1-line block ×10, first 2 shown]
	s_wait_dscnt 0x8
	;;#ASMSTART
	v_dot2_f32_f16 v112, v0, v114, v112
	;;#ASMEND
	;;#ASMSTART
	v_dot2_f32_f16 v112, v1, v115, v112
	;;#ASMEND
	;;#ASMSTART
	v_dot2_f32_f16 v112, v2, v116, v112
	;;#ASMEND
	;;#ASMSTART
	v_dot2_f32_f16 v112, v3, v117, v112
	;;#ASMEND
	s_wait_dscnt 0x7
	;;#ASMSTART
	v_dot2_f32_f16 v110, v0, v118, v110
	;;#ASMEND
	;;#ASMSTART
	v_dot2_f32_f16 v110, v1, v119, v110
	;;#ASMEND
	;;#ASMSTART
	v_dot2_f32_f16 v110, v2, v120, v110
	;;#ASMEND
	;;#ASMSTART
	v_dot2_f32_f16 v110, v3, v121, v110
	;;#ASMEND
	;; [unrolled: 13-line block ×8, first 2 shown]
	;;#ASMSTART
	v_dot2_f32_f16 v113, v130, v114, v113
	;;#ASMEND
	;;#ASMSTART
	v_dot2_f32_f16 v113, v131, v115, v113
	;;#ASMEND
	;;#ASMSTART
	v_dot2_f32_f16 v113, v132, v116, v113
	;;#ASMEND
	;;#ASMSTART
	v_dot2_f32_f16 v113, v133, v117, v113
	;;#ASMEND
	;;#ASMSTART
	v_dot2_f32_f16 v111, v130, v118, v111
	;;#ASMEND
	;;#ASMSTART
	v_dot2_f32_f16 v111, v131, v119, v111
	;;#ASMEND
	;;#ASMSTART
	v_dot2_f32_f16 v111, v132, v120, v111
	;;#ASMEND
	;;#ASMSTART
	v_dot2_f32_f16 v111, v133, v121, v111
	;;#ASMEND
	;;#ASMSTART
	v_dot2_f32_f16 v109, v130, v122, v109
	;;#ASMEND
	;;#ASMSTART
	v_dot2_f32_f16 v109, v131, v123, v109
	;;#ASMEND
	;;#ASMSTART
	v_dot2_f32_f16 v109, v132, v124, v109
	;;#ASMEND
	;;#ASMSTART
	v_dot2_f32_f16 v109, v133, v125, v109
	;;#ASMEND
	;;#ASMSTART
	v_dot2_f32_f16 v46, v130, v126, v46
	;;#ASMEND
	;;#ASMSTART
	v_dot2_f32_f16 v46, v131, v127, v46
	;;#ASMEND
	;;#ASMSTART
	v_dot2_f32_f16 v46, v132, v128, v46
	;;#ASMEND
	;;#ASMSTART
	v_dot2_f32_f16 v46, v133, v129, v46
	;;#ASMEND
	;;#ASMSTART
	v_dot2_f32_f16 v44, v130, v134, v44
	;;#ASMEND
	;;#ASMSTART
	v_dot2_f32_f16 v44, v131, v135, v44
	;;#ASMEND
	;;#ASMSTART
	v_dot2_f32_f16 v44, v132, v136, v44
	;;#ASMEND
	;;#ASMSTART
	v_dot2_f32_f16 v44, v133, v137, v44
	;;#ASMEND
	;;#ASMSTART
	v_dot2_f32_f16 v42, v130, v138, v42
	;;#ASMEND
	;;#ASMSTART
	v_dot2_f32_f16 v42, v131, v139, v42
	;;#ASMEND
	;;#ASMSTART
	v_dot2_f32_f16 v42, v132, v140, v42
	;;#ASMEND
	;;#ASMSTART
	v_dot2_f32_f16 v42, v133, v141, v42
	;;#ASMEND
	;;#ASMSTART
	v_dot2_f32_f16 v22, v130, v142, v22
	;;#ASMEND
	;;#ASMSTART
	v_dot2_f32_f16 v22, v131, v143, v22
	;;#ASMEND
	;;#ASMSTART
	v_dot2_f32_f16 v22, v132, v144, v22
	;;#ASMEND
	;;#ASMSTART
	v_dot2_f32_f16 v22, v133, v145, v22
	;;#ASMEND
	;;#ASMSTART
	v_dot2_f32_f16 v5, v130, v146, v5
	;;#ASMEND
	;;#ASMSTART
	v_dot2_f32_f16 v5, v131, v147, v5
	;;#ASMEND
	;;#ASMSTART
	v_dot2_f32_f16 v5, v132, v148, v5
	;;#ASMEND
	;;#ASMSTART
	v_dot2_f32_f16 v5, v133, v149, v5
	;;#ASMEND
	ds_load_b128 v[0:3], v80 offset:48
	ds_load_b128 v[114:117], v76 offset:176
	;; [unrolled: 1-line block ×10, first 2 shown]
	s_wait_dscnt 0x8
	;;#ASMSTART
	v_dot2_f32_f16 v112, v0, v114, v112
	;;#ASMEND
	;;#ASMSTART
	v_dot2_f32_f16 v112, v1, v115, v112
	;;#ASMEND
	;;#ASMSTART
	v_dot2_f32_f16 v112, v2, v116, v112
	;;#ASMEND
	;;#ASMSTART
	v_dot2_f32_f16 v112, v3, v117, v112
	;;#ASMEND
	s_wait_dscnt 0x7
	;;#ASMSTART
	v_dot2_f32_f16 v110, v0, v118, v110
	;;#ASMEND
	;;#ASMSTART
	v_dot2_f32_f16 v110, v1, v119, v110
	;;#ASMEND
	;;#ASMSTART
	v_dot2_f32_f16 v110, v2, v120, v110
	;;#ASMEND
	;;#ASMSTART
	v_dot2_f32_f16 v110, v3, v121, v110
	;;#ASMEND
	;; [unrolled: 13-line block ×8, first 2 shown]
	;;#ASMSTART
	v_dot2_f32_f16 v113, v130, v114, v113
	;;#ASMEND
	;;#ASMSTART
	v_dot2_f32_f16 v113, v131, v115, v113
	;;#ASMEND
	;; [unrolled: 3-line block ×32, first 2 shown]
	ds_load_b128 v[0:3], v80 offset:64
	ds_load_b128 v[114:117], v76 offset:192
	;; [unrolled: 1-line block ×10, first 2 shown]
	s_wait_dscnt 0x8
	;;#ASMSTART
	v_dot2_f32_f16 v112, v0, v114, v112
	;;#ASMEND
	;;#ASMSTART
	v_dot2_f32_f16 v112, v1, v115, v112
	;;#ASMEND
	;;#ASMSTART
	v_dot2_f32_f16 v112, v2, v116, v112
	;;#ASMEND
	;;#ASMSTART
	v_dot2_f32_f16 v112, v3, v117, v112
	;;#ASMEND
	s_wait_dscnt 0x7
	;;#ASMSTART
	v_dot2_f32_f16 v110, v0, v118, v110
	;;#ASMEND
	;;#ASMSTART
	v_dot2_f32_f16 v110, v1, v119, v110
	;;#ASMEND
	;;#ASMSTART
	v_dot2_f32_f16 v110, v2, v120, v110
	;;#ASMEND
	;;#ASMSTART
	v_dot2_f32_f16 v110, v3, v121, v110
	;;#ASMEND
	;; [unrolled: 13-line block ×8, first 2 shown]
	;;#ASMSTART
	v_dot2_f32_f16 v113, v130, v114, v113
	;;#ASMEND
	;;#ASMSTART
	v_dot2_f32_f16 v113, v131, v115, v113
	;;#ASMEND
	;; [unrolled: 3-line block ×32, first 2 shown]
	ds_load_b128 v[0:3], v80 offset:80
	ds_load_b128 v[114:117], v76 offset:208
	;; [unrolled: 1-line block ×10, first 2 shown]
	s_wait_dscnt 0x8
	;;#ASMSTART
	v_dot2_f32_f16 v112, v0, v114, v112
	;;#ASMEND
	;;#ASMSTART
	v_dot2_f32_f16 v112, v1, v115, v112
	;;#ASMEND
	;;#ASMSTART
	v_dot2_f32_f16 v112, v2, v116, v112
	;;#ASMEND
	;;#ASMSTART
	v_dot2_f32_f16 v112, v3, v117, v112
	;;#ASMEND
	s_wait_dscnt 0x7
	;;#ASMSTART
	v_dot2_f32_f16 v110, v0, v118, v110
	;;#ASMEND
	;;#ASMSTART
	v_dot2_f32_f16 v110, v1, v119, v110
	;;#ASMEND
	;;#ASMSTART
	v_dot2_f32_f16 v110, v2, v120, v110
	;;#ASMEND
	;;#ASMSTART
	v_dot2_f32_f16 v110, v3, v121, v110
	;;#ASMEND
	;; [unrolled: 13-line block ×8, first 2 shown]
	;;#ASMSTART
	v_dot2_f32_f16 v113, v130, v114, v113
	;;#ASMEND
	;;#ASMSTART
	v_dot2_f32_f16 v113, v131, v115, v113
	;;#ASMEND
	;; [unrolled: 3-line block ×32, first 2 shown]
	ds_load_b128 v[0:3], v80 offset:96
	ds_load_b128 v[114:117], v76 offset:224
	;; [unrolled: 1-line block ×10, first 2 shown]
	s_wait_dscnt 0x8
	;;#ASMSTART
	v_dot2_f32_f16 v112, v0, v114, v112
	;;#ASMEND
	;;#ASMSTART
	v_dot2_f32_f16 v112, v1, v115, v112
	;;#ASMEND
	;;#ASMSTART
	v_dot2_f32_f16 v112, v2, v116, v112
	;;#ASMEND
	;;#ASMSTART
	v_dot2_f32_f16 v112, v3, v117, v112
	;;#ASMEND
	s_wait_dscnt 0x7
	;;#ASMSTART
	v_dot2_f32_f16 v110, v0, v118, v110
	;;#ASMEND
	;;#ASMSTART
	v_dot2_f32_f16 v110, v1, v119, v110
	;;#ASMEND
	;;#ASMSTART
	v_dot2_f32_f16 v110, v2, v120, v110
	;;#ASMEND
	;;#ASMSTART
	v_dot2_f32_f16 v110, v3, v121, v110
	;;#ASMEND
	;; [unrolled: 13-line block ×8, first 2 shown]
	;;#ASMSTART
	v_dot2_f32_f16 v113, v130, v114, v113
	;;#ASMEND
	;;#ASMSTART
	v_dot2_f32_f16 v113, v131, v115, v113
	;;#ASMEND
	;; [unrolled: 3-line block ×32, first 2 shown]
	ds_load_b128 v[0:3], v80 offset:112
	ds_load_b128 v[114:117], v76 offset:240
	;; [unrolled: 1-line block ×10, first 2 shown]
	s_wait_dscnt 0x8
	;;#ASMSTART
	v_dot2_f32_f16 v112, v0, v114, v112
	;;#ASMEND
	;;#ASMSTART
	v_dot2_f32_f16 v112, v1, v115, v112
	;;#ASMEND
	;;#ASMSTART
	v_dot2_f32_f16 v112, v2, v116, v112
	;;#ASMEND
	;;#ASMSTART
	v_dot2_f32_f16 v112, v3, v117, v112
	;;#ASMEND
	s_wait_dscnt 0x7
	;;#ASMSTART
	v_dot2_f32_f16 v110, v0, v118, v110
	;;#ASMEND
	;;#ASMSTART
	v_dot2_f32_f16 v110, v1, v119, v110
	;;#ASMEND
	;;#ASMSTART
	v_dot2_f32_f16 v110, v2, v120, v110
	;;#ASMEND
	;;#ASMSTART
	v_dot2_f32_f16 v110, v3, v121, v110
	;;#ASMEND
	;; [unrolled: 13-line block ×8, first 2 shown]
	;;#ASMSTART
	v_dot2_f32_f16 v113, v130, v114, v113
	;;#ASMEND
	;;#ASMSTART
	v_dot2_f32_f16 v113, v131, v115, v113
	;;#ASMEND
	;; [unrolled: 3-line block ×25, first 2 shown]
	v_cmp_ngt_f32_e64 s12, 0x3f200000, |v112|
	;;#ASMSTART
	v_dot2_f32_f16 v22, v131, v143, v22
	;;#ASMEND
	;;#ASMSTART
	v_dot2_f32_f16 v22, v132, v144, v22
	;;#ASMEND
	;; [unrolled: 3-line block ×7, first 2 shown]
                                        ; implicit-def: $vgpr2
	s_and_saveexec_b32 s13, s12
	s_wait_alu 0xfffe
	s_xor_b32 s12, exec_lo, s13
	s_cbranch_execz .LBB86_10
; %bb.9:                                ;   in Loop: Header=BB86_8 Depth=1
	v_add_f32_e64 v0, |v112|, |v112|
	s_delay_alu instid0(VALU_DEP_1) | instskip(SKIP_1) | instid1(VALU_DEP_2)
	v_mul_f32_e32 v1, 0x3fb8aa3b, v0
	v_cmp_ngt_f32_e32 vcc_lo, 0xc2ce8ed0, v0
	v_rndne_f32_e32 v2, v1
	v_fma_f32 v3, 0x3fb8aa3b, v0, -v1
	s_delay_alu instid0(VALU_DEP_2) | instskip(NEXT) | instid1(VALU_DEP_2)
	v_sub_f32_e32 v1, v1, v2
	v_fmac_f32_e32 v3, 0x32a5705f, v0
	v_cvt_i32_f32_e32 v2, v2
	s_delay_alu instid0(VALU_DEP_2) | instskip(NEXT) | instid1(VALU_DEP_1)
	v_add_f32_e32 v1, v1, v3
	v_exp_f32_e32 v1, v1
	s_delay_alu instid0(TRANS32_DEP_1) | instskip(SKIP_1) | instid1(VALU_DEP_1)
	v_ldexp_f32 v1, v1, v2
	s_wait_alu 0xfffd
	v_cndmask_b32_e32 v1, 0, v1, vcc_lo
	v_cmp_nlt_f32_e32 vcc_lo, 0x42b17218, v0
	s_wait_alu 0xfffd
	s_delay_alu instid0(VALU_DEP_2) | instskip(NEXT) | instid1(VALU_DEP_1)
	v_cndmask_b32_e32 v0, 0x7f800000, v1, vcc_lo
	v_add_f32_e32 v0, 1.0, v0
	s_delay_alu instid0(VALU_DEP_1) | instskip(NEXT) | instid1(TRANS32_DEP_1)
	v_rcp_f32_e32 v0, v0
	v_fma_f32 v2, v0, -2.0, 1.0
.LBB86_10:                              ;   in Loop: Header=BB86_8 Depth=1
	s_wait_alu 0xfffe
	s_and_not1_saveexec_b32 s12, s12
	s_cbranch_execz .LBB86_12
; %bb.11:                               ;   in Loop: Header=BB86_8 Depth=1
	v_mul_f32_e32 v0, v112, v112
	s_delay_alu instid0(VALU_DEP_1) | instskip(NEXT) | instid1(VALU_DEP_1)
	v_fmaak_f32 v1, s11, v0, 0x3ca908c9
	v_fmaak_f32 v1, v0, v1, 0xbd5c1c4e
	s_delay_alu instid0(VALU_DEP_1) | instskip(NEXT) | instid1(VALU_DEP_1)
	v_fmaak_f32 v1, v0, v1, 0x3e088382
	v_fmaak_f32 v1, v0, v1, 0xbeaaaa99
	s_delay_alu instid0(VALU_DEP_1) | instskip(NEXT) | instid1(VALU_DEP_1)
	v_mul_f32_e64 v1, |v112|, v1
	v_fma_f32 v2, v0, v1, |v112|
.LBB86_12:                              ;   in Loop: Header=BB86_8 Depth=1
	s_wait_alu 0xfffe
	s_or_b32 exec_lo, exec_lo, s12
	v_add_nc_u32_e32 v3, s38, v40
	s_and_not1_b32 vcc_lo, exec_lo, s10
	s_delay_alu instid0(VALU_DEP_1) | instskip(NEXT) | instid1(VALU_DEP_1)
	v_add_nc_u32_e32 v0, v3, v79
	v_ashrrev_i32_e32 v1, 31, v0
	s_wait_alu 0xfffe
	s_cbranch_vccnz .LBB86_106
; %bb.13:                               ;   in Loop: Header=BB86_8 Depth=1
	s_delay_alu instid0(VALU_DEP_1) | instskip(NEXT) | instid1(VALU_DEP_1)
	v_lshlrev_b64_e32 v[114:115], 1, v[0:1]
	v_add_co_u32 v114, vcc_lo, s40, v114
	s_wait_alu 0xfffd
	s_delay_alu instid0(VALU_DEP_2) | instskip(SKIP_3) | instid1(VALU_DEP_1)
	v_add_co_ci_u32_e64 v115, null, s41, v115, vcc_lo
	global_load_u16 v114, v[114:115], off
	s_wait_loadcnt 0x0
	v_cvt_f32_f16_e32 v114, v114
	v_mul_f32_e32 v114, v51, v114
	v_cmp_ngt_f32_e64 s12, 0x3f200000, |v113|
                                        ; implicit-def: $vgpr116
	s_and_saveexec_b32 s13, s12
	s_wait_alu 0xfffe
	s_xor_b32 s12, exec_lo, s13
	s_cbranch_execz .LBB86_15
.LBB86_14:                              ;   in Loop: Header=BB86_8 Depth=1
	v_add_f32_e64 v115, |v113|, |v113|
	s_delay_alu instid0(VALU_DEP_1) | instskip(SKIP_1) | instid1(VALU_DEP_2)
	v_mul_f32_e32 v116, 0x3fb8aa3b, v115
	v_cmp_ngt_f32_e32 vcc_lo, 0xc2ce8ed0, v115
	v_rndne_f32_e32 v117, v116
	v_fma_f32 v118, 0x3fb8aa3b, v115, -v116
	s_delay_alu instid0(VALU_DEP_2) | instskip(NEXT) | instid1(VALU_DEP_2)
	v_sub_f32_e32 v116, v116, v117
	v_fmac_f32_e32 v118, 0x32a5705f, v115
	v_cvt_i32_f32_e32 v117, v117
	s_delay_alu instid0(VALU_DEP_2) | instskip(NEXT) | instid1(VALU_DEP_1)
	v_add_f32_e32 v116, v116, v118
	v_exp_f32_e32 v116, v116
	s_delay_alu instid0(TRANS32_DEP_1) | instskip(SKIP_1) | instid1(VALU_DEP_1)
	v_ldexp_f32 v116, v116, v117
	s_wait_alu 0xfffd
	v_cndmask_b32_e32 v116, 0, v116, vcc_lo
	v_cmp_nlt_f32_e32 vcc_lo, 0x42b17218, v115
	s_wait_alu 0xfffd
	s_delay_alu instid0(VALU_DEP_2) | instskip(NEXT) | instid1(VALU_DEP_1)
	v_cndmask_b32_e32 v115, 0x7f800000, v116, vcc_lo
	v_add_f32_e32 v115, 1.0, v115
	s_delay_alu instid0(VALU_DEP_1) | instskip(NEXT) | instid1(TRANS32_DEP_1)
	v_rcp_f32_e32 v115, v115
	v_fma_f32 v116, v115, -2.0, 1.0
.LBB86_15:                              ;   in Loop: Header=BB86_8 Depth=1
	s_wait_alu 0xfffe
	s_and_not1_saveexec_b32 s12, s12
	s_cbranch_execz .LBB86_18
; %bb.16:                               ;   in Loop: Header=BB86_8 Depth=1
	v_mul_f32_e32 v115, v113, v113
	s_delay_alu instid0(VALU_DEP_1) | instskip(NEXT) | instid1(VALU_DEP_1)
	v_fmaak_f32 v116, s11, v115, 0x3ca908c9
	v_fmaak_f32 v116, v115, v116, 0xbd5c1c4e
	s_delay_alu instid0(VALU_DEP_1) | instskip(NEXT) | instid1(VALU_DEP_1)
	v_fmaak_f32 v116, v115, v116, 0x3e088382
	v_fmaak_f32 v116, v115, v116, 0xbeaaaa99
	s_delay_alu instid0(VALU_DEP_1) | instskip(NEXT) | instid1(VALU_DEP_1)
	v_mul_f32_e64 v116, |v113|, v116
	v_fma_f32 v116, v115, v116, |v113|
	s_wait_alu 0xfffe
	s_or_b32 exec_lo, exec_lo, s12
	s_delay_alu instid0(SALU_CYCLE_1)
	s_and_not1_b32 vcc_lo, exec_lo, s10
	s_wait_alu 0xfffe
	s_cbranch_vccz .LBB86_19
.LBB86_17:                              ;   in Loop: Header=BB86_8 Depth=1
	v_mov_b32_e32 v115, 0
	s_branch .LBB86_20
.LBB86_18:                              ;   in Loop: Header=BB86_8 Depth=1
	s_wait_alu 0xfffe
	s_or_b32 exec_lo, exec_lo, s12
	s_delay_alu instid0(SALU_CYCLE_1)
	s_and_not1_b32 vcc_lo, exec_lo, s10
	s_wait_alu 0xfffe
	s_cbranch_vccnz .LBB86_17
.LBB86_19:                              ;   in Loop: Header=BB86_8 Depth=1
	v_lshlrev_b64_e32 v[0:1], 1, v[0:1]
	s_delay_alu instid0(VALU_DEP_1) | instskip(SKIP_1) | instid1(VALU_DEP_2)
	v_add_co_u32 v0, vcc_lo, s40, v0
	s_wait_alu 0xfffd
	v_add_co_ci_u32_e64 v1, null, s41, v1, vcc_lo
	global_load_u16 v0, v[0:1], off offset:64
	s_wait_loadcnt 0x0
	v_cvt_f32_f16_e32 v0, v0
	s_delay_alu instid0(VALU_DEP_1)
	v_mul_f32_e32 v115, v51, v0
.LBB86_20:                              ;   in Loop: Header=BB86_8 Depth=1
	v_bfi_b32 v0, 0x7fffffff, v2, v112
	v_bfi_b32 v1, 0x7fffffff, v116, v113
	v_xor_b32_e32 v2, 16, v97
	v_cmp_ngt_f32_e64 s12, 0x3f200000, |v110|
                                        ; implicit-def: $vgpr122
	s_delay_alu instid0(VALU_DEP_3) | instskip(NEXT) | instid1(VALU_DEP_3)
	v_dual_fmac_f32 v114, s15, v0 :: v_dual_fmac_f32 v115, s15, v1
	v_cmp_gt_i32_e32 vcc_lo, 32, v2
	s_delay_alu instid0(VALU_DEP_2) | instskip(SKIP_2) | instid1(VALU_DEP_1)
	v_dual_add_f32 v1, 0x40051340, v114 :: v_dual_add_f32 v112, 0x40051340, v115
	s_wait_alu 0xfffd
	v_cndmask_b32_e32 v0, v97, v2, vcc_lo
	v_lshlrev_b32_e32 v2, 2, v0
	s_delay_alu instid0(VALU_DEP_3)
	v_max3_num_f32 v0, v107, v1, v112
	v_xor_b32_e32 v112, 8, v97
	ds_bpermute_b32 v1, v2, v0
	v_cmp_gt_i32_e32 vcc_lo, 32, v112
	s_wait_alu 0xfffd
	v_cndmask_b32_e32 v112, v97, v112, vcc_lo
	s_delay_alu instid0(VALU_DEP_1) | instskip(SKIP_1) | instid1(VALU_DEP_1)
	v_lshlrev_b32_e32 v117, 2, v112
	v_xor_b32_e32 v112, 4, v97
	v_cmp_gt_i32_e32 vcc_lo, 32, v112
	s_wait_dscnt 0x0
	v_max_num_f32_e32 v1, v1, v1
	s_wait_alu 0xfffd
	v_cndmask_b32_e32 v112, v97, v112, vcc_lo
	s_delay_alu instid0(VALU_DEP_1) | instskip(SKIP_1) | instid1(VALU_DEP_1)
	v_lshlrev_b32_e32 v116, 2, v112
	v_xor_b32_e32 v112, 2, v97
	v_cmp_gt_i32_e32 vcc_lo, 32, v112
	s_wait_alu 0xfffd
	v_cndmask_b32_e32 v112, v97, v112, vcc_lo
	s_delay_alu instid0(VALU_DEP_1) | instskip(SKIP_2) | instid1(VALU_DEP_1)
	v_dual_max_num_f32 v0, v0, v1 :: v_dual_lshlrev_b32 v113, 2, v112
	ds_bpermute_b32 v1, v117, v0
	v_xor_b32_e32 v112, 1, v97
	v_cmp_gt_i32_e32 vcc_lo, 32, v112
	s_wait_alu 0xfffd
	v_cndmask_b32_e32 v112, v97, v112, vcc_lo
	s_wait_dscnt 0x0
	s_delay_alu instid0(VALU_DEP_1) | instskip(NEXT) | instid1(VALU_DEP_1)
	v_dual_max_num_f32 v1, v1, v1 :: v_dual_lshlrev_b32 v112, 2, v112
	v_max_num_f32_e32 v0, v0, v1
	ds_bpermute_b32 v1, v116, v0
	s_wait_dscnt 0x0
	v_max_num_f32_e32 v1, v1, v1
	s_delay_alu instid0(VALU_DEP_1) | instskip(SKIP_3) | instid1(VALU_DEP_1)
	v_max_num_f32_e32 v0, v0, v1
	ds_bpermute_b32 v1, v113, v0
	s_wait_dscnt 0x0
	v_max_num_f32_e32 v1, v1, v1
	v_max_num_f32_e32 v120, v0, v1
	ds_bpermute_b32 v121, v112, v120
	s_and_saveexec_b32 s13, s12
	s_wait_alu 0xfffe
	s_xor_b32 s12, exec_lo, s13
	s_cbranch_execz .LBB86_22
; %bb.21:                               ;   in Loop: Header=BB86_8 Depth=1
	v_add_f32_e64 v0, |v110|, |v110|
	s_delay_alu instid0(VALU_DEP_1) | instskip(SKIP_1) | instid1(VALU_DEP_2)
	v_mul_f32_e32 v1, 0x3fb8aa3b, v0
	v_cmp_ngt_f32_e32 vcc_lo, 0xc2ce8ed0, v0
	v_rndne_f32_e32 v118, v1
	v_fma_f32 v119, 0x3fb8aa3b, v0, -v1
	s_delay_alu instid0(VALU_DEP_2) | instskip(NEXT) | instid1(VALU_DEP_2)
	v_sub_f32_e32 v1, v1, v118
	v_fmac_f32_e32 v119, 0x32a5705f, v0
	v_cvt_i32_f32_e32 v118, v118
	s_delay_alu instid0(VALU_DEP_2) | instskip(NEXT) | instid1(VALU_DEP_1)
	v_add_f32_e32 v1, v1, v119
	v_exp_f32_e32 v1, v1
	s_delay_alu instid0(TRANS32_DEP_1) | instskip(SKIP_1) | instid1(VALU_DEP_1)
	v_ldexp_f32 v1, v1, v118
	s_wait_alu 0xfffd
	v_cndmask_b32_e32 v1, 0, v1, vcc_lo
	v_cmp_nlt_f32_e32 vcc_lo, 0x42b17218, v0
	s_wait_alu 0xfffd
	s_delay_alu instid0(VALU_DEP_2) | instskip(NEXT) | instid1(VALU_DEP_1)
	v_cndmask_b32_e32 v0, 0x7f800000, v1, vcc_lo
	v_add_f32_e32 v0, 1.0, v0
	s_delay_alu instid0(VALU_DEP_1) | instskip(NEXT) | instid1(TRANS32_DEP_1)
	v_rcp_f32_e32 v0, v0
	v_fma_f32 v122, v0, -2.0, 1.0
.LBB86_22:                              ;   in Loop: Header=BB86_8 Depth=1
	s_wait_alu 0xfffe
	s_and_not1_saveexec_b32 s12, s12
	s_cbranch_execz .LBB86_24
; %bb.23:                               ;   in Loop: Header=BB86_8 Depth=1
	v_mul_f32_e32 v0, v110, v110
	s_delay_alu instid0(VALU_DEP_1) | instskip(NEXT) | instid1(VALU_DEP_1)
	v_fmaak_f32 v1, s11, v0, 0x3ca908c9
	v_fmaak_f32 v1, v0, v1, 0xbd5c1c4e
	s_delay_alu instid0(VALU_DEP_1) | instskip(NEXT) | instid1(VALU_DEP_1)
	v_fmaak_f32 v1, v0, v1, 0x3e088382
	v_fmaak_f32 v1, v0, v1, 0xbeaaaa99
	s_delay_alu instid0(VALU_DEP_1) | instskip(NEXT) | instid1(VALU_DEP_1)
	v_mul_f32_e64 v1, |v110|, v1
	v_fma_f32 v122, v0, v1, |v110|
.LBB86_24:                              ;   in Loop: Header=BB86_8 Depth=1
	s_wait_alu 0xfffe
	s_or_b32 exec_lo, exec_lo, s12
	v_add_nc_u32_e32 v0, v3, v83
	s_and_not1_b32 vcc_lo, exec_lo, s10
	s_delay_alu instid0(VALU_DEP_1)
	v_ashrrev_i32_e32 v1, 31, v0
	s_wait_alu 0xfffe
	s_cbranch_vccnz .LBB86_107
; %bb.25:                               ;   in Loop: Header=BB86_8 Depth=1
	s_delay_alu instid0(VALU_DEP_1) | instskip(NEXT) | instid1(VALU_DEP_1)
	v_lshlrev_b64_e32 v[118:119], 1, v[0:1]
	v_add_co_u32 v118, vcc_lo, s40, v118
	s_wait_alu 0xfffd
	s_delay_alu instid0(VALU_DEP_2) | instskip(SKIP_3) | instid1(VALU_DEP_1)
	v_add_co_ci_u32_e64 v119, null, s41, v119, vcc_lo
	global_load_u16 v118, v[118:119], off
	s_wait_loadcnt 0x0
	v_cvt_f32_f16_e32 v118, v118
	v_mul_f32_e32 v118, v51, v118
	v_cmp_ngt_f32_e64 s12, 0x3f200000, |v111|
                                        ; implicit-def: $vgpr123
	s_and_saveexec_b32 s13, s12
	s_wait_alu 0xfffe
	s_xor_b32 s12, exec_lo, s13
	s_cbranch_execz .LBB86_27
.LBB86_26:                              ;   in Loop: Header=BB86_8 Depth=1
	v_add_f32_e64 v119, |v111|, |v111|
	s_delay_alu instid0(VALU_DEP_1) | instskip(SKIP_1) | instid1(VALU_DEP_2)
	v_mul_f32_e32 v123, 0x3fb8aa3b, v119
	v_cmp_ngt_f32_e32 vcc_lo, 0xc2ce8ed0, v119
	v_rndne_f32_e32 v124, v123
	v_fma_f32 v125, 0x3fb8aa3b, v119, -v123
	s_delay_alu instid0(VALU_DEP_2) | instskip(NEXT) | instid1(VALU_DEP_2)
	v_sub_f32_e32 v123, v123, v124
	v_fmac_f32_e32 v125, 0x32a5705f, v119
	v_cvt_i32_f32_e32 v124, v124
	s_delay_alu instid0(VALU_DEP_2) | instskip(NEXT) | instid1(VALU_DEP_1)
	v_add_f32_e32 v123, v123, v125
	v_exp_f32_e32 v123, v123
	s_delay_alu instid0(TRANS32_DEP_1) | instskip(SKIP_1) | instid1(VALU_DEP_1)
	v_ldexp_f32 v123, v123, v124
	s_wait_alu 0xfffd
	v_cndmask_b32_e32 v123, 0, v123, vcc_lo
	v_cmp_nlt_f32_e32 vcc_lo, 0x42b17218, v119
	s_wait_alu 0xfffd
	s_delay_alu instid0(VALU_DEP_2) | instskip(NEXT) | instid1(VALU_DEP_1)
	v_cndmask_b32_e32 v119, 0x7f800000, v123, vcc_lo
	v_add_f32_e32 v119, 1.0, v119
	s_delay_alu instid0(VALU_DEP_1) | instskip(NEXT) | instid1(TRANS32_DEP_1)
	v_rcp_f32_e32 v119, v119
	v_fma_f32 v123, v119, -2.0, 1.0
.LBB86_27:                              ;   in Loop: Header=BB86_8 Depth=1
	s_wait_alu 0xfffe
	s_and_not1_saveexec_b32 s12, s12
	s_cbranch_execz .LBB86_30
; %bb.28:                               ;   in Loop: Header=BB86_8 Depth=1
	v_mul_f32_e32 v119, v111, v111
	s_delay_alu instid0(VALU_DEP_1) | instskip(NEXT) | instid1(VALU_DEP_1)
	v_fmaak_f32 v123, s11, v119, 0x3ca908c9
	v_fmaak_f32 v123, v119, v123, 0xbd5c1c4e
	s_delay_alu instid0(VALU_DEP_1) | instskip(NEXT) | instid1(VALU_DEP_1)
	v_fmaak_f32 v123, v119, v123, 0x3e088382
	v_fmaak_f32 v123, v119, v123, 0xbeaaaa99
	s_delay_alu instid0(VALU_DEP_1) | instskip(NEXT) | instid1(VALU_DEP_1)
	v_mul_f32_e64 v123, |v111|, v123
	v_fma_f32 v123, v119, v123, |v111|
	s_wait_alu 0xfffe
	s_or_b32 exec_lo, exec_lo, s12
	s_delay_alu instid0(SALU_CYCLE_1)
	s_and_not1_b32 vcc_lo, exec_lo, s10
	s_wait_alu 0xfffe
	s_cbranch_vccz .LBB86_31
.LBB86_29:                              ;   in Loop: Header=BB86_8 Depth=1
	v_mov_b32_e32 v119, 0
	s_branch .LBB86_32
.LBB86_30:                              ;   in Loop: Header=BB86_8 Depth=1
	s_wait_alu 0xfffe
	s_or_b32 exec_lo, exec_lo, s12
	s_delay_alu instid0(SALU_CYCLE_1)
	s_and_not1_b32 vcc_lo, exec_lo, s10
	s_wait_alu 0xfffe
	s_cbranch_vccnz .LBB86_29
.LBB86_31:                              ;   in Loop: Header=BB86_8 Depth=1
	v_lshlrev_b64_e32 v[0:1], 1, v[0:1]
	s_delay_alu instid0(VALU_DEP_1) | instskip(SKIP_1) | instid1(VALU_DEP_2)
	v_add_co_u32 v0, vcc_lo, s40, v0
	s_wait_alu 0xfffd
	v_add_co_ci_u32_e64 v1, null, s41, v1, vcc_lo
	global_load_u16 v0, v[0:1], off offset:64
	s_wait_loadcnt 0x0
	v_cvt_f32_f16_e32 v0, v0
	s_delay_alu instid0(VALU_DEP_1)
	v_mul_f32_e32 v119, v51, v0
.LBB86_32:                              ;   in Loop: Header=BB86_8 Depth=1
	v_bfi_b32 v0, 0x7fffffff, v122, v110
	v_bfi_b32 v1, 0x7fffffff, v123, v111
	v_cmp_ngt_f32_e64 s12, 0x3f200000, |v47|
                                        ; implicit-def: $vgpr122
	s_delay_alu instid0(VALU_DEP_2) | instskip(NEXT) | instid1(VALU_DEP_1)
	v_dual_fmac_f32 v118, s15, v0 :: v_dual_fmac_f32 v119, s15, v1
	v_dual_add_f32 v0, 0x40051340, v118 :: v_dual_add_f32 v1, 0x40051340, v119
	s_delay_alu instid0(VALU_DEP_1) | instskip(SKIP_3) | instid1(VALU_DEP_1)
	v_max3_num_f32 v0, v108, v0, v1
	ds_bpermute_b32 v1, v2, v0
	s_wait_dscnt 0x0
	v_max_num_f32_e32 v1, v1, v1
	v_max_num_f32_e32 v0, v0, v1
	ds_bpermute_b32 v1, v117, v0
	s_wait_dscnt 0x0
	v_max_num_f32_e32 v1, v1, v1
	s_delay_alu instid0(VALU_DEP_1) | instskip(SKIP_3) | instid1(VALU_DEP_1)
	v_max_num_f32_e32 v0, v0, v1
	ds_bpermute_b32 v1, v116, v0
	s_wait_dscnt 0x0
	v_max_num_f32_e32 v1, v1, v1
	v_max_num_f32_e32 v0, v0, v1
	ds_bpermute_b32 v1, v113, v0
	s_wait_dscnt 0x0
	v_max_num_f32_e32 v1, v1, v1
	s_delay_alu instid0(VALU_DEP_1)
	v_max_num_f32_e32 v125, v0, v1
	ds_bpermute_b32 v126, v112, v125
	s_and_saveexec_b32 s13, s12
	s_wait_alu 0xfffe
	s_xor_b32 s12, exec_lo, s13
	s_cbranch_execz .LBB86_34
; %bb.33:                               ;   in Loop: Header=BB86_8 Depth=1
	v_add_f32_e64 v0, |v47|, |v47|
	s_delay_alu instid0(VALU_DEP_1) | instskip(SKIP_1) | instid1(VALU_DEP_2)
	v_mul_f32_e32 v1, 0x3fb8aa3b, v0
	v_cmp_ngt_f32_e32 vcc_lo, 0xc2ce8ed0, v0
	v_rndne_f32_e32 v110, v1
	v_fma_f32 v111, 0x3fb8aa3b, v0, -v1
	s_delay_alu instid0(VALU_DEP_2) | instskip(NEXT) | instid1(VALU_DEP_2)
	v_sub_f32_e32 v1, v1, v110
	v_fmac_f32_e32 v111, 0x32a5705f, v0
	v_cvt_i32_f32_e32 v110, v110
	s_delay_alu instid0(VALU_DEP_2) | instskip(NEXT) | instid1(VALU_DEP_1)
	v_add_f32_e32 v1, v1, v111
	v_exp_f32_e32 v1, v1
	s_delay_alu instid0(TRANS32_DEP_1) | instskip(SKIP_1) | instid1(VALU_DEP_1)
	v_ldexp_f32 v1, v1, v110
	s_wait_alu 0xfffd
	v_cndmask_b32_e32 v1, 0, v1, vcc_lo
	v_cmp_nlt_f32_e32 vcc_lo, 0x42b17218, v0
	s_wait_alu 0xfffd
	s_delay_alu instid0(VALU_DEP_2) | instskip(NEXT) | instid1(VALU_DEP_1)
	v_cndmask_b32_e32 v0, 0x7f800000, v1, vcc_lo
	v_add_f32_e32 v0, 1.0, v0
	s_delay_alu instid0(VALU_DEP_1) | instskip(NEXT) | instid1(TRANS32_DEP_1)
	v_rcp_f32_e32 v0, v0
	v_fma_f32 v122, v0, -2.0, 1.0
.LBB86_34:                              ;   in Loop: Header=BB86_8 Depth=1
	s_wait_alu 0xfffe
	s_and_not1_saveexec_b32 s12, s12
	s_cbranch_execz .LBB86_36
; %bb.35:                               ;   in Loop: Header=BB86_8 Depth=1
	v_mul_f32_e32 v0, v47, v47
	s_delay_alu instid0(VALU_DEP_1) | instskip(NEXT) | instid1(VALU_DEP_1)
	v_fmaak_f32 v1, s11, v0, 0x3ca908c9
	v_fmaak_f32 v1, v0, v1, 0xbd5c1c4e
	s_delay_alu instid0(VALU_DEP_1) | instskip(NEXT) | instid1(VALU_DEP_1)
	v_fmaak_f32 v1, v0, v1, 0x3e088382
	v_fmaak_f32 v1, v0, v1, 0xbeaaaa99
	s_delay_alu instid0(VALU_DEP_1) | instskip(NEXT) | instid1(VALU_DEP_1)
	v_mul_f32_e64 v1, |v47|, v1
	v_fma_f32 v122, v0, v1, |v47|
.LBB86_36:                              ;   in Loop: Header=BB86_8 Depth=1
	s_wait_alu 0xfffe
	s_or_b32 exec_lo, exec_lo, s12
	v_add_nc_u32_e32 v0, v3, v84
	s_and_not1_b32 vcc_lo, exec_lo, s10
	s_delay_alu instid0(VALU_DEP_1)
	v_ashrrev_i32_e32 v1, 31, v0
	s_wait_alu 0xfffe
	s_cbranch_vccnz .LBB86_108
; %bb.37:                               ;   in Loop: Header=BB86_8 Depth=1
	s_delay_alu instid0(VALU_DEP_1) | instskip(NEXT) | instid1(VALU_DEP_1)
	v_lshlrev_b64_e32 v[110:111], 1, v[0:1]
	v_add_co_u32 v110, vcc_lo, s40, v110
	s_wait_alu 0xfffd
	s_delay_alu instid0(VALU_DEP_2) | instskip(SKIP_3) | instid1(VALU_DEP_1)
	v_add_co_ci_u32_e64 v111, null, s41, v111, vcc_lo
	global_load_u16 v110, v[110:111], off
	s_wait_loadcnt 0x0
	v_cvt_f32_f16_e32 v110, v110
	v_mul_f32_e32 v110, v51, v110
	v_cmp_ngt_f32_e64 s12, 0x3f200000, |v109|
                                        ; implicit-def: $vgpr123
	s_and_saveexec_b32 s13, s12
	s_wait_alu 0xfffe
	s_xor_b32 s12, exec_lo, s13
	s_cbranch_execz .LBB86_39
.LBB86_38:                              ;   in Loop: Header=BB86_8 Depth=1
	v_add_f32_e64 v111, |v109|, |v109|
	s_delay_alu instid0(VALU_DEP_1) | instskip(SKIP_1) | instid1(VALU_DEP_2)
	v_mul_f32_e32 v123, 0x3fb8aa3b, v111
	v_cmp_ngt_f32_e32 vcc_lo, 0xc2ce8ed0, v111
	v_rndne_f32_e32 v124, v123
	v_fma_f32 v127, 0x3fb8aa3b, v111, -v123
	s_delay_alu instid0(VALU_DEP_2) | instskip(NEXT) | instid1(VALU_DEP_2)
	v_sub_f32_e32 v123, v123, v124
	v_fmac_f32_e32 v127, 0x32a5705f, v111
	v_cvt_i32_f32_e32 v124, v124
	s_delay_alu instid0(VALU_DEP_2) | instskip(NEXT) | instid1(VALU_DEP_1)
	v_add_f32_e32 v123, v123, v127
	v_exp_f32_e32 v123, v123
	s_delay_alu instid0(TRANS32_DEP_1) | instskip(SKIP_1) | instid1(VALU_DEP_1)
	v_ldexp_f32 v123, v123, v124
	s_wait_alu 0xfffd
	v_cndmask_b32_e32 v123, 0, v123, vcc_lo
	v_cmp_nlt_f32_e32 vcc_lo, 0x42b17218, v111
	s_wait_alu 0xfffd
	s_delay_alu instid0(VALU_DEP_2) | instskip(NEXT) | instid1(VALU_DEP_1)
	v_cndmask_b32_e32 v111, 0x7f800000, v123, vcc_lo
	v_add_f32_e32 v111, 1.0, v111
	s_delay_alu instid0(VALU_DEP_1) | instskip(NEXT) | instid1(TRANS32_DEP_1)
	v_rcp_f32_e32 v111, v111
	v_fma_f32 v123, v111, -2.0, 1.0
.LBB86_39:                              ;   in Loop: Header=BB86_8 Depth=1
	s_wait_alu 0xfffe
	s_and_not1_saveexec_b32 s12, s12
	s_cbranch_execz .LBB86_42
; %bb.40:                               ;   in Loop: Header=BB86_8 Depth=1
	v_mul_f32_e32 v111, v109, v109
	s_delay_alu instid0(VALU_DEP_1) | instskip(NEXT) | instid1(VALU_DEP_1)
	v_fmaak_f32 v123, s11, v111, 0x3ca908c9
	v_fmaak_f32 v123, v111, v123, 0xbd5c1c4e
	s_delay_alu instid0(VALU_DEP_1) | instskip(NEXT) | instid1(VALU_DEP_1)
	v_fmaak_f32 v123, v111, v123, 0x3e088382
	v_fmaak_f32 v123, v111, v123, 0xbeaaaa99
	s_delay_alu instid0(VALU_DEP_1) | instskip(NEXT) | instid1(VALU_DEP_1)
	v_mul_f32_e64 v123, |v109|, v123
	v_fma_f32 v123, v111, v123, |v109|
	s_wait_alu 0xfffe
	s_or_b32 exec_lo, exec_lo, s12
	s_delay_alu instid0(SALU_CYCLE_1)
	s_and_not1_b32 vcc_lo, exec_lo, s10
	s_wait_alu 0xfffe
	s_cbranch_vccz .LBB86_43
.LBB86_41:                              ;   in Loop: Header=BB86_8 Depth=1
	v_mov_b32_e32 v111, 0
	s_branch .LBB86_44
.LBB86_42:                              ;   in Loop: Header=BB86_8 Depth=1
	s_wait_alu 0xfffe
	s_or_b32 exec_lo, exec_lo, s12
	s_delay_alu instid0(SALU_CYCLE_1)
	s_and_not1_b32 vcc_lo, exec_lo, s10
	s_wait_alu 0xfffe
	s_cbranch_vccnz .LBB86_41
.LBB86_43:                              ;   in Loop: Header=BB86_8 Depth=1
	v_lshlrev_b64_e32 v[0:1], 1, v[0:1]
	s_delay_alu instid0(VALU_DEP_1) | instskip(SKIP_1) | instid1(VALU_DEP_2)
	v_add_co_u32 v0, vcc_lo, s40, v0
	s_wait_alu 0xfffd
	v_add_co_ci_u32_e64 v1, null, s41, v1, vcc_lo
	global_load_u16 v0, v[0:1], off offset:64
	s_wait_loadcnt 0x0
	v_cvt_f32_f16_e32 v0, v0
	s_delay_alu instid0(VALU_DEP_1)
	v_mul_f32_e32 v111, v51, v0
.LBB86_44:                              ;   in Loop: Header=BB86_8 Depth=1
	v_bfi_b32 v0, 0x7fffffff, v122, v47
	v_bfi_b32 v1, 0x7fffffff, v123, v109
	v_cmp_ngt_f32_e64 s12, 0x3f200000, |v45|
                                        ; implicit-def: $vgpr122
	s_delay_alu instid0(VALU_DEP_2) | instskip(NEXT) | instid1(VALU_DEP_1)
	v_dual_fmac_f32 v110, s15, v0 :: v_dual_fmac_f32 v111, s15, v1
	v_dual_add_f32 v0, 0x40051340, v110 :: v_dual_add_f32 v1, 0x40051340, v111
	s_delay_alu instid0(VALU_DEP_1) | instskip(SKIP_3) | instid1(VALU_DEP_1)
	v_max3_num_f32 v0, v105, v0, v1
	ds_bpermute_b32 v1, v2, v0
	s_wait_dscnt 0x0
	v_max_num_f32_e32 v1, v1, v1
	v_max_num_f32_e32 v0, v0, v1
	ds_bpermute_b32 v1, v117, v0
	s_wait_dscnt 0x0
	v_max_num_f32_e32 v1, v1, v1
	s_delay_alu instid0(VALU_DEP_1) | instskip(SKIP_3) | instid1(VALU_DEP_1)
	v_max_num_f32_e32 v0, v0, v1
	ds_bpermute_b32 v1, v116, v0
	s_wait_dscnt 0x0
	v_max_num_f32_e32 v1, v1, v1
	v_max_num_f32_e32 v0, v0, v1
	ds_bpermute_b32 v1, v113, v0
	s_wait_dscnt 0x0
	v_max_num_f32_e32 v1, v1, v1
	s_delay_alu instid0(VALU_DEP_1)
	v_max_num_f32_e32 v129, v0, v1
	ds_bpermute_b32 v130, v112, v129
	s_and_saveexec_b32 s13, s12
	s_wait_alu 0xfffe
	s_xor_b32 s12, exec_lo, s13
	s_cbranch_execz .LBB86_46
; %bb.45:                               ;   in Loop: Header=BB86_8 Depth=1
	v_add_f32_e64 v0, |v45|, |v45|
	s_delay_alu instid0(VALU_DEP_1) | instskip(SKIP_1) | instid1(VALU_DEP_2)
	v_mul_f32_e32 v1, 0x3fb8aa3b, v0
	v_cmp_ngt_f32_e32 vcc_lo, 0xc2ce8ed0, v0
	v_rndne_f32_e32 v47, v1
	v_fma_f32 v109, 0x3fb8aa3b, v0, -v1
	s_delay_alu instid0(VALU_DEP_2) | instskip(NEXT) | instid1(VALU_DEP_2)
	v_sub_f32_e32 v1, v1, v47
	v_fmac_f32_e32 v109, 0x32a5705f, v0
	v_cvt_i32_f32_e32 v47, v47
	s_delay_alu instid0(VALU_DEP_2) | instskip(NEXT) | instid1(VALU_DEP_1)
	v_add_f32_e32 v1, v1, v109
	v_exp_f32_e32 v1, v1
	s_delay_alu instid0(TRANS32_DEP_1) | instskip(SKIP_1) | instid1(VALU_DEP_1)
	v_ldexp_f32 v1, v1, v47
	s_wait_alu 0xfffd
	v_cndmask_b32_e32 v1, 0, v1, vcc_lo
	v_cmp_nlt_f32_e32 vcc_lo, 0x42b17218, v0
	s_wait_alu 0xfffd
	s_delay_alu instid0(VALU_DEP_2) | instskip(NEXT) | instid1(VALU_DEP_1)
	v_cndmask_b32_e32 v0, 0x7f800000, v1, vcc_lo
	v_add_f32_e32 v0, 1.0, v0
	s_delay_alu instid0(VALU_DEP_1) | instskip(NEXT) | instid1(TRANS32_DEP_1)
	v_rcp_f32_e32 v0, v0
	v_fma_f32 v122, v0, -2.0, 1.0
.LBB86_46:                              ;   in Loop: Header=BB86_8 Depth=1
	s_wait_alu 0xfffe
	s_and_not1_saveexec_b32 s12, s12
	s_cbranch_execz .LBB86_48
; %bb.47:                               ;   in Loop: Header=BB86_8 Depth=1
	v_mul_f32_e32 v0, v45, v45
	s_delay_alu instid0(VALU_DEP_1) | instskip(NEXT) | instid1(VALU_DEP_1)
	v_fmaak_f32 v1, s11, v0, 0x3ca908c9
	v_fmaak_f32 v1, v0, v1, 0xbd5c1c4e
	s_delay_alu instid0(VALU_DEP_1) | instskip(NEXT) | instid1(VALU_DEP_1)
	v_fmaak_f32 v1, v0, v1, 0x3e088382
	v_fmaak_f32 v1, v0, v1, 0xbeaaaa99
	s_delay_alu instid0(VALU_DEP_1) | instskip(NEXT) | instid1(VALU_DEP_1)
	v_mul_f32_e64 v1, |v45|, v1
	v_fma_f32 v122, v0, v1, |v45|
.LBB86_48:                              ;   in Loop: Header=BB86_8 Depth=1
	s_wait_alu 0xfffe
	s_or_b32 exec_lo, exec_lo, s12
	v_add_nc_u32_e32 v0, v3, v85
	s_and_not1_b32 vcc_lo, exec_lo, s10
	s_delay_alu instid0(VALU_DEP_1)
	v_ashrrev_i32_e32 v1, 31, v0
	s_wait_alu 0xfffe
	s_cbranch_vccnz .LBB86_109
; %bb.49:                               ;   in Loop: Header=BB86_8 Depth=1
	s_delay_alu instid0(VALU_DEP_1) | instskip(NEXT) | instid1(VALU_DEP_1)
	v_lshlrev_b64_e32 v[123:124], 1, v[0:1]
	v_add_co_u32 v123, vcc_lo, s40, v123
	s_wait_alu 0xfffd
	s_delay_alu instid0(VALU_DEP_2) | instskip(SKIP_3) | instid1(VALU_DEP_1)
	v_add_co_ci_u32_e64 v124, null, s41, v124, vcc_lo
	global_load_u16 v47, v[123:124], off
	s_wait_loadcnt 0x0
	v_cvt_f32_f16_e32 v47, v47
	v_mul_f32_e32 v47, v51, v47
	v_cmp_ngt_f32_e64 s12, 0x3f200000, |v46|
                                        ; implicit-def: $vgpr123
	s_and_saveexec_b32 s13, s12
	s_wait_alu 0xfffe
	s_xor_b32 s12, exec_lo, s13
	s_cbranch_execz .LBB86_51
.LBB86_50:                              ;   in Loop: Header=BB86_8 Depth=1
	v_add_f32_e64 v109, |v46|, |v46|
	s_delay_alu instid0(VALU_DEP_1) | instskip(SKIP_1) | instid1(VALU_DEP_2)
	v_mul_f32_e32 v123, 0x3fb8aa3b, v109
	v_cmp_ngt_f32_e32 vcc_lo, 0xc2ce8ed0, v109
	v_rndne_f32_e32 v124, v123
	v_fma_f32 v127, 0x3fb8aa3b, v109, -v123
	s_delay_alu instid0(VALU_DEP_2) | instskip(NEXT) | instid1(VALU_DEP_2)
	v_sub_f32_e32 v123, v123, v124
	v_fmac_f32_e32 v127, 0x32a5705f, v109
	v_cvt_i32_f32_e32 v124, v124
	s_delay_alu instid0(VALU_DEP_2) | instskip(NEXT) | instid1(VALU_DEP_1)
	v_add_f32_e32 v123, v123, v127
	v_exp_f32_e32 v123, v123
	s_delay_alu instid0(TRANS32_DEP_1) | instskip(SKIP_1) | instid1(VALU_DEP_1)
	v_ldexp_f32 v123, v123, v124
	s_wait_alu 0xfffd
	v_cndmask_b32_e32 v123, 0, v123, vcc_lo
	v_cmp_nlt_f32_e32 vcc_lo, 0x42b17218, v109
	s_wait_alu 0xfffd
	s_delay_alu instid0(VALU_DEP_2) | instskip(NEXT) | instid1(VALU_DEP_1)
	v_cndmask_b32_e32 v109, 0x7f800000, v123, vcc_lo
	v_add_f32_e32 v109, 1.0, v109
	s_delay_alu instid0(VALU_DEP_1) | instskip(NEXT) | instid1(TRANS32_DEP_1)
	v_rcp_f32_e32 v109, v109
	v_fma_f32 v123, v109, -2.0, 1.0
.LBB86_51:                              ;   in Loop: Header=BB86_8 Depth=1
	s_wait_alu 0xfffe
	s_and_not1_saveexec_b32 s12, s12
	s_cbranch_execz .LBB86_54
; %bb.52:                               ;   in Loop: Header=BB86_8 Depth=1
	v_mul_f32_e32 v109, v46, v46
	s_delay_alu instid0(VALU_DEP_1) | instskip(NEXT) | instid1(VALU_DEP_1)
	v_fmaak_f32 v123, s11, v109, 0x3ca908c9
	v_fmaak_f32 v123, v109, v123, 0xbd5c1c4e
	s_delay_alu instid0(VALU_DEP_1) | instskip(NEXT) | instid1(VALU_DEP_1)
	v_fmaak_f32 v123, v109, v123, 0x3e088382
	v_fmaak_f32 v123, v109, v123, 0xbeaaaa99
	s_delay_alu instid0(VALU_DEP_1) | instskip(NEXT) | instid1(VALU_DEP_1)
	v_mul_f32_e64 v123, |v46|, v123
	v_fma_f32 v123, v109, v123, |v46|
	s_wait_alu 0xfffe
	s_or_b32 exec_lo, exec_lo, s12
	s_delay_alu instid0(SALU_CYCLE_1)
	s_and_not1_b32 vcc_lo, exec_lo, s10
	s_wait_alu 0xfffe
	s_cbranch_vccz .LBB86_55
.LBB86_53:                              ;   in Loop: Header=BB86_8 Depth=1
	v_mov_b32_e32 v109, 0
	s_branch .LBB86_56
.LBB86_54:                              ;   in Loop: Header=BB86_8 Depth=1
	s_wait_alu 0xfffe
	s_or_b32 exec_lo, exec_lo, s12
	s_delay_alu instid0(SALU_CYCLE_1)
	s_and_not1_b32 vcc_lo, exec_lo, s10
	s_wait_alu 0xfffe
	s_cbranch_vccnz .LBB86_53
.LBB86_55:                              ;   in Loop: Header=BB86_8 Depth=1
	v_lshlrev_b64_e32 v[0:1], 1, v[0:1]
	s_delay_alu instid0(VALU_DEP_1) | instskip(SKIP_1) | instid1(VALU_DEP_2)
	v_add_co_u32 v0, vcc_lo, s40, v0
	s_wait_alu 0xfffd
	v_add_co_ci_u32_e64 v1, null, s41, v1, vcc_lo
	global_load_u16 v0, v[0:1], off offset:64
	s_wait_loadcnt 0x0
	v_cvt_f32_f16_e32 v0, v0
	s_delay_alu instid0(VALU_DEP_1)
	v_mul_f32_e32 v109, v51, v0
.LBB86_56:                              ;   in Loop: Header=BB86_8 Depth=1
	v_bfi_b32 v0, 0x7fffffff, v122, v45
	v_bfi_b32 v1, 0x7fffffff, v123, v46
	v_cmp_ngt_f32_e64 s12, 0x3f200000, |v43|
                                        ; implicit-def: $vgpr122
	s_delay_alu instid0(VALU_DEP_3) | instskip(NEXT) | instid1(VALU_DEP_1)
	v_fmac_f32_e32 v47, s15, v0
	v_dual_fmac_f32 v109, s15, v1 :: v_dual_add_f32 v0, 0x40051340, v47
	s_delay_alu instid0(VALU_DEP_1) | instskip(NEXT) | instid1(VALU_DEP_1)
	v_add_f32_e32 v1, 0x40051340, v109
	v_max3_num_f32 v0, v104, v0, v1
	ds_bpermute_b32 v1, v2, v0
	s_wait_dscnt 0x0
	v_max_num_f32_e32 v1, v1, v1
	s_delay_alu instid0(VALU_DEP_1) | instskip(SKIP_3) | instid1(VALU_DEP_1)
	v_max_num_f32_e32 v0, v0, v1
	ds_bpermute_b32 v1, v117, v0
	s_wait_dscnt 0x0
	v_max_num_f32_e32 v1, v1, v1
	v_max_num_f32_e32 v0, v0, v1
	ds_bpermute_b32 v1, v116, v0
	s_wait_dscnt 0x0
	v_max_num_f32_e32 v1, v1, v1
	s_delay_alu instid0(VALU_DEP_1) | instskip(SKIP_3) | instid1(VALU_DEP_1)
	v_max_num_f32_e32 v0, v0, v1
	ds_bpermute_b32 v1, v113, v0
	s_wait_dscnt 0x0
	v_max_num_f32_e32 v1, v1, v1
	v_max_num_f32_e32 v131, v0, v1
	ds_bpermute_b32 v132, v112, v131
	s_and_saveexec_b32 s13, s12
	s_wait_alu 0xfffe
	s_xor_b32 s12, exec_lo, s13
	s_cbranch_execz .LBB86_58
; %bb.57:                               ;   in Loop: Header=BB86_8 Depth=1
	v_add_f32_e64 v0, |v43|, |v43|
	s_delay_alu instid0(VALU_DEP_1) | instskip(SKIP_1) | instid1(VALU_DEP_2)
	v_mul_f32_e32 v1, 0x3fb8aa3b, v0
	v_cmp_ngt_f32_e32 vcc_lo, 0xc2ce8ed0, v0
	v_rndne_f32_e32 v45, v1
	v_fma_f32 v46, 0x3fb8aa3b, v0, -v1
	s_delay_alu instid0(VALU_DEP_1) | instskip(SKIP_1) | instid1(VALU_DEP_2)
	v_dual_sub_f32 v1, v1, v45 :: v_dual_fmac_f32 v46, 0x32a5705f, v0
	v_cvt_i32_f32_e32 v45, v45
	v_add_f32_e32 v1, v1, v46
	s_delay_alu instid0(VALU_DEP_1) | instskip(NEXT) | instid1(TRANS32_DEP_1)
	v_exp_f32_e32 v1, v1
	v_ldexp_f32 v1, v1, v45
	s_wait_alu 0xfffd
	s_delay_alu instid0(VALU_DEP_1) | instskip(SKIP_2) | instid1(VALU_DEP_2)
	v_cndmask_b32_e32 v1, 0, v1, vcc_lo
	v_cmp_nlt_f32_e32 vcc_lo, 0x42b17218, v0
	s_wait_alu 0xfffd
	v_cndmask_b32_e32 v0, 0x7f800000, v1, vcc_lo
	s_delay_alu instid0(VALU_DEP_1) | instskip(NEXT) | instid1(VALU_DEP_1)
	v_add_f32_e32 v0, 1.0, v0
	v_rcp_f32_e32 v0, v0
	s_delay_alu instid0(TRANS32_DEP_1)
	v_fma_f32 v122, v0, -2.0, 1.0
.LBB86_58:                              ;   in Loop: Header=BB86_8 Depth=1
	s_wait_alu 0xfffe
	s_and_not1_saveexec_b32 s12, s12
	s_cbranch_execz .LBB86_60
; %bb.59:                               ;   in Loop: Header=BB86_8 Depth=1
	v_mul_f32_e32 v0, v43, v43
	s_delay_alu instid0(VALU_DEP_1) | instskip(NEXT) | instid1(VALU_DEP_1)
	v_fmaak_f32 v1, s11, v0, 0x3ca908c9
	v_fmaak_f32 v1, v0, v1, 0xbd5c1c4e
	s_delay_alu instid0(VALU_DEP_1) | instskip(NEXT) | instid1(VALU_DEP_1)
	v_fmaak_f32 v1, v0, v1, 0x3e088382
	v_fmaak_f32 v1, v0, v1, 0xbeaaaa99
	s_delay_alu instid0(VALU_DEP_1) | instskip(NEXT) | instid1(VALU_DEP_1)
	v_mul_f32_e64 v1, |v43|, v1
	v_fma_f32 v122, v0, v1, |v43|
.LBB86_60:                              ;   in Loop: Header=BB86_8 Depth=1
	s_wait_alu 0xfffe
	s_or_b32 exec_lo, exec_lo, s12
	v_add_nc_u32_e32 v0, v3, v86
	s_and_not1_b32 vcc_lo, exec_lo, s10
	s_delay_alu instid0(VALU_DEP_1)
	v_ashrrev_i32_e32 v1, 31, v0
	s_wait_alu 0xfffe
	s_cbranch_vccnz .LBB86_110
; %bb.61:                               ;   in Loop: Header=BB86_8 Depth=1
	s_delay_alu instid0(VALU_DEP_1) | instskip(NEXT) | instid1(VALU_DEP_1)
	v_lshlrev_b64_e32 v[45:46], 1, v[0:1]
	v_add_co_u32 v45, vcc_lo, s40, v45
	s_wait_alu 0xfffd
	s_delay_alu instid0(VALU_DEP_2) | instskip(SKIP_3) | instid1(VALU_DEP_1)
	v_add_co_ci_u32_e64 v46, null, s41, v46, vcc_lo
	global_load_u16 v45, v[45:46], off
	s_wait_loadcnt 0x0
	v_cvt_f32_f16_e32 v45, v45
	v_mul_f32_e32 v45, v51, v45
	v_cmp_ngt_f32_e64 s12, 0x3f200000, |v44|
                                        ; implicit-def: $vgpr123
	s_and_saveexec_b32 s13, s12
	s_wait_alu 0xfffe
	s_xor_b32 s12, exec_lo, s13
	s_cbranch_execz .LBB86_63
.LBB86_62:                              ;   in Loop: Header=BB86_8 Depth=1
	v_add_f32_e64 v46, |v44|, |v44|
	s_delay_alu instid0(VALU_DEP_1) | instskip(SKIP_1) | instid1(VALU_DEP_2)
	v_mul_f32_e32 v123, 0x3fb8aa3b, v46
	v_cmp_ngt_f32_e32 vcc_lo, 0xc2ce8ed0, v46
	v_rndne_f32_e32 v124, v123
	v_fma_f32 v127, 0x3fb8aa3b, v46, -v123
	s_delay_alu instid0(VALU_DEP_2) | instskip(NEXT) | instid1(VALU_DEP_2)
	v_sub_f32_e32 v123, v123, v124
	v_fmac_f32_e32 v127, 0x32a5705f, v46
	v_cvt_i32_f32_e32 v124, v124
	s_delay_alu instid0(VALU_DEP_2) | instskip(NEXT) | instid1(VALU_DEP_1)
	v_add_f32_e32 v123, v123, v127
	v_exp_f32_e32 v123, v123
	s_delay_alu instid0(TRANS32_DEP_1) | instskip(SKIP_1) | instid1(VALU_DEP_1)
	v_ldexp_f32 v123, v123, v124
	s_wait_alu 0xfffd
	v_cndmask_b32_e32 v123, 0, v123, vcc_lo
	v_cmp_nlt_f32_e32 vcc_lo, 0x42b17218, v46
	s_wait_alu 0xfffd
	s_delay_alu instid0(VALU_DEP_2) | instskip(NEXT) | instid1(VALU_DEP_1)
	v_cndmask_b32_e32 v46, 0x7f800000, v123, vcc_lo
	v_add_f32_e32 v46, 1.0, v46
	s_delay_alu instid0(VALU_DEP_1) | instskip(NEXT) | instid1(TRANS32_DEP_1)
	v_rcp_f32_e32 v46, v46
	v_fma_f32 v123, v46, -2.0, 1.0
.LBB86_63:                              ;   in Loop: Header=BB86_8 Depth=1
	s_wait_alu 0xfffe
	s_and_not1_saveexec_b32 s12, s12
	s_cbranch_execz .LBB86_66
; %bb.64:                               ;   in Loop: Header=BB86_8 Depth=1
	v_mul_f32_e32 v46, v44, v44
	s_delay_alu instid0(VALU_DEP_1) | instskip(NEXT) | instid1(VALU_DEP_1)
	v_fmaak_f32 v123, s11, v46, 0x3ca908c9
	v_fmaak_f32 v123, v46, v123, 0xbd5c1c4e
	s_delay_alu instid0(VALU_DEP_1) | instskip(NEXT) | instid1(VALU_DEP_1)
	v_fmaak_f32 v123, v46, v123, 0x3e088382
	v_fmaak_f32 v123, v46, v123, 0xbeaaaa99
	s_delay_alu instid0(VALU_DEP_1) | instskip(NEXT) | instid1(VALU_DEP_1)
	v_mul_f32_e64 v123, |v44|, v123
	v_fma_f32 v123, v46, v123, |v44|
	s_wait_alu 0xfffe
	s_or_b32 exec_lo, exec_lo, s12
	s_delay_alu instid0(SALU_CYCLE_1)
	s_and_not1_b32 vcc_lo, exec_lo, s10
	s_wait_alu 0xfffe
	s_cbranch_vccz .LBB86_67
.LBB86_65:                              ;   in Loop: Header=BB86_8 Depth=1
	v_mov_b32_e32 v46, 0
	s_branch .LBB86_68
.LBB86_66:                              ;   in Loop: Header=BB86_8 Depth=1
	s_wait_alu 0xfffe
	s_or_b32 exec_lo, exec_lo, s12
	s_delay_alu instid0(SALU_CYCLE_1)
	s_and_not1_b32 vcc_lo, exec_lo, s10
	s_wait_alu 0xfffe
	s_cbranch_vccnz .LBB86_65
.LBB86_67:                              ;   in Loop: Header=BB86_8 Depth=1
	v_lshlrev_b64_e32 v[0:1], 1, v[0:1]
	s_delay_alu instid0(VALU_DEP_1) | instskip(SKIP_1) | instid1(VALU_DEP_2)
	v_add_co_u32 v0, vcc_lo, s40, v0
	s_wait_alu 0xfffd
	v_add_co_ci_u32_e64 v1, null, s41, v1, vcc_lo
	global_load_u16 v0, v[0:1], off offset:64
	s_wait_loadcnt 0x0
	v_cvt_f32_f16_e32 v0, v0
	s_delay_alu instid0(VALU_DEP_1)
	v_mul_f32_e32 v46, v51, v0
.LBB86_68:                              ;   in Loop: Header=BB86_8 Depth=1
	v_bfi_b32 v0, 0x7fffffff, v122, v43
	v_bfi_b32 v1, 0x7fffffff, v123, v44
	v_cmp_ngt_f32_e64 s12, 0x3f200000, |v23|
                                        ; implicit-def: $vgpr123
	s_delay_alu instid0(VALU_DEP_2) | instskip(NEXT) | instid1(VALU_DEP_1)
	v_dual_fmac_f32 v45, s15, v0 :: v_dual_fmac_f32 v46, s15, v1
	v_dual_add_f32 v0, 0x40051340, v45 :: v_dual_add_f32 v1, 0x40051340, v46
	s_delay_alu instid0(VALU_DEP_1) | instskip(SKIP_3) | instid1(VALU_DEP_1)
	v_max3_num_f32 v0, v102, v0, v1
	ds_bpermute_b32 v1, v2, v0
	s_wait_dscnt 0x0
	v_max_num_f32_e32 v1, v1, v1
	v_max_num_f32_e32 v0, v0, v1
	ds_bpermute_b32 v1, v117, v0
	s_wait_dscnt 0x0
	v_max_num_f32_e32 v1, v1, v1
	s_delay_alu instid0(VALU_DEP_1) | instskip(SKIP_3) | instid1(VALU_DEP_1)
	v_max_num_f32_e32 v0, v0, v1
	ds_bpermute_b32 v1, v116, v0
	s_wait_dscnt 0x0
	v_max_num_f32_e32 v1, v1, v1
	v_max_num_f32_e32 v0, v0, v1
	ds_bpermute_b32 v1, v113, v0
	s_wait_dscnt 0x0
	v_max_num_f32_e32 v1, v1, v1
	s_delay_alu instid0(VALU_DEP_1)
	v_max_num_f32_e32 v44, v0, v1
	ds_bpermute_b32 v133, v112, v44
	s_and_saveexec_b32 s13, s12
	s_wait_alu 0xfffe
	s_xor_b32 s12, exec_lo, s13
	s_cbranch_execz .LBB86_70
; %bb.69:                               ;   in Loop: Header=BB86_8 Depth=1
	v_add_f32_e64 v0, |v23|, |v23|
	s_delay_alu instid0(VALU_DEP_1) | instskip(SKIP_1) | instid1(VALU_DEP_2)
	v_mul_f32_e32 v1, 0x3fb8aa3b, v0
	v_cmp_ngt_f32_e32 vcc_lo, 0xc2ce8ed0, v0
	v_rndne_f32_e32 v43, v1
	v_fma_f32 v122, 0x3fb8aa3b, v0, -v1
	s_delay_alu instid0(VALU_DEP_1) | instskip(SKIP_1) | instid1(VALU_DEP_2)
	v_dual_sub_f32 v1, v1, v43 :: v_dual_fmac_f32 v122, 0x32a5705f, v0
	v_cvt_i32_f32_e32 v43, v43
	v_add_f32_e32 v1, v1, v122
	s_delay_alu instid0(VALU_DEP_1) | instskip(NEXT) | instid1(TRANS32_DEP_1)
	v_exp_f32_e32 v1, v1
	v_ldexp_f32 v1, v1, v43
	s_wait_alu 0xfffd
	s_delay_alu instid0(VALU_DEP_1) | instskip(SKIP_2) | instid1(VALU_DEP_2)
	v_cndmask_b32_e32 v1, 0, v1, vcc_lo
	v_cmp_nlt_f32_e32 vcc_lo, 0x42b17218, v0
	s_wait_alu 0xfffd
	v_cndmask_b32_e32 v0, 0x7f800000, v1, vcc_lo
	s_delay_alu instid0(VALU_DEP_1) | instskip(NEXT) | instid1(VALU_DEP_1)
	v_add_f32_e32 v0, 1.0, v0
	v_rcp_f32_e32 v0, v0
	s_delay_alu instid0(TRANS32_DEP_1)
	v_fma_f32 v123, v0, -2.0, 1.0
.LBB86_70:                              ;   in Loop: Header=BB86_8 Depth=1
	s_wait_alu 0xfffe
	s_and_not1_saveexec_b32 s12, s12
	s_cbranch_execz .LBB86_72
; %bb.71:                               ;   in Loop: Header=BB86_8 Depth=1
	v_mul_f32_e32 v0, v23, v23
	s_delay_alu instid0(VALU_DEP_1) | instskip(NEXT) | instid1(VALU_DEP_1)
	v_fmaak_f32 v1, s11, v0, 0x3ca908c9
	v_fmaak_f32 v1, v0, v1, 0xbd5c1c4e
	s_delay_alu instid0(VALU_DEP_1) | instskip(NEXT) | instid1(VALU_DEP_1)
	v_fmaak_f32 v1, v0, v1, 0x3e088382
	v_fmaak_f32 v1, v0, v1, 0xbeaaaa99
	s_delay_alu instid0(VALU_DEP_1) | instskip(NEXT) | instid1(VALU_DEP_1)
	v_mul_f32_e64 v1, |v23|, v1
	v_fma_f32 v123, v0, v1, |v23|
.LBB86_72:                              ;   in Loop: Header=BB86_8 Depth=1
	s_wait_alu 0xfffe
	s_or_b32 exec_lo, exec_lo, s12
	v_add_nc_u32_e32 v0, v3, v87
	s_and_not1_b32 vcc_lo, exec_lo, s10
	s_delay_alu instid0(VALU_DEP_1)
	v_ashrrev_i32_e32 v1, 31, v0
	s_wait_alu 0xfffe
	s_cbranch_vccnz .LBB86_111
; %bb.73:                               ;   in Loop: Header=BB86_8 Depth=1
	s_delay_alu instid0(VALU_DEP_1) | instskip(NEXT) | instid1(VALU_DEP_1)
	v_lshlrev_b64_e32 v[127:128], 1, v[0:1]
	v_add_co_u32 v127, vcc_lo, s40, v127
	s_wait_alu 0xfffd
	s_delay_alu instid0(VALU_DEP_2) | instskip(SKIP_3) | instid1(VALU_DEP_1)
	v_add_co_ci_u32_e64 v128, null, s41, v128, vcc_lo
	global_load_u16 v43, v[127:128], off
	s_wait_loadcnt 0x0
	v_cvt_f32_f16_e32 v43, v43
	v_mul_f32_e32 v43, v51, v43
	v_cmp_ngt_f32_e64 s12, 0x3f200000, |v42|
                                        ; implicit-def: $vgpr124
	s_and_saveexec_b32 s13, s12
	s_wait_alu 0xfffe
	s_xor_b32 s12, exec_lo, s13
	s_cbranch_execz .LBB86_75
.LBB86_74:                              ;   in Loop: Header=BB86_8 Depth=1
	v_add_f32_e64 v122, |v42|, |v42|
	s_delay_alu instid0(VALU_DEP_1) | instskip(SKIP_1) | instid1(VALU_DEP_2)
	v_mul_f32_e32 v124, 0x3fb8aa3b, v122
	v_cmp_ngt_f32_e32 vcc_lo, 0xc2ce8ed0, v122
	v_rndne_f32_e32 v127, v124
	v_fma_f32 v128, 0x3fb8aa3b, v122, -v124
	s_delay_alu instid0(VALU_DEP_2) | instskip(NEXT) | instid1(VALU_DEP_2)
	v_sub_f32_e32 v124, v124, v127
	v_fmac_f32_e32 v128, 0x32a5705f, v122
	v_cvt_i32_f32_e32 v127, v127
	s_delay_alu instid0(VALU_DEP_2) | instskip(NEXT) | instid1(VALU_DEP_1)
	v_add_f32_e32 v124, v124, v128
	v_exp_f32_e32 v124, v124
	s_delay_alu instid0(TRANS32_DEP_1) | instskip(SKIP_1) | instid1(VALU_DEP_1)
	v_ldexp_f32 v124, v124, v127
	s_wait_alu 0xfffd
	v_cndmask_b32_e32 v124, 0, v124, vcc_lo
	v_cmp_nlt_f32_e32 vcc_lo, 0x42b17218, v122
	s_wait_alu 0xfffd
	s_delay_alu instid0(VALU_DEP_2) | instskip(NEXT) | instid1(VALU_DEP_1)
	v_cndmask_b32_e32 v122, 0x7f800000, v124, vcc_lo
	v_add_f32_e32 v122, 1.0, v122
	s_delay_alu instid0(VALU_DEP_1) | instskip(NEXT) | instid1(TRANS32_DEP_1)
	v_rcp_f32_e32 v122, v122
	v_fma_f32 v124, v122, -2.0, 1.0
.LBB86_75:                              ;   in Loop: Header=BB86_8 Depth=1
	s_wait_alu 0xfffe
	s_and_not1_saveexec_b32 s12, s12
	s_cbranch_execz .LBB86_78
; %bb.76:                               ;   in Loop: Header=BB86_8 Depth=1
	v_mul_f32_e32 v122, v42, v42
	s_delay_alu instid0(VALU_DEP_1) | instskip(NEXT) | instid1(VALU_DEP_1)
	v_fmaak_f32 v124, s11, v122, 0x3ca908c9
	v_fmaak_f32 v124, v122, v124, 0xbd5c1c4e
	s_delay_alu instid0(VALU_DEP_1) | instskip(NEXT) | instid1(VALU_DEP_1)
	v_fmaak_f32 v124, v122, v124, 0x3e088382
	v_fmaak_f32 v124, v122, v124, 0xbeaaaa99
	s_delay_alu instid0(VALU_DEP_1) | instskip(NEXT) | instid1(VALU_DEP_1)
	v_mul_f32_e64 v124, |v42|, v124
	v_fma_f32 v124, v122, v124, |v42|
	s_wait_alu 0xfffe
	s_or_b32 exec_lo, exec_lo, s12
	s_delay_alu instid0(SALU_CYCLE_1)
	s_and_not1_b32 vcc_lo, exec_lo, s10
	s_wait_alu 0xfffe
	s_cbranch_vccz .LBB86_79
.LBB86_77:                              ;   in Loop: Header=BB86_8 Depth=1
	v_mov_b32_e32 v122, 0
	s_branch .LBB86_80
.LBB86_78:                              ;   in Loop: Header=BB86_8 Depth=1
	s_wait_alu 0xfffe
	s_or_b32 exec_lo, exec_lo, s12
	s_delay_alu instid0(SALU_CYCLE_1)
	s_and_not1_b32 vcc_lo, exec_lo, s10
	s_wait_alu 0xfffe
	s_cbranch_vccnz .LBB86_77
.LBB86_79:                              ;   in Loop: Header=BB86_8 Depth=1
	v_lshlrev_b64_e32 v[0:1], 1, v[0:1]
	s_delay_alu instid0(VALU_DEP_1) | instskip(SKIP_1) | instid1(VALU_DEP_2)
	v_add_co_u32 v0, vcc_lo, s40, v0
	s_wait_alu 0xfffd
	v_add_co_ci_u32_e64 v1, null, s41, v1, vcc_lo
	global_load_u16 v0, v[0:1], off offset:64
	s_wait_loadcnt 0x0
	v_cvt_f32_f16_e32 v0, v0
	s_delay_alu instid0(VALU_DEP_1)
	v_mul_f32_e32 v122, v51, v0
.LBB86_80:                              ;   in Loop: Header=BB86_8 Depth=1
	v_bfi_b32 v0, 0x7fffffff, v123, v23
	v_bfi_b32 v1, 0x7fffffff, v124, v42
	v_cmp_ngt_f32_e64 s12, 0x3f200000, |v6|
                                        ; implicit-def: $vgpr127
	s_delay_alu instid0(VALU_DEP_2) | instskip(NEXT) | instid1(VALU_DEP_1)
	v_dual_fmac_f32 v43, s15, v0 :: v_dual_fmac_f32 v122, s15, v1
	v_dual_add_f32 v0, 0x40051340, v43 :: v_dual_add_f32 v1, 0x40051340, v122
	s_delay_alu instid0(VALU_DEP_1) | instskip(SKIP_3) | instid1(VALU_DEP_1)
	v_max3_num_f32 v0, v99, v0, v1
	ds_bpermute_b32 v1, v2, v0
	s_wait_dscnt 0x0
	v_max_num_f32_e32 v1, v1, v1
	v_max_num_f32_e32 v0, v0, v1
	ds_bpermute_b32 v1, v117, v0
	s_wait_dscnt 0x0
	v_max_num_f32_e32 v1, v1, v1
	s_delay_alu instid0(VALU_DEP_1) | instskip(SKIP_3) | instid1(VALU_DEP_1)
	v_max_num_f32_e32 v0, v0, v1
	ds_bpermute_b32 v1, v116, v0
	s_wait_dscnt 0x0
	v_max_num_f32_e32 v1, v1, v1
	v_max_num_f32_e32 v0, v0, v1
	ds_bpermute_b32 v1, v113, v0
	s_wait_dscnt 0x0
	v_max_num_f32_e32 v1, v1, v1
	s_delay_alu instid0(VALU_DEP_1)
	v_max_num_f32_e32 v23, v0, v1
	ds_bpermute_b32 v42, v112, v23
	s_and_saveexec_b32 s13, s12
	s_wait_alu 0xfffe
	s_xor_b32 s12, exec_lo, s13
	s_cbranch_execz .LBB86_82
; %bb.81:                               ;   in Loop: Header=BB86_8 Depth=1
	v_add_f32_e64 v0, |v6|, |v6|
	s_delay_alu instid0(VALU_DEP_1) | instskip(SKIP_1) | instid1(VALU_DEP_2)
	v_mul_f32_e32 v1, 0x3fb8aa3b, v0
	v_cmp_ngt_f32_e32 vcc_lo, 0xc2ce8ed0, v0
	v_rndne_f32_e32 v123, v1
	v_fma_f32 v124, 0x3fb8aa3b, v0, -v1
	s_delay_alu instid0(VALU_DEP_1) | instskip(SKIP_1) | instid1(VALU_DEP_2)
	v_dual_sub_f32 v1, v1, v123 :: v_dual_fmac_f32 v124, 0x32a5705f, v0
	v_cvt_i32_f32_e32 v123, v123
	v_add_f32_e32 v1, v1, v124
	s_delay_alu instid0(VALU_DEP_1) | instskip(NEXT) | instid1(TRANS32_DEP_1)
	v_exp_f32_e32 v1, v1
	v_ldexp_f32 v1, v1, v123
	s_wait_alu 0xfffd
	s_delay_alu instid0(VALU_DEP_1) | instskip(SKIP_2) | instid1(VALU_DEP_2)
	v_cndmask_b32_e32 v1, 0, v1, vcc_lo
	v_cmp_nlt_f32_e32 vcc_lo, 0x42b17218, v0
	s_wait_alu 0xfffd
	v_cndmask_b32_e32 v0, 0x7f800000, v1, vcc_lo
	s_delay_alu instid0(VALU_DEP_1) | instskip(NEXT) | instid1(VALU_DEP_1)
	v_add_f32_e32 v0, 1.0, v0
	v_rcp_f32_e32 v0, v0
	s_delay_alu instid0(TRANS32_DEP_1)
	v_fma_f32 v127, v0, -2.0, 1.0
.LBB86_82:                              ;   in Loop: Header=BB86_8 Depth=1
	s_wait_alu 0xfffe
	s_and_not1_saveexec_b32 s12, s12
	s_cbranch_execz .LBB86_84
; %bb.83:                               ;   in Loop: Header=BB86_8 Depth=1
	v_mul_f32_e32 v0, v6, v6
	s_delay_alu instid0(VALU_DEP_1) | instskip(NEXT) | instid1(VALU_DEP_1)
	v_fmaak_f32 v1, s11, v0, 0x3ca908c9
	v_fmaak_f32 v1, v0, v1, 0xbd5c1c4e
	s_delay_alu instid0(VALU_DEP_1) | instskip(NEXT) | instid1(VALU_DEP_1)
	v_fmaak_f32 v1, v0, v1, 0x3e088382
	v_fmaak_f32 v1, v0, v1, 0xbeaaaa99
	s_delay_alu instid0(VALU_DEP_1) | instskip(NEXT) | instid1(VALU_DEP_1)
	v_mul_f32_e64 v1, |v6|, v1
	v_fma_f32 v127, v0, v1, |v6|
.LBB86_84:                              ;   in Loop: Header=BB86_8 Depth=1
	s_wait_alu 0xfffe
	s_or_b32 exec_lo, exec_lo, s12
	v_add_nc_u32_e32 v0, v3, v88
	s_and_not1_b32 vcc_lo, exec_lo, s10
	s_delay_alu instid0(VALU_DEP_1)
	v_ashrrev_i32_e32 v1, 31, v0
	s_wait_alu 0xfffe
	s_cbranch_vccnz .LBB86_112
; %bb.85:                               ;   in Loop: Header=BB86_8 Depth=1
	s_delay_alu instid0(VALU_DEP_1) | instskip(NEXT) | instid1(VALU_DEP_1)
	v_lshlrev_b64_e32 v[123:124], 1, v[0:1]
	v_add_co_u32 v123, vcc_lo, s40, v123
	s_wait_alu 0xfffd
	s_delay_alu instid0(VALU_DEP_2) | instskip(SKIP_3) | instid1(VALU_DEP_1)
	v_add_co_ci_u32_e64 v124, null, s41, v124, vcc_lo
	global_load_u16 v123, v[123:124], off
	s_wait_loadcnt 0x0
	v_cvt_f32_f16_e32 v123, v123
	v_mul_f32_e32 v123, v51, v123
	v_cmp_ngt_f32_e64 s12, 0x3f200000, |v22|
                                        ; implicit-def: $vgpr128
	s_and_saveexec_b32 s13, s12
	s_wait_alu 0xfffe
	s_xor_b32 s12, exec_lo, s13
	s_cbranch_execz .LBB86_87
.LBB86_86:                              ;   in Loop: Header=BB86_8 Depth=1
	v_add_f32_e64 v124, |v22|, |v22|
	s_delay_alu instid0(VALU_DEP_1) | instskip(SKIP_1) | instid1(VALU_DEP_2)
	v_mul_f32_e32 v128, 0x3fb8aa3b, v124
	v_cmp_ngt_f32_e32 vcc_lo, 0xc2ce8ed0, v124
	v_rndne_f32_e32 v134, v128
	v_fma_f32 v135, 0x3fb8aa3b, v124, -v128
	s_delay_alu instid0(VALU_DEP_1) | instskip(SKIP_1) | instid1(VALU_DEP_2)
	v_dual_sub_f32 v128, v128, v134 :: v_dual_fmac_f32 v135, 0x32a5705f, v124
	v_cvt_i32_f32_e32 v134, v134
	v_add_f32_e32 v128, v128, v135
	s_delay_alu instid0(VALU_DEP_1) | instskip(NEXT) | instid1(TRANS32_DEP_1)
	v_exp_f32_e32 v128, v128
	v_ldexp_f32 v128, v128, v134
	s_wait_alu 0xfffd
	s_delay_alu instid0(VALU_DEP_1) | instskip(SKIP_2) | instid1(VALU_DEP_2)
	v_cndmask_b32_e32 v128, 0, v128, vcc_lo
	v_cmp_nlt_f32_e32 vcc_lo, 0x42b17218, v124
	s_wait_alu 0xfffd
	v_cndmask_b32_e32 v124, 0x7f800000, v128, vcc_lo
	s_delay_alu instid0(VALU_DEP_1) | instskip(NEXT) | instid1(VALU_DEP_1)
	v_add_f32_e32 v124, 1.0, v124
	v_rcp_f32_e32 v124, v124
	s_delay_alu instid0(TRANS32_DEP_1)
	v_fma_f32 v128, v124, -2.0, 1.0
.LBB86_87:                              ;   in Loop: Header=BB86_8 Depth=1
	s_wait_alu 0xfffe
	s_and_not1_saveexec_b32 s12, s12
	s_cbranch_execz .LBB86_90
; %bb.88:                               ;   in Loop: Header=BB86_8 Depth=1
	v_mul_f32_e32 v124, v22, v22
	s_delay_alu instid0(VALU_DEP_1) | instskip(NEXT) | instid1(VALU_DEP_1)
	v_fmaak_f32 v128, s11, v124, 0x3ca908c9
	v_fmaak_f32 v128, v124, v128, 0xbd5c1c4e
	s_delay_alu instid0(VALU_DEP_1) | instskip(NEXT) | instid1(VALU_DEP_1)
	v_fmaak_f32 v128, v124, v128, 0x3e088382
	v_fmaak_f32 v128, v124, v128, 0xbeaaaa99
	s_delay_alu instid0(VALU_DEP_1) | instskip(NEXT) | instid1(VALU_DEP_1)
	v_mul_f32_e64 v128, |v22|, v128
	v_fma_f32 v128, v124, v128, |v22|
	s_wait_alu 0xfffe
	s_or_b32 exec_lo, exec_lo, s12
	s_delay_alu instid0(SALU_CYCLE_1)
	s_and_not1_b32 vcc_lo, exec_lo, s10
	s_wait_alu 0xfffe
	s_cbranch_vccz .LBB86_91
.LBB86_89:                              ;   in Loop: Header=BB86_8 Depth=1
	v_mov_b32_e32 v124, 0
	s_branch .LBB86_92
.LBB86_90:                              ;   in Loop: Header=BB86_8 Depth=1
	s_wait_alu 0xfffe
	s_or_b32 exec_lo, exec_lo, s12
	s_delay_alu instid0(SALU_CYCLE_1)
	s_and_not1_b32 vcc_lo, exec_lo, s10
	s_wait_alu 0xfffe
	s_cbranch_vccnz .LBB86_89
.LBB86_91:                              ;   in Loop: Header=BB86_8 Depth=1
	v_lshlrev_b64_e32 v[0:1], 1, v[0:1]
	s_delay_alu instid0(VALU_DEP_1) | instskip(SKIP_1) | instid1(VALU_DEP_2)
	v_add_co_u32 v0, vcc_lo, s40, v0
	s_wait_alu 0xfffd
	v_add_co_ci_u32_e64 v1, null, s41, v1, vcc_lo
	global_load_u16 v0, v[0:1], off offset:64
	s_wait_loadcnt 0x0
	v_cvt_f32_f16_e32 v0, v0
	s_delay_alu instid0(VALU_DEP_1)
	v_mul_f32_e32 v124, v51, v0
.LBB86_92:                              ;   in Loop: Header=BB86_8 Depth=1
	v_bfi_b32 v0, 0x7fffffff, v127, v6
	v_bfi_b32 v1, 0x7fffffff, v128, v22
	v_cmp_ngt_f32_e64 s12, 0x3f200000, |v4|
                                        ; implicit-def: $vgpr134
	s_delay_alu instid0(VALU_DEP_2) | instskip(NEXT) | instid1(VALU_DEP_1)
	v_dual_fmac_f32 v123, s15, v0 :: v_dual_fmac_f32 v124, s15, v1
	v_dual_add_f32 v0, 0x40051340, v123 :: v_dual_add_f32 v1, 0x40051340, v124
	s_delay_alu instid0(VALU_DEP_1) | instskip(SKIP_3) | instid1(VALU_DEP_1)
	v_max3_num_f32 v0, v98, v0, v1
	ds_bpermute_b32 v1, v2, v0
	s_wait_dscnt 0x0
	v_max_num_f32_e32 v1, v1, v1
	v_max_num_f32_e32 v0, v0, v1
	ds_bpermute_b32 v1, v117, v0
	s_wait_dscnt 0x0
	v_max_num_f32_e32 v1, v1, v1
	s_delay_alu instid0(VALU_DEP_1) | instskip(SKIP_3) | instid1(VALU_DEP_1)
	v_max_num_f32_e32 v0, v0, v1
	ds_bpermute_b32 v1, v116, v0
	s_wait_dscnt 0x0
	v_max_num_f32_e32 v1, v1, v1
	v_max_num_f32_e32 v0, v0, v1
	ds_bpermute_b32 v1, v113, v0
	s_wait_dscnt 0x0
	v_max_num_f32_e32 v1, v1, v1
	s_delay_alu instid0(VALU_DEP_1)
	v_max_num_f32_e32 v6, v0, v1
	ds_bpermute_b32 v22, v112, v6
	s_and_saveexec_b32 s13, s12
	s_wait_alu 0xfffe
	s_xor_b32 s12, exec_lo, s13
	s_cbranch_execz .LBB86_94
; %bb.93:                               ;   in Loop: Header=BB86_8 Depth=1
	v_add_f32_e64 v0, |v4|, |v4|
	s_delay_alu instid0(VALU_DEP_1) | instskip(SKIP_1) | instid1(VALU_DEP_2)
	v_mul_f32_e32 v1, 0x3fb8aa3b, v0
	v_cmp_ngt_f32_e32 vcc_lo, 0xc2ce8ed0, v0
	v_rndne_f32_e32 v127, v1
	v_fma_f32 v128, 0x3fb8aa3b, v0, -v1
	s_delay_alu instid0(VALU_DEP_1) | instskip(SKIP_1) | instid1(VALU_DEP_2)
	v_dual_sub_f32 v1, v1, v127 :: v_dual_fmac_f32 v128, 0x32a5705f, v0
	v_cvt_i32_f32_e32 v127, v127
	v_add_f32_e32 v1, v1, v128
	s_delay_alu instid0(VALU_DEP_1) | instskip(NEXT) | instid1(TRANS32_DEP_1)
	v_exp_f32_e32 v1, v1
	v_ldexp_f32 v1, v1, v127
	s_wait_alu 0xfffd
	s_delay_alu instid0(VALU_DEP_1) | instskip(SKIP_2) | instid1(VALU_DEP_2)
	v_cndmask_b32_e32 v1, 0, v1, vcc_lo
	v_cmp_nlt_f32_e32 vcc_lo, 0x42b17218, v0
	s_wait_alu 0xfffd
	v_cndmask_b32_e32 v0, 0x7f800000, v1, vcc_lo
	s_delay_alu instid0(VALU_DEP_1) | instskip(NEXT) | instid1(VALU_DEP_1)
	v_add_f32_e32 v0, 1.0, v0
	v_rcp_f32_e32 v0, v0
	s_delay_alu instid0(TRANS32_DEP_1)
	v_fma_f32 v134, v0, -2.0, 1.0
.LBB86_94:                              ;   in Loop: Header=BB86_8 Depth=1
	s_wait_alu 0xfffe
	s_and_not1_saveexec_b32 s12, s12
	s_cbranch_execz .LBB86_96
; %bb.95:                               ;   in Loop: Header=BB86_8 Depth=1
	v_mul_f32_e32 v0, v4, v4
	s_delay_alu instid0(VALU_DEP_1) | instskip(NEXT) | instid1(VALU_DEP_1)
	v_fmaak_f32 v1, s11, v0, 0x3ca908c9
	v_fmaak_f32 v1, v0, v1, 0xbd5c1c4e
	s_delay_alu instid0(VALU_DEP_1) | instskip(NEXT) | instid1(VALU_DEP_1)
	v_fmaak_f32 v1, v0, v1, 0x3e088382
	v_fmaak_f32 v1, v0, v1, 0xbeaaaa99
	s_delay_alu instid0(VALU_DEP_1) | instskip(NEXT) | instid1(VALU_DEP_1)
	v_mul_f32_e64 v1, |v4|, v1
	v_fma_f32 v134, v0, v1, |v4|
.LBB86_96:                              ;   in Loop: Header=BB86_8 Depth=1
	s_wait_alu 0xfffe
	s_or_b32 exec_lo, exec_lo, s12
	v_add_nc_u32_e32 v0, v3, v89
	s_and_not1_b32 vcc_lo, exec_lo, s10
	s_delay_alu instid0(VALU_DEP_1)
	v_ashrrev_i32_e32 v1, 31, v0
	s_wait_alu 0xfffe
	s_cbranch_vccnz .LBB86_113
; %bb.97:                               ;   in Loop: Header=BB86_8 Depth=1
	s_delay_alu instid0(VALU_DEP_1) | instskip(NEXT) | instid1(VALU_DEP_1)
	v_lshlrev_b64_e32 v[127:128], 1, v[0:1]
	v_add_co_u32 v127, vcc_lo, s40, v127
	s_wait_alu 0xfffd
	s_delay_alu instid0(VALU_DEP_2) | instskip(SKIP_3) | instid1(VALU_DEP_1)
	v_add_co_ci_u32_e64 v128, null, s41, v128, vcc_lo
	global_load_u16 v3, v[127:128], off
	s_wait_loadcnt 0x0
	v_cvt_f32_f16_e32 v3, v3
	v_mul_f32_e32 v127, v51, v3
	v_cmp_ngt_f32_e64 s12, 0x3f200000, |v5|
                                        ; implicit-def: $vgpr3
	s_and_saveexec_b32 s13, s12
	s_wait_alu 0xfffe
	s_xor_b32 s12, exec_lo, s13
	s_cbranch_execz .LBB86_99
.LBB86_98:                              ;   in Loop: Header=BB86_8 Depth=1
	v_add_f32_e64 v3, |v5|, |v5|
	s_delay_alu instid0(VALU_DEP_1) | instskip(SKIP_1) | instid1(VALU_DEP_2)
	v_mul_f32_e32 v128, 0x3fb8aa3b, v3
	v_cmp_ngt_f32_e32 vcc_lo, 0xc2ce8ed0, v3
	v_rndne_f32_e32 v135, v128
	v_fma_f32 v136, 0x3fb8aa3b, v3, -v128
	s_delay_alu instid0(VALU_DEP_2) | instskip(NEXT) | instid1(VALU_DEP_2)
	v_sub_f32_e32 v128, v128, v135
	v_fmac_f32_e32 v136, 0x32a5705f, v3
	v_cvt_i32_f32_e32 v135, v135
	s_delay_alu instid0(VALU_DEP_2) | instskip(NEXT) | instid1(VALU_DEP_1)
	v_add_f32_e32 v128, v128, v136
	v_exp_f32_e32 v128, v128
	s_delay_alu instid0(TRANS32_DEP_1) | instskip(SKIP_1) | instid1(VALU_DEP_1)
	v_ldexp_f32 v128, v128, v135
	s_wait_alu 0xfffd
	v_cndmask_b32_e32 v128, 0, v128, vcc_lo
	v_cmp_nlt_f32_e32 vcc_lo, 0x42b17218, v3
	s_wait_alu 0xfffd
	s_delay_alu instid0(VALU_DEP_2) | instskip(NEXT) | instid1(VALU_DEP_1)
	v_cndmask_b32_e32 v3, 0x7f800000, v128, vcc_lo
	v_add_f32_e32 v3, 1.0, v3
	s_delay_alu instid0(VALU_DEP_1) | instskip(NEXT) | instid1(TRANS32_DEP_1)
	v_rcp_f32_e32 v3, v3
	v_fma_f32 v3, v3, -2.0, 1.0
.LBB86_99:                              ;   in Loop: Header=BB86_8 Depth=1
	s_wait_alu 0xfffe
	s_and_not1_saveexec_b32 s12, s12
	s_cbranch_execz .LBB86_102
; %bb.100:                              ;   in Loop: Header=BB86_8 Depth=1
	v_mul_f32_e32 v3, v5, v5
	s_delay_alu instid0(VALU_DEP_1) | instskip(NEXT) | instid1(VALU_DEP_1)
	v_fmaak_f32 v128, s11, v3, 0x3ca908c9
	v_fmaak_f32 v128, v3, v128, 0xbd5c1c4e
	s_delay_alu instid0(VALU_DEP_1) | instskip(NEXT) | instid1(VALU_DEP_1)
	v_fmaak_f32 v128, v3, v128, 0x3e088382
	v_fmaak_f32 v128, v3, v128, 0xbeaaaa99
	s_delay_alu instid0(VALU_DEP_1) | instskip(NEXT) | instid1(VALU_DEP_1)
	v_mul_f32_e64 v128, |v5|, v128
	v_fma_f32 v3, v3, v128, |v5|
	s_wait_alu 0xfffe
	s_or_b32 exec_lo, exec_lo, s12
	s_delay_alu instid0(SALU_CYCLE_1)
	s_and_not1_b32 vcc_lo, exec_lo, s10
	s_wait_alu 0xfffe
	s_cbranch_vccz .LBB86_103
.LBB86_101:                             ;   in Loop: Header=BB86_8 Depth=1
	v_mov_b32_e32 v128, 0
	s_branch .LBB86_104
.LBB86_102:                             ;   in Loop: Header=BB86_8 Depth=1
	s_wait_alu 0xfffe
	s_or_b32 exec_lo, exec_lo, s12
	s_delay_alu instid0(SALU_CYCLE_1)
	s_and_not1_b32 vcc_lo, exec_lo, s10
	s_wait_alu 0xfffe
	s_cbranch_vccnz .LBB86_101
.LBB86_103:                             ;   in Loop: Header=BB86_8 Depth=1
	v_lshlrev_b64_e32 v[0:1], 1, v[0:1]
	s_delay_alu instid0(VALU_DEP_1) | instskip(SKIP_1) | instid1(VALU_DEP_2)
	v_add_co_u32 v0, vcc_lo, s40, v0
	s_wait_alu 0xfffd
	v_add_co_ci_u32_e64 v1, null, s41, v1, vcc_lo
	global_load_u16 v0, v[0:1], off offset:64
	s_wait_loadcnt 0x0
	v_cvt_f32_f16_e32 v0, v0
	s_delay_alu instid0(VALU_DEP_1)
	v_mul_f32_e32 v128, v51, v0
.LBB86_104:                             ;   in Loop: Header=BB86_8 Depth=1
	v_bfi_b32 v4, 0x7fffffff, v134, v4
	v_bfi_b32 v3, 0x7fffffff, v3, v5
	s_wait_dscnt 0x0
	v_max_num_f32_e32 v0, v22, v22
	v_max_num_f32_e32 v1, v6, v6
	v_dual_max_num_f32 v130, v130, v130 :: v_dual_max_num_f32 v121, v121, v121
	v_dual_fmac_f32 v127, s15, v4 :: v_dual_fmac_f32 v128, s15, v3
	v_dual_max_num_f32 v22, v133, v133 :: v_dual_max_num_f32 v3, v42, v42
	v_max_num_f32_e32 v4, v23, v23
	s_delay_alu instid0(VALU_DEP_3) | instskip(SKIP_3) | instid1(VALU_DEP_4)
	v_dual_add_f32 v5, 0x40051340, v127 :: v_dual_add_f32 v6, 0x40051340, v128
	v_max_num_f32_e32 v129, v129, v129
	v_dual_max_num_f32 v23, v44, v44 :: v_dual_max_num_f32 v44, v131, v131
	v_dual_max_num_f32 v42, v132, v132 :: v_dual_max_num_f32 v125, v125, v125
	v_max3_num_f32 v131, v11, v5, v6
	v_dual_max_num_f32 v126, v126, v126 :: v_dual_max_num_f32 v5, v4, v3
	v_max_num_f32_e32 v120, v120, v120
	s_delay_alu instid0(VALU_DEP_4) | instskip(SKIP_4) | instid1(VALU_DEP_2)
	v_dual_max_num_f32 v6, v1, v0 :: v_dual_max_num_f32 v3, v44, v42
	ds_bpermute_b32 v132, v2, v131
	v_dual_max_num_f32 v1, v125, v126 :: v_dual_max_num_f32 v0, v120, v121
	v_max_num_f32_e32 v2, v129, v130
	s_mul_u64 s[12:13], s[38:39], s[28:29]
	v_dual_max_num_f32 v4, v23, v22 :: v_dual_sub_f32 v125, v108, v1
	s_delay_alu instid0(VALU_DEP_3)
	v_sub_f32_e32 v121, v107, v0
	s_wait_alu 0xfffe
	s_lshl_b64 s[12:13], s[12:13], 2
	v_sub_f32_e32 v111, v111, v2
	s_wait_alu 0xfffe
	s_add_nc_u64 s[12:13], s[30:31], s[12:13]
	v_dual_sub_f32 v115, v115, v0 :: v_dual_sub_f32 v126, v118, v1
	s_wait_alu 0xfffe
	v_add_co_u32 v22, vcc_lo, s12, v16
	s_wait_alu 0xfffd
	v_add_co_ci_u32_e64 v23, null, s13, v17, vcc_lo
	v_sub_f32_e32 v133, v119, v1
	v_add_co_u32 v44, vcc_lo, s12, v18
	s_wait_dscnt 0x0
	v_dual_max_num_f32 v42, v132, v132 :: v_dual_mul_f32 v135, 0x3fb8aa3b, v121
	s_wait_alu 0xfffd
	v_add_co_ci_u32_e64 v120, null, s13, v19, vcc_lo
	v_add_co_u32 v22, vcc_lo, v22, v96
	s_delay_alu instid0(VALU_DEP_3)
	v_max_num_f32_e32 v42, v131, v42
	s_wait_alu 0xfffd
	v_add_co_ci_u32_e64 v23, null, 0, v23, vcc_lo
	v_add_co_u32 v107, vcc_lo, v44, v96
	ds_bpermute_b32 v117, v117, v42
	v_dual_sub_f32 v110, v110, v2 :: v_dual_mul_f32 v141, 0x3fb8aa3b, v111
	v_mul_f32_e32 v134, 0x3fb8aa3b, v115
	s_wait_alu 0xfffd
	v_add_co_ci_u32_e64 v108, null, 0, v120, vcc_lo
	s_wait_loadcnt_dscnt 0x0
	s_barrier_signal -1
	s_barrier_wait -1
	global_inv scope:SCOPE_SE
	v_dual_sub_f32 v114, v114, v0 :: v_dual_mul_f32 v137, 0x3fb8aa3b, v133
	v_mul_f32_e32 v139, 0x3fb8aa3b, v110
	v_rndne_f32_e32 v142, v135
	v_mul_f32_e32 v138, 0x3fb8aa3b, v125
	s_delay_alu instid0(VALU_DEP_4)
	v_cmp_ngt_f32_e32 vcc_lo, 0xc2ce8ed0, v114
	v_fma_f32 v145, 0x3fb8aa3b, v133, -v137
	v_rndne_f32_e32 v146, v137
	v_fma_f32 v149, 0x3fb8aa3b, v110, -v139
	v_sub_f32_e32 v104, v104, v3
	v_max_num_f32_e32 v140, v117, v117
	s_clause 0x1
	global_load_b128 v[117:120], v[22:23], off
	global_load_b128 v[129:132], v[107:108], off
	v_fma_f32 v107, 0x3fb8aa3b, v115, -v134
	v_rndne_f32_e32 v108, v134
	v_dual_sub_f32 v46, v46, v4 :: v_dual_sub_f32 v137, v137, v146
	s_or_b32 s12, s38, 32
	s_delay_alu instid0(VALU_DEP_3) | instskip(SKIP_4) | instid1(VALU_DEP_4)
	v_fmac_f32_e32 v107, 0x32a5705f, v115
	v_dual_mul_f32 v44, 0x3fb8aa3b, v114 :: v_dual_max_num_f32 v23, v42, v140
	v_fma_f32 v140, 0x3fb8aa3b, v121, -v135
	v_sub_f32_e32 v135, v135, v142
	v_fma_f32 v147, 0x3fb8aa3b, v125, -v138
	v_fma_f32 v22, 0x3fb8aa3b, v114, -v44
	ds_bpermute_b32 v116, v116, v23
	v_rndne_f32_e32 v42, v44
	v_fmac_f32_e32 v140, 0x32a5705f, v121
	v_dual_fmac_f32 v145, 0x32a5705f, v133 :: v_dual_fmac_f32 v22, 0x32a5705f, v114
	s_delay_alu instid0(VALU_DEP_3)
	v_dual_fmac_f32 v147, 0x32a5705f, v125 :: v_dual_sub_f32 v44, v44, v42
	v_rndne_f32_e32 v148, v138
	v_cvt_i32_f32_e32 v42, v42
	s_wait_alu 0xfffe
	s_ashr_i32 s13, s12, 31
	v_fmac_f32_e32 v149, 0x32a5705f, v110
	v_add_f32_e32 v22, v44, v22
	s_wait_alu 0xfffe
	s_mul_u64 s[12:13], s[12:13], s[28:29]
	v_sub_f32_e32 v105, v105, v2
	s_wait_alu 0xfffe
	s_lshl_b64 s[12:13], s[12:13], 2
	v_sub_f32_e32 v47, v47, v3
	s_wait_alu 0xfffe
	s_add_nc_u64 s[12:13], s[30:31], s[12:13]
	v_sub_f32_e32 v45, v45, v4
	s_wait_dscnt 0x0
	v_dual_sub_f32 v43, v43, v5 :: v_dual_max_num_f32 v116, v116, v116
	s_delay_alu instid0(VALU_DEP_1) | instskip(NEXT) | instid1(VALU_DEP_1)
	v_dual_mul_f32 v136, 0x3fb8aa3b, v126 :: v_dual_max_num_f32 v23, v23, v116
	v_fma_f32 v143, 0x3fb8aa3b, v126, -v136
	v_sub_f32_e32 v134, v134, v108
	v_rndne_f32_e32 v144, v136
	v_cvt_i32_f32_e32 v108, v108
	ds_bpermute_b32 v113, v113, v23
	v_dual_fmac_f32 v143, 0x32a5705f, v126 :: v_dual_add_f32 v44, v134, v107
	v_add_f32_e32 v107, v135, v140
	v_exp_f32_e32 v22, v22
	v_cvt_i32_f32_e32 v140, v148
	s_delay_alu instid0(VALU_DEP_3) | instskip(NEXT) | instid1(VALU_DEP_2)
	v_exp_f32_e32 v44, v44
	v_exp_f32_e32 v107, v107
	s_delay_alu instid0(TRANS32_DEP_3) | instskip(NEXT) | instid1(TRANS32_DEP_2)
	v_ldexp_f32 v22, v22, v42
	v_ldexp_f32 v42, v44, v108
	s_wait_dscnt 0x0
	s_wait_alu 0xfffd
	s_delay_alu instid0(VALU_DEP_2) | instskip(SKIP_2) | instid1(VALU_DEP_3)
	v_dual_cndmask_b32 v22, 0, v22 :: v_dual_max_num_f32 v113, v113, v113
	v_sub_f32_e32 v138, v138, v148
	v_cmp_ngt_f32_e32 vcc_lo, 0xc2ce8ed0, v115
	v_dual_max_num_f32 v113, v23, v113 :: v_dual_sub_f32 v136, v136, v144
	s_wait_alu 0xfffd
	s_delay_alu instid0(VALU_DEP_3)
	v_dual_add_f32 v135, v138, v147 :: v_dual_cndmask_b32 v42, 0, v42
	v_cmp_ngt_f32_e32 vcc_lo, 0xc2ce8ed0, v121
	v_cvt_i32_f32_e32 v138, v146
	v_add_f32_e32 v116, v136, v143
	v_cvt_i32_f32_e32 v136, v142
	v_exp_f32_e32 v135, v135
	s_delay_alu instid0(VALU_DEP_2) | instskip(NEXT) | instid1(VALU_DEP_1)
	v_exp_f32_e32 v116, v116
	v_ldexp_f32 v44, v107, v136
	s_wait_alu 0xfffd
	s_delay_alu instid0(VALU_DEP_1)
	v_cndmask_b32_e32 v44, 0, v44, vcc_lo
	v_cmp_ngt_f32_e32 vcc_lo, 0xc2ce8ed0, v126
	v_add_f32_e32 v134, v137, v145
	v_cvt_i32_f32_e32 v137, v144
	s_delay_alu instid0(TRANS32_DEP_1) | instid1(VALU_DEP_1)
	v_ldexp_f32 v107, v116, v137
	s_delay_alu instid0(TRANS32_DEP_2) | instskip(SKIP_1) | instid1(VALU_DEP_2)
	v_ldexp_f32 v116, v135, v140
	s_wait_alu 0xfffd
	v_cndmask_b32_e32 v23, 0, v107, vcc_lo
	v_exp_f32_e32 v134, v134
	v_cmp_ngt_f32_e32 vcc_lo, 0xc2ce8ed0, v133
	s_delay_alu instid0(TRANS32_DEP_1) | instskip(SKIP_1) | instid1(VALU_DEP_1)
	v_ldexp_f32 v108, v134, v138
	s_wait_alu 0xfffd
	v_cndmask_b32_e32 v107, 0, v108, vcc_lo
	v_cmp_nlt_f32_e32 vcc_lo, 0x42b17218, v121
	ds_bpermute_b32 v108, v112, v113
	s_wait_alu 0xfffd
	v_cndmask_b32_e32 v44, 0x7f800000, v44, vcc_lo
	v_cmp_ngt_f32_e32 vcc_lo, 0xc2ce8ed0, v125
	s_wait_alu 0xfffd
	v_cndmask_b32_e32 v112, 0, v116, vcc_lo
	v_cmp_nlt_f32_e32 vcc_lo, 0x42b17218, v114
	v_cvt_f16_f32_e32 v114, v44
	s_wait_alu 0xfffd
	v_cndmask_b32_e32 v22, 0x7f800000, v22, vcc_lo
	v_cmp_nlt_f32_e32 vcc_lo, 0x42b17218, v115
	s_delay_alu instid0(VALU_DEP_3)
	v_and_b32_e32 v114, 0xffff, v114
	s_wait_dscnt 0x0
	v_max_num_f32_e32 v108, v108, v108
	v_cvt_f16_f32_e32 v116, v22
	s_wait_alu 0xfffd
	v_cndmask_b32_e32 v42, 0x7f800000, v42, vcc_lo
	v_cmp_nlt_f32_e32 vcc_lo, 0x42b17218, v126
	s_delay_alu instid0(VALU_DEP_2)
	v_cvt_f16_f32_e32 v121, v42
	s_wait_alu 0xfffd
	v_cndmask_b32_e32 v115, 0x7f800000, v23, vcc_lo
	v_cmp_nlt_f32_e32 vcc_lo, 0x42b17218, v133
	v_add_f32_e32 v23, v22, v42
	v_mul_u32_u24_e32 v42, 0x10001, v114
	s_delay_alu instid0(VALU_DEP_4)
	v_cvt_f16_f32_e32 v114, v115
	s_wait_alu 0xfffd
	v_cndmask_b32_e32 v107, 0x7f800000, v107, vcc_lo
	v_cmp_nlt_f32_e32 vcc_lo, 0x42b17218, v125
	v_pk_mul_f16 v126, v75, v42
	v_fmac_f32_e32 v23, v7, v44
	s_delay_alu instid0(VALU_DEP_4)
	v_dual_max_num_f32 v7, v113, v108 :: v_dual_add_f32 v22, v115, v107
	s_wait_alu 0xfffd
	v_cndmask_b32_e32 v75, 0x7f800000, v112, vcc_lo
	v_pk_mul_f16 v115, v74, v42
	v_rndne_f32_e32 v42, v139
	v_fma_f32 v44, 0x3fb8aa3b, v111, -v141
	v_rndne_f32_e32 v74, v141
	v_cvt_f16_f32_e32 v113, v75
	v_fmac_f32_e32 v22, v106, v75
	v_sub_f32_e32 v108, v139, v42
	v_cvt_i32_f32_e32 v42, v42
	v_fmac_f32_e32 v44, 0x32a5705f, v111
	v_and_b32_e32 v75, 0xffff, v113
	v_cmp_ngt_f32_e32 vcc_lo, 0xc2ce8ed0, v110
	v_add_f32_e32 v108, v108, v149
	v_cvt_f16_f32_e32 v107, v107
	v_sub_f32_e32 v11, v11, v7
	v_mul_u32_u24_e32 v75, 0x10001, v75
	s_delay_alu instid0(VALU_DEP_4) | instskip(NEXT) | instid1(VALU_DEP_1)
	v_exp_f32_e32 v106, v108
	v_pk_mul_f16 v125, v72, v75
	s_delay_alu instid0(TRANS32_DEP_1)
	v_ldexp_f32 v42, v106, v42
	v_pk_mul_f16 v106, v73, v75
	v_sub_f32_e32 v75, v109, v3
	v_sub_f32_e32 v112, v141, v74
	v_cvt_i32_f32_e32 v74, v74
	s_wait_alu 0xfffd
	v_cndmask_b32_e32 v42, 0, v42, vcc_lo
	v_cmp_ngt_f32_e32 vcc_lo, 0xc2ce8ed0, v111
	v_dual_mul_f32 v109, 0x3fb8aa3b, v75 :: v_dual_add_f32 v44, v112, v44
	s_delay_alu instid0(VALU_DEP_1) | instskip(NEXT) | instid1(TRANS32_DEP_1)
	v_exp_f32_e32 v44, v44
	v_ldexp_f32 v44, v44, v74
	v_mul_f32_e32 v74, 0x3fb8aa3b, v47
	s_wait_alu 0xfffd
	s_delay_alu instid0(VALU_DEP_2) | instskip(SKIP_1) | instid1(VALU_DEP_3)
	v_cndmask_b32_e32 v44, 0, v44, vcc_lo
	v_cmp_nlt_f32_e32 vcc_lo, 0x42b17218, v110
	v_rndne_f32_e32 v110, v74
	s_wait_alu 0xfffd
	v_cndmask_b32_e32 v42, 0x7f800000, v42, vcc_lo
	v_cmp_nlt_f32_e32 vcc_lo, 0x42b17218, v111
	v_fma_f32 v111, 0x3fb8aa3b, v75, -v109
	s_wait_alu 0xfffd
	v_cndmask_b32_e32 v44, 0x7f800000, v44, vcc_lo
	s_delay_alu instid0(VALU_DEP_2) | instskip(SKIP_2) | instid1(VALU_DEP_2)
	v_fmac_f32_e32 v111, 0x32a5705f, v75
	v_mul_f32_e32 v112, 0x3fb8aa3b, v105
	v_cmp_ngt_f32_e32 vcc_lo, 0xc2ce8ed0, v105
	v_fma_f32 v108, 0x3fb8aa3b, v105, -v112
	v_rndne_f32_e32 v113, v112
	s_delay_alu instid0(VALU_DEP_2) | instskip(NEXT) | instid1(VALU_DEP_2)
	v_fmac_f32_e32 v108, 0x32a5705f, v105
	v_sub_f32_e32 v112, v112, v113
	v_cvt_i32_f32_e32 v73, v113
	s_delay_alu instid0(VALU_DEP_2) | instskip(SKIP_3) | instid1(VALU_DEP_4)
	v_add_f32_e32 v72, v112, v108
	v_rndne_f32_e32 v112, v109
	v_cvt_f16_f32_e32 v108, v42
	v_add_f32_e32 v42, v42, v44
	v_exp_f32_e32 v72, v72
	s_delay_alu instid0(TRANS32_DEP_1) | instskip(SKIP_4) | instid1(VALU_DEP_3)
	v_ldexp_f32 v72, v72, v73
	v_fma_f32 v73, 0x3fb8aa3b, v47, -v74
	v_sub_f32_e32 v74, v74, v110
	v_cvt_i32_f32_e32 v110, v110
	s_wait_alu 0xfffd
	v_dual_cndmask_b32 v72, 0, v72 :: v_dual_fmac_f32 v73, 0x32a5705f, v47
	v_cmp_nlt_f32_e32 vcc_lo, 0x42b17218, v105
	v_sub_f32_e32 v105, v109, v112
	v_cvt_f16_f32_e32 v109, v44
	v_cvt_i32_f32_e32 v112, v112
	s_wait_alu 0xfffd
	v_dual_add_f32 v73, v74, v73 :: v_dual_cndmask_b32 v72, 0x7f800000, v72
	v_dual_add_f32 v105, v105, v111 :: v_dual_mul_f32 v74, 0x3fb8aa3b, v104
	v_cmp_ngt_f32_e32 vcc_lo, 0xc2ce8ed0, v47
	s_delay_alu instid0(VALU_DEP_3) | instskip(NEXT) | instid1(VALU_DEP_3)
	v_exp_f32_e32 v73, v73
	v_cvt_f16_f32_e32 v44, v72
	s_delay_alu instid0(VALU_DEP_3) | instskip(SKIP_4) | instid1(VALU_DEP_3)
	v_exp_f32_e32 v105, v105
	v_fma_f32 v111, 0x3fb8aa3b, v104, -v74
	v_rndne_f32_e32 v113, v74
	v_fmac_f32_e32 v42, v103, v72
	v_and_b32_e32 v44, 0xffff, v44
	v_dual_fmac_f32 v111, 0x32a5705f, v104 :: v_dual_sub_f32 v74, v74, v113
	s_delay_alu instid0(TRANS32_DEP_2) | instskip(NEXT) | instid1(VALU_DEP_3)
	v_ldexp_f32 v72, v73, v110
	v_mul_u32_u24_e32 v44, 0x10001, v44
	s_wait_alu 0xfffd
	s_delay_alu instid0(VALU_DEP_2) | instskip(NEXT) | instid1(VALU_DEP_2)
	v_dual_add_f32 v73, v74, v111 :: v_dual_cndmask_b32 v72, 0, v72
	v_pk_mul_f16 v110, v69, v44
	v_ldexp_f32 v69, v105, v112
	v_cmp_ngt_f32_e32 vcc_lo, 0xc2ce8ed0, v75
	s_delay_alu instid0(VALU_DEP_4)
	v_exp_f32_e32 v73, v73
	v_pk_mul_f16 v111, v68, v44
	v_mul_f32_e32 v105, 0x3fb8aa3b, v46
	s_wait_alu 0xfffd
	v_cndmask_b32_e32 v69, 0, v69, vcc_lo
	v_cmp_nlt_f32_e32 vcc_lo, 0x42b17218, v47
	s_wait_alu 0xfffd
	v_cndmask_b32_e32 v47, 0x7f800000, v72, vcc_lo
	v_cmp_nlt_f32_e32 vcc_lo, 0x42b17218, v75
	v_cvt_i32_f32_e32 v72, v113
	v_rndne_f32_e32 v113, v105
	s_delay_alu instid0(VALU_DEP_4)
	v_cvt_f16_f32_e32 v74, v47
	s_wait_alu 0xfffd
	v_cndmask_b32_e32 v69, 0x7f800000, v69, vcc_lo
	v_ldexp_f32 v68, v73, v72
	v_cmp_ngt_f32_e32 vcc_lo, 0xc2ce8ed0, v104
	v_mul_f32_e32 v72, 0x3fb8aa3b, v45
	s_delay_alu instid0(VALU_DEP_4)
	v_dual_add_f32 v44, v47, v69 :: v_dual_sub_f32 v47, v102, v4
	s_wait_alu 0xfffd
	v_cndmask_b32_e32 v68, 0, v68, vcc_lo
	v_cvt_f16_f32_e32 v73, v69
	v_cmp_nlt_f32_e32 vcc_lo, 0x42b17218, v104
	v_fma_f32 v75, 0x3fb8aa3b, v45, -v72
	v_mul_f32_e32 v69, 0x3fb8aa3b, v47
	v_rndne_f32_e32 v102, v72
	v_pack_b32_f16 v73, v109, v73
	s_wait_alu 0xfffd
	v_cndmask_b32_e32 v68, 0x7f800000, v68, vcc_lo
	v_fmac_f32_e32 v75, 0x32a5705f, v45
	v_fma_f32 v103, 0x3fb8aa3b, v47, -v69
	v_rndne_f32_e32 v104, v69
	v_sub_f32_e32 v72, v72, v102
	v_cvt_f16_f32_e32 v112, v68
	s_delay_alu instid0(VALU_DEP_4) | instskip(NEXT) | instid1(VALU_DEP_3)
	v_dual_fmac_f32 v44, v101, v68 :: v_dual_fmac_f32 v103, 0x32a5705f, v47
	v_dual_sub_f32 v69, v69, v104 :: v_dual_add_f32 v72, v72, v75
	v_fma_f32 v75, 0x3fb8aa3b, v46, -v105
	v_cvt_i32_f32_e32 v68, v102
	v_sub_f32_e32 v105, v105, v113
	s_delay_alu instid0(VALU_DEP_4)
	v_add_f32_e32 v69, v69, v103
	v_and_b32_e32 v103, 0xffff, v112
	v_exp_f32_e32 v72, v72
	v_fmac_f32_e32 v75, 0x32a5705f, v46
	v_cvt_i32_f32_e32 v101, v104
	v_exp_f32_e32 v69, v69
	v_mul_u32_u24_e32 v103, 0x10001, v103
	v_cmp_ngt_f32_e32 vcc_lo, 0xc2ce8ed0, v45
	v_add_f32_e32 v75, v105, v75
	s_delay_alu instid0(VALU_DEP_3) | instskip(NEXT) | instid1(TRANS32_DEP_2)
	v_pk_mul_f16 v112, v66, v103
	v_ldexp_f32 v66, v72, v68
	v_pk_mul_f16 v133, v67, v103
	s_delay_alu instid0(VALU_DEP_4) | instskip(NEXT) | instid1(TRANS32_DEP_2)
	v_exp_f32_e32 v67, v75
	v_ldexp_f32 v68, v69, v101
	v_cvt_i32_f32_e32 v69, v113
	s_wait_alu 0xfffd
	v_cndmask_b32_e32 v66, 0, v66, vcc_lo
	v_cmp_ngt_f32_e32 vcc_lo, 0xc2ce8ed0, v47
	v_sub_f32_e32 v103, v124, v6
	s_wait_alu 0xfffd
	v_dual_sub_f32 v113, v128, v7 :: v_dual_cndmask_b32 v68, 0, v68
	v_cmp_nlt_f32_e32 vcc_lo, 0x42b17218, v45
	s_delay_alu instid0(VALU_DEP_3)
	v_mul_f32_e32 v104, 0x3fb8aa3b, v103
	s_wait_alu 0xfffd
	v_cndmask_b32_e32 v45, 0x7f800000, v66, vcc_lo
	v_cmp_nlt_f32_e32 vcc_lo, 0x42b17218, v47
	v_ldexp_f32 v66, v67, v69
	s_wait_alu 0xfffd
	v_cndmask_b32_e32 v47, 0x7f800000, v68, vcc_lo
	v_cmp_ngt_f32_e32 vcc_lo, 0xc2ce8ed0, v46
	s_delay_alu instid0(VALU_DEP_2) | instskip(SKIP_3) | instid1(VALU_DEP_3)
	v_cvt_f16_f32_e32 v69, v47
	s_wait_alu 0xfffd
	v_cndmask_b32_e32 v66, 0, v66, vcc_lo
	v_cmp_nlt_f32_e32 vcc_lo, 0x42b17218, v46
	v_and_b32_e32 v69, 0xffff, v69
	s_wait_alu 0xfffd
	s_delay_alu instid0(VALU_DEP_3) | instskip(SKIP_2) | instid1(VALU_DEP_3)
	v_cndmask_b32_e32 v46, 0x7f800000, v66, vcc_lo
	v_cvt_f16_f32_e32 v66, v45
	v_cmp_ngt_f32_e32 vcc_lo, 0xc2ce8ed0, v43
	v_add_f32_e32 v45, v45, v46
	v_cvt_f16_f32_e32 v101, v46
	v_mul_u32_u24_e32 v46, 0x10001, v69
	s_delay_alu instid0(VALU_DEP_3) | instskip(SKIP_1) | instid1(VALU_DEP_3)
	v_fmac_f32_e32 v45, v100, v47
	v_sub_f32_e32 v47, v99, v5
	v_pk_mul_f16 v63, v63, v46
	v_pk_mul_f16 v64, v64, v46
	s_delay_alu instid0(VALU_DEP_3) | instskip(SKIP_1) | instid1(VALU_DEP_1)
	v_mul_f32_e32 v100, 0x3fb8aa3b, v47
	v_mul_f32_e32 v72, 0x3fb8aa3b, v43
	v_fma_f32 v67, 0x3fb8aa3b, v43, -v72
	v_rndne_f32_e32 v68, v72
	s_delay_alu instid0(VALU_DEP_1) | instskip(SKIP_1) | instid1(VALU_DEP_2)
	v_dual_fmac_f32 v67, 0x32a5705f, v43 :: v_dual_sub_f32 v72, v72, v68
	v_cvt_i32_f32_e32 v68, v68
	v_dual_add_f32 v67, v72, v67 :: v_dual_sub_f32 v72, v122, v5
	s_delay_alu instid0(VALU_DEP_1) | instskip(NEXT) | instid1(VALU_DEP_1)
	v_exp_f32_e32 v67, v67
	v_mul_f32_e32 v69, 0x3fb8aa3b, v72
	s_delay_alu instid0(VALU_DEP_1) | instskip(SKIP_1) | instid1(TRANS32_DEP_1)
	v_fma_f32 v75, 0x3fb8aa3b, v72, -v69
	v_rndne_f32_e32 v99, v69
	v_ldexp_f32 v46, v67, v68
	s_delay_alu instid0(VALU_DEP_3) | instskip(NEXT) | instid1(VALU_DEP_3)
	v_fmac_f32_e32 v75, 0x32a5705f, v72
	v_sub_f32_e32 v67, v69, v99
	v_fma_f32 v68, 0x3fb8aa3b, v47, -v100
	v_rndne_f32_e32 v69, v100
	s_wait_alu 0xfffd
	v_cndmask_b32_e32 v46, 0, v46, vcc_lo
	v_cmp_nlt_f32_e32 vcc_lo, 0x42b17218, v43
	v_add_f32_e32 v67, v67, v75
	v_dual_fmac_f32 v68, 0x32a5705f, v47 :: v_dual_sub_f32 v75, v100, v69
	v_cvt_i32_f32_e32 v99, v99
	s_wait_alu 0xfffd
	v_cndmask_b32_e32 v43, 0x7f800000, v46, vcc_lo
	v_exp_f32_e32 v46, v67
	v_cvt_i32_f32_e32 v69, v69
	v_add_f32_e32 v67, v75, v68
	v_cmp_ngt_f32_e32 vcc_lo, 0xc2ce8ed0, v72
	v_cvt_f16_f32_e32 v105, v43
	s_delay_alu instid0(VALU_DEP_3) | instskip(NEXT) | instid1(TRANS32_DEP_2)
	v_exp_f32_e32 v67, v67
	v_ldexp_f32 v46, v46, v99
	v_fma_f32 v99, 0x3fb8aa3b, v103, -v104
	v_sub_f32_e32 v102, v123, v6
	s_wait_alu 0xfffd
	s_delay_alu instid0(VALU_DEP_2) | instskip(NEXT) | instid1(TRANS32_DEP_1)
	v_dual_cndmask_b32 v46, 0, v46 :: v_dual_fmac_f32 v99, 0x32a5705f, v103
	v_ldexp_f32 v67, v67, v69
	v_cmp_ngt_f32_e32 vcc_lo, 0xc2ce8ed0, v47
	s_wait_alu 0xfffd
	s_delay_alu instid0(VALU_DEP_2) | instskip(NEXT) | instid1(VALU_DEP_1)
	v_dual_mul_f32 v100, 0x3fb8aa3b, v102 :: v_dual_cndmask_b32 v67, 0, v67
	v_fma_f32 v68, 0x3fb8aa3b, v102, -v100
	v_rndne_f32_e32 v75, v100
	v_cmp_nlt_f32_e32 vcc_lo, 0x42b17218, v72
	s_delay_alu instid0(VALU_DEP_3) | instskip(NEXT) | instid1(VALU_DEP_3)
	v_fmac_f32_e32 v68, 0x32a5705f, v102
	v_sub_f32_e32 v100, v100, v75
	s_wait_alu 0xfffd
	v_cndmask_b32_e32 v72, 0x7f800000, v46, vcc_lo
	v_cmp_nlt_f32_e32 vcc_lo, 0x42b17218, v47
	v_cvt_i32_f32_e32 v75, v75
	v_add_f32_e32 v68, v100, v68
	v_rndne_f32_e32 v100, v104
	s_wait_alu 0xfffd
	v_dual_cndmask_b32 v47, 0x7f800000, v67 :: v_dual_add_f32 v46, v43, v72
	v_cmp_ngt_f32_e32 vcc_lo, 0xc2ce8ed0, v102
	v_exp_f32_e32 v68, v68
	v_sub_f32_e32 v69, v104, v100
	v_cvt_f16_f32_e32 v72, v72
	s_delay_alu instid0(VALU_DEP_2) | instskip(NEXT) | instid1(TRANS32_DEP_1)
	v_add_f32_e32 v69, v69, v99
	v_ldexp_f32 v43, v68, v75
	s_delay_alu instid0(VALU_DEP_2)
	v_exp_f32_e32 v67, v69
	v_cvt_f16_f32_e32 v68, v47
	v_sub_f32_e32 v69, v98, v6
	v_cvt_i32_f32_e32 v75, v100
	s_wait_alu 0xfffd
	v_cndmask_b32_e32 v43, 0, v43, vcc_lo
	v_cmp_nlt_f32_e32 vcc_lo, 0x42b17218, v102
	v_dual_sub_f32 v98, v127, v7 :: v_dual_and_b32 v99, 0xffff, v68
	s_wait_alu 0xfffd
	s_delay_alu instid0(VALU_DEP_3)
	v_cndmask_b32_e32 v43, 0x7f800000, v43, vcc_lo
	v_ldexp_f32 v67, v67, v75
	v_cmp_ngt_f32_e32 vcc_lo, 0xc2ce8ed0, v103
	v_mul_f32_e32 v68, 0x3fb8aa3b, v69
	v_fmac_f32_e32 v46, v10, v47
	v_cvt_f16_f32_e32 v100, v43
	v_mul_u32_u24_e32 v99, 0x10001, v99
	s_wait_alu 0xfffd
	v_cndmask_b32_e32 v67, 0, v67, vcc_lo
	v_fma_f32 v102, 0x3fb8aa3b, v69, -v68
	v_cmp_nlt_f32_e32 vcc_lo, 0x42b17218, v103
	v_rndne_f32_e32 v123, v68
	v_pk_mul_f16 v60, v60, v99
	v_pk_mul_f16 v61, v61, v99
	v_fmac_f32_e32 v102, 0x32a5705f, v69
	s_delay_alu instid0(VALU_DEP_4)
	v_sub_f32_e32 v68, v68, v123
	s_wait_alu 0xfffd
	v_cndmask_b32_e32 v103, 0x7f800000, v67, vcc_lo
	v_mul_f32_e32 v67, 0x3fb8aa3b, v113
	v_mul_f32_e32 v75, 0x3fb8aa3b, v98
	v_cmp_ngt_f32_e32 vcc_lo, 0xc2ce8ed0, v98
	s_delay_alu instid0(VALU_DEP_3) | instskip(NEXT) | instid1(VALU_DEP_3)
	v_rndne_f32_e32 v127, v67
	v_fma_f32 v104, 0x3fb8aa3b, v98, -v75
	v_rndne_f32_e32 v122, v75
	v_fma_f32 v124, 0x3fb8aa3b, v113, -v67
	s_delay_alu instid0(VALU_DEP_3) | instskip(NEXT) | instid1(VALU_DEP_2)
	v_dual_sub_f32 v67, v67, v127 :: v_dual_fmac_f32 v104, 0x32a5705f, v98
	v_dual_sub_f32 v75, v75, v122 :: v_dual_fmac_f32 v124, 0x32a5705f, v113
	s_delay_alu instid0(VALU_DEP_1) | instskip(NEXT) | instid1(VALU_DEP_2)
	v_dual_add_f32 v75, v75, v104 :: v_dual_mul_f32 v104, 0x3fb8aa3b, v11
	v_dual_add_f32 v67, v67, v124 :: v_dual_add_f32 v68, v68, v102
	v_cvt_i32_f32_e32 v102, v122
	s_delay_alu instid0(VALU_DEP_3) | instskip(NEXT) | instid1(VALU_DEP_3)
	v_exp_f32_e32 v75, v75
	v_fma_f32 v128, 0x3fb8aa3b, v11, -v104
	v_rndne_f32_e32 v134, v104
	v_exp_f32_e32 v67, v67
	v_add_f32_e32 v47, v43, v103
	v_exp_f32_e32 v68, v68
	v_cvt_f16_f32_e32 v122, v103
	s_delay_alu instid0(TRANS32_DEP_3) | instskip(SKIP_1) | instid1(VALU_DEP_1)
	v_ldexp_f32 v75, v75, v102
	s_wait_alu 0xfffd
	v_cndmask_b32_e32 v75, 0, v75, vcc_lo
	v_cmp_nlt_f32_e32 vcc_lo, 0x42b17218, v98
	s_wait_alu 0xfffd
	s_delay_alu instid0(VALU_DEP_2) | instskip(SKIP_4) | instid1(VALU_DEP_2)
	v_cndmask_b32_e32 v98, 0x7f800000, v75, vcc_lo
	v_fmac_f32_e32 v128, 0x32a5705f, v11
	v_cmp_ngt_f32_e32 vcc_lo, 0xc2ce8ed0, v113
	v_sub_f32_e32 v104, v104, v134
	v_cvt_i32_f32_e32 v75, v134
	v_add_f32_e32 v102, v104, v128
	v_cvt_i32_f32_e32 v104, v123
	v_cvt_i32_f32_e32 v123, v127
	s_delay_alu instid0(VALU_DEP_3) | instskip(NEXT) | instid1(VALU_DEP_2)
	v_exp_f32_e32 v102, v102
	v_ldexp_f32 v68, v68, v104
	s_delay_alu instid0(VALU_DEP_2) | instskip(SKIP_1) | instid1(VALU_DEP_1)
	v_ldexp_f32 v67, v67, v123
	s_wait_alu 0xfffd
	v_cndmask_b32_e32 v67, 0, v67, vcc_lo
	v_cmp_ngt_f32_e32 vcc_lo, 0xc2ce8ed0, v69
	s_delay_alu instid0(TRANS32_DEP_1)
	v_ldexp_f32 v75, v102, v75
	s_wait_alu 0xfffd
	v_cndmask_b32_e32 v68, 0, v68, vcc_lo
	v_cmp_nlt_f32_e32 vcc_lo, 0x42b17218, v113
	s_wait_alu 0xfffd
	v_cndmask_b32_e32 v104, 0x7f800000, v67, vcc_lo
	v_cmp_ngt_f32_e32 vcc_lo, 0xc2ce8ed0, v11
	s_wait_alu 0xfffd
	v_cndmask_b32_e32 v67, 0, v75, vcc_lo
	v_cmp_nlt_f32_e32 vcc_lo, 0x42b17218, v69
	v_cvt_f16_f32_e32 v75, v104
	s_wait_alu 0xfffd
	v_cndmask_b32_e32 v113, 0x7f800000, v68, vcc_lo
	v_cmp_nlt_f32_e32 vcc_lo, 0x42b17218, v11
	v_pack_b32_f16 v68, v66, v105
	v_pack_b32_f16 v66, v116, v114
	;; [unrolled: 1-line block ×3, first 2 shown]
	v_fmac_f32_e32 v47, v9, v113
	v_cvt_f16_f32_e32 v102, v98
	s_wait_alu 0xfffd
	v_cndmask_b32_e32 v11, 0x7f800000, v67, vcc_lo
	v_pack_b32_f16 v67, v108, v74
	v_pack_b32_f16 v74, v101, v72
	;; [unrolled: 1-line block ×4, first 2 shown]
	v_cvt_f16_f32_e32 v100, v113
	v_cvt_f16_f32_e32 v101, v11
	ds_store_b128 v95, v[66:69]
	ds_store_b128 v95, v[72:75] offset:512
	s_wait_loadcnt 0x1
	ds_store_b128 v91, v[117:120]
	s_wait_loadcnt 0x0
	ds_store_b128 v92, v[129:132]
	s_wait_dscnt 0x0
	s_barrier_signal -1
	s_barrier_wait -1
	global_inv scope:SCOPE_SE
	ds_load_b128 v[66:69], v90
	v_and_b32_e32 v72, 0xffff, v100
	v_dual_add_f32 v43, v98, v104 :: v_dual_and_b32 v10, 0xffff, v101
	s_delay_alu instid0(VALU_DEP_2) | instskip(NEXT) | instid1(VALU_DEP_2)
	v_mul_u32_u24_e32 v72, 0x10001, v72
	v_mul_u32_u24_e32 v10, 0x10001, v10
	s_delay_alu instid0(VALU_DEP_3) | instskip(NEXT) | instid1(VALU_DEP_3)
	v_fmac_f32_e32 v43, v8, v11
	v_pk_mul_f16 v57, v57, v72
	v_pk_mul_f16 v59, v59, v72
	s_delay_alu instid0(VALU_DEP_4)
	v_pk_mul_f16 v56, v56, v10
	v_pk_mul_f16 v55, v55, v10
	ds_load_2addr_b64 v[8:11], v93 offset1:32
	ds_load_b128 v[72:75], v90 offset:16
	ds_load_b128 v[98:101], v90 offset:32
	;; [unrolled: 1-line block ×3, first 2 shown]
	s_wait_dscnt 0x4
	v_lshrrev_b32_e32 v107, 16, v66
	v_and_b32_e32 v66, 0xffff, v66
	v_lshrrev_b32_e32 v108, 16, v67
	v_lshrrev_b32_e32 v109, 16, v68
	;; [unrolled: 1-line block ×3, first 2 shown]
	v_and_b32_e32 v67, 0xffff, v67
	v_and_b32_e32 v68, 0xffff, v68
	v_and_b32_e32 v69, 0xffff, v69
	v_mul_u32_u24_e32 v66, 0x10001, v66
	v_mul_u32_u24_e32 v107, 0x10001, v107
	;; [unrolled: 1-line block ×8, first 2 shown]
	s_wait_dscnt 0x3
	v_pk_fma_f16 v114, v8, v66, v115
	v_pk_fma_f16 v115, v8, v107, v125
	;; [unrolled: 1-line block ×16, first 2 shown]
	s_wait_dscnt 0x2
	v_lshrrev_b32_e32 v55, 16, v72
	v_and_b32_e32 v68, 0xffff, v72
	v_lshrrev_b32_e32 v69, 16, v73
	v_lshrrev_b32_e32 v72, 16, v74
	;; [unrolled: 1-line block ×3, first 2 shown]
	v_and_b32_e32 v73, 0xffff, v73
	v_and_b32_e32 v74, 0xffff, v74
	;; [unrolled: 1-line block ×3, first 2 shown]
	v_mul_u32_u24_e32 v68, 0x10001, v68
	v_mul_u32_u24_e32 v55, 0x10001, v55
	;; [unrolled: 1-line block ×8, first 2 shown]
	v_pk_fma_f16 v108, v10, v68, v114
	v_pk_fma_f16 v109, v10, v55, v115
	;; [unrolled: 1-line block ×12, first 2 shown]
	ds_load_2addr_b64 v[66:69], v93 offset0:64 offset1:96
	v_pk_fma_f16 v64, v11, v74, v64
	v_pk_fma_f16 v61, v11, v72, v61
	;; [unrolled: 1-line block ×4, first 2 shown]
	s_wait_dscnt 0x2
	v_lshrrev_b32_e32 v11, 16, v98
	v_and_b32_e32 v72, 0xffff, v98
	v_lshrrev_b32_e32 v74, 16, v99
	v_lshrrev_b32_e32 v75, 16, v100
	;; [unrolled: 1-line block ×3, first 2 shown]
	v_and_b32_e32 v99, 0xffff, v99
	v_and_b32_e32 v100, 0xffff, v100
	;; [unrolled: 1-line block ×3, first 2 shown]
	v_mul_u32_u24_e32 v72, 0x10001, v72
	v_mul_u32_u24_e32 v11, 0x10001, v11
	;; [unrolled: 1-line block ×8, first 2 shown]
	s_wait_dscnt 0x0
	v_pk_fma_f16 v106, v66, v72, v108
	v_pk_fma_f16 v107, v66, v11, v109
	;; [unrolled: 1-line block ×16, first 2 shown]
	v_lshrrev_b32_e32 v8, 16, v102
	v_and_b32_e32 v9, 0xffff, v102
	v_lshrrev_b32_e32 v10, 16, v103
	v_lshrrev_b32_e32 v11, 16, v104
	;; [unrolled: 1-line block ×3, first 2 shown]
	v_mul_u32_u24_e32 v99, 0x10001, v8
	v_mul_u32_u24_e32 v98, 0x10001, v9
	v_and_b32_e32 v9, 0xffff, v104
	v_and_b32_e32 v8, 0xffff, v105
	;; [unrolled: 1-line block ×3, first 2 shown]
	v_mul_u32_u24_e32 v100, 0x10001, v10
	v_mul_u32_u24_e32 v102, 0x10001, v11
	;; [unrolled: 1-line block ×4, first 2 shown]
	ds_load_b128 v[8:11], v90 offset:64
	v_mul_u32_u24_e32 v75, 0x10001, v75
	v_mul_u32_u24_e32 v104, 0x10001, v74
	v_pk_fma_f16 v105, v68, v98, v106
	v_pk_fma_f16 v106, v68, v99, v107
	;; [unrolled: 1-line block ×14, first 2 shown]
	ds_load_2addr_b64 v[72:75], v93 offset0:128 offset1:160
	v_pk_fma_f16 v59, v69, v103, v59
	v_pk_fma_f16 v100, v69, v104, v67
	ds_load_b128 v[66:69], v90 offset:80
	s_wait_dscnt 0x2
	v_lshrrev_b32_e32 v101, 16, v8
	v_and_b32_e32 v8, 0xffff, v8
	v_lshrrev_b32_e32 v102, 16, v9
	v_and_b32_e32 v9, 0xffff, v9
	v_lshrrev_b32_e32 v103, 16, v10
	v_lshrrev_b32_e32 v104, 16, v11
	v_mul_u32_u24_e32 v8, 0x10001, v8
	v_and_b32_e32 v10, 0xffff, v10
	v_and_b32_e32 v11, 0xffff, v11
	v_mul_u32_u24_e32 v9, 0x10001, v9
	v_mul_u32_u24_e32 v101, 0x10001, v101
	;; [unrolled: 1-line block ×7, first 2 shown]
	s_wait_dscnt 0x1
	v_pk_fma_f16 v105, v72, v8, v105
	v_pk_fma_f16 v107, v72, v9, v107
	;; [unrolled: 1-line block ×4, first 2 shown]
	s_wait_dscnt 0x0
	v_lshrrev_b32_e32 v8, 16, v66
	v_and_b32_e32 v9, 0xffff, v66
	v_pk_fma_f16 v63, v72, v10, v63
	v_pk_fma_f16 v57, v72, v11, v57
	;; [unrolled: 1-line block ×8, first 2 shown]
	v_lshrrev_b32_e32 v10, 16, v67
	v_lshrrev_b32_e32 v11, 16, v68
	v_mul_u32_u24_e32 v100, 0x10001, v9
	v_and_b32_e32 v9, 0xffff, v68
	v_mul_u32_u24_e32 v68, 0x10001, v8
	v_and_b32_e32 v8, 0xffff, v69
	v_pk_fma_f16 v106, v72, v101, v106
	v_pk_fma_f16 v108, v72, v102, v108
	v_pk_fma_f16 v60, v72, v103, v60
	v_lshrrev_b32_e32 v66, 16, v69
	v_and_b32_e32 v67, 0xffff, v67
	v_mul_u32_u24_e32 v69, 0x10001, v10
	v_mul_u32_u24_e32 v101, 0x10001, v9
	;; [unrolled: 1-line block ×4, first 2 shown]
	ds_load_b128 v[8:11], v90 offset:96
	v_pk_fma_f16 v72, v72, v104, v109
	v_mul_u32_u24_e32 v67, 0x10001, v67
	v_mul_u32_u24_e32 v104, 0x10001, v66
	v_pk_fma_f16 v105, v74, v100, v105
	v_pk_fma_f16 v106, v74, v68, v106
	;; [unrolled: 1-line block ×14, first 2 shown]
	ds_load_2addr_b64 v[66:69], v93 offset0:192 offset1:224
	v_pk_fma_f16 v59, v75, v103, v59
	v_pk_fma_f16 v100, v75, v104, v73
	ds_load_b128 v[72:75], v90 offset:112
	s_wait_dscnt 0x2
	v_lshrrev_b32_e32 v101, 16, v8
	v_and_b32_e32 v8, 0xffff, v8
	v_lshrrev_b32_e32 v102, 16, v9
	v_and_b32_e32 v9, 0xffff, v9
	v_lshrrev_b32_e32 v103, 16, v10
	v_lshrrev_b32_e32 v104, 16, v11
	v_mul_u32_u24_e32 v8, 0x10001, v8
	v_and_b32_e32 v10, 0xffff, v10
	v_and_b32_e32 v11, 0xffff, v11
	v_mul_u32_u24_e32 v9, 0x10001, v9
	v_mul_u32_u24_e32 v101, 0x10001, v101
	;; [unrolled: 1-line block ×7, first 2 shown]
	s_wait_dscnt 0x1
	v_pk_fma_f16 v105, v66, v8, v105
	v_pk_fma_f16 v107, v66, v9, v107
	;; [unrolled: 1-line block ×4, first 2 shown]
	s_wait_dscnt 0x0
	v_lshrrev_b32_e32 v8, 16, v72
	v_and_b32_e32 v9, 0xffff, v72
	v_pk_fma_f16 v63, v66, v10, v63
	v_pk_fma_f16 v57, v66, v11, v57
	;; [unrolled: 1-line block ×8, first 2 shown]
	v_lshrrev_b32_e32 v10, 16, v73
	v_lshrrev_b32_e32 v11, 16, v74
	v_mul_u32_u24_e32 v100, 0x10001, v9
	v_and_b32_e32 v9, 0xffff, v74
	v_mul_u32_u24_e32 v74, 0x10001, v8
	v_and_b32_e32 v8, 0xffff, v75
	v_pk_fma_f16 v106, v66, v101, v106
	v_pk_fma_f16 v108, v66, v102, v108
	;; [unrolled: 1-line block ×3, first 2 shown]
	v_lshrrev_b32_e32 v72, 16, v75
	v_and_b32_e32 v73, 0xffff, v73
	v_mul_u32_u24_e32 v75, 0x10001, v10
	v_mul_u32_u24_e32 v101, 0x10001, v9
	;; [unrolled: 1-line block ×4, first 2 shown]
	ds_load_b128 v[8:11], v90 offset:128
	v_pk_fma_f16 v66, v66, v104, v109
	v_mul_u32_u24_e32 v73, 0x10001, v73
	v_mul_u32_u24_e32 v104, 0x10001, v72
	v_pk_fma_f16 v105, v68, v100, v105
	v_pk_fma_f16 v98, v69, v100, v98
	;; [unrolled: 1-line block ×3, first 2 shown]
	v_add_nc_u32_e32 v55, 0x800, v93
	v_pk_fma_f16 v106, v68, v74, v106
	v_pk_fma_f16 v107, v68, v73, v107
	v_pk_fma_f16 v108, v68, v75, v108
	v_pk_fma_f16 v63, v68, v101, v63
	v_pk_fma_f16 v60, v68, v102, v60
	v_pk_fma_f16 v57, v68, v103, v57
	v_pk_fma_f16 v109, v68, v104, v66
	v_pk_fma_f16 v56, v69, v73, v56
	v_pk_fma_f16 v99, v69, v75, v99
	v_pk_fma_f16 v64, v69, v101, v64
	v_pk_fma_f16 v61, v69, v102, v61
	ds_load_2addr_b64 v[72:75], v55 offset1:32
	v_pk_fma_f16 v59, v69, v103, v59
	v_pk_fma_f16 v101, v69, v104, v67
	ds_load_b128 v[66:69], v90 offset:144
	s_wait_dscnt 0x2
	v_lshrrev_b32_e32 v102, 16, v8
	v_and_b32_e32 v8, 0xffff, v8
	v_lshrrev_b32_e32 v103, 16, v9
	v_and_b32_e32 v9, 0xffff, v9
	v_lshrrev_b32_e32 v104, 16, v10
	v_lshrrev_b32_e32 v110, 16, v11
	v_mul_u32_u24_e32 v8, 0x10001, v8
	v_and_b32_e32 v10, 0xffff, v10
	v_and_b32_e32 v11, 0xffff, v11
	v_mul_u32_u24_e32 v9, 0x10001, v9
	v_mul_u32_u24_e32 v102, 0x10001, v102
	;; [unrolled: 1-line block ×7, first 2 shown]
	s_wait_dscnt 0x1
	v_pk_fma_f16 v105, v72, v8, v105
	v_pk_fma_f16 v107, v72, v9, v107
	;; [unrolled: 1-line block ×4, first 2 shown]
	s_wait_dscnt 0x0
	v_lshrrev_b32_e32 v8, 16, v66
	v_and_b32_e32 v9, 0xffff, v66
	v_pk_fma_f16 v63, v72, v10, v63
	v_pk_fma_f16 v57, v72, v11, v57
	v_pk_fma_f16 v100, v73, v102, v100
	v_pk_fma_f16 v99, v73, v103, v99
	v_pk_fma_f16 v64, v73, v10, v64
	v_pk_fma_f16 v61, v73, v104, v61
	v_pk_fma_f16 v59, v73, v11, v59
	v_pk_fma_f16 v73, v73, v110, v101
	v_lshrrev_b32_e32 v10, 16, v67
	v_lshrrev_b32_e32 v11, 16, v68
	v_mul_u32_u24_e32 v101, 0x10001, v9
	v_and_b32_e32 v9, 0xffff, v68
	v_mul_u32_u24_e32 v68, 0x10001, v8
	v_and_b32_e32 v8, 0xffff, v69
	v_pk_fma_f16 v106, v72, v102, v106
	v_pk_fma_f16 v108, v72, v103, v108
	;; [unrolled: 1-line block ×3, first 2 shown]
	v_lshrrev_b32_e32 v66, 16, v69
	v_and_b32_e32 v67, 0xffff, v67
	v_mul_u32_u24_e32 v69, 0x10001, v10
	v_mul_u32_u24_e32 v102, 0x10001, v9
	;; [unrolled: 1-line block ×4, first 2 shown]
	ds_load_b128 v[8:11], v90 offset:160
	v_pk_fma_f16 v72, v72, v110, v109
	v_mul_u32_u24_e32 v67, 0x10001, v67
	v_mul_u32_u24_e32 v109, 0x10001, v66
	v_pk_fma_f16 v105, v74, v101, v105
	v_pk_fma_f16 v106, v74, v68, v106
	;; [unrolled: 1-line block ×14, first 2 shown]
	ds_load_2addr_b64 v[66:69], v55 offset0:64 offset1:96
	v_pk_fma_f16 v59, v75, v104, v59
	v_pk_fma_f16 v101, v75, v109, v73
	ds_load_b128 v[72:75], v90 offset:176
	s_wait_dscnt 0x2
	v_lshrrev_b32_e32 v102, 16, v8
	v_and_b32_e32 v8, 0xffff, v8
	v_lshrrev_b32_e32 v103, 16, v9
	v_and_b32_e32 v9, 0xffff, v9
	v_lshrrev_b32_e32 v104, 16, v10
	v_lshrrev_b32_e32 v109, 16, v11
	v_mul_u32_u24_e32 v8, 0x10001, v8
	v_and_b32_e32 v10, 0xffff, v10
	v_and_b32_e32 v11, 0xffff, v11
	v_mul_u32_u24_e32 v9, 0x10001, v9
	v_mul_u32_u24_e32 v102, 0x10001, v102
	;; [unrolled: 1-line block ×7, first 2 shown]
	s_wait_dscnt 0x1
	v_pk_fma_f16 v105, v66, v8, v105
	v_pk_fma_f16 v107, v66, v9, v107
	;; [unrolled: 1-line block ×4, first 2 shown]
	s_wait_dscnt 0x0
	v_lshrrev_b32_e32 v8, 16, v72
	v_and_b32_e32 v9, 0xffff, v72
	v_pk_fma_f16 v63, v66, v10, v63
	v_pk_fma_f16 v57, v66, v11, v57
	;; [unrolled: 1-line block ×8, first 2 shown]
	v_lshrrev_b32_e32 v10, 16, v73
	v_lshrrev_b32_e32 v11, 16, v74
	v_mul_u32_u24_e32 v101, 0x10001, v9
	v_and_b32_e32 v9, 0xffff, v74
	v_mul_u32_u24_e32 v74, 0x10001, v8
	v_and_b32_e32 v8, 0xffff, v75
	v_pk_fma_f16 v106, v66, v102, v106
	v_pk_fma_f16 v108, v66, v103, v108
	;; [unrolled: 1-line block ×3, first 2 shown]
	v_lshrrev_b32_e32 v72, 16, v75
	v_and_b32_e32 v73, 0xffff, v73
	v_mul_u32_u24_e32 v75, 0x10001, v10
	v_mul_u32_u24_e32 v102, 0x10001, v9
	;; [unrolled: 1-line block ×4, first 2 shown]
	ds_load_b128 v[8:11], v90 offset:192
	v_pk_fma_f16 v66, v66, v109, v110
	v_mul_u32_u24_e32 v73, 0x10001, v73
	v_mul_u32_u24_e32 v109, 0x10001, v72
	v_pk_fma_f16 v105, v68, v101, v105
	v_pk_fma_f16 v106, v68, v74, v106
	;; [unrolled: 1-line block ×14, first 2 shown]
	ds_load_2addr_b64 v[72:75], v55 offset0:128 offset1:160
	v_pk_fma_f16 v59, v69, v104, v59
	v_pk_fma_f16 v101, v69, v109, v67
	ds_load_b128 v[66:69], v90 offset:208
	s_wait_dscnt 0x2
	v_lshrrev_b32_e32 v102, 16, v8
	v_and_b32_e32 v8, 0xffff, v8
	v_lshrrev_b32_e32 v103, 16, v9
	v_and_b32_e32 v9, 0xffff, v9
	v_lshrrev_b32_e32 v104, 16, v10
	v_lshrrev_b32_e32 v109, 16, v11
	v_mul_u32_u24_e32 v8, 0x10001, v8
	v_and_b32_e32 v10, 0xffff, v10
	v_and_b32_e32 v11, 0xffff, v11
	v_mul_u32_u24_e32 v9, 0x10001, v9
	v_mul_u32_u24_e32 v102, 0x10001, v102
	;; [unrolled: 1-line block ×7, first 2 shown]
	s_wait_dscnt 0x1
	v_pk_fma_f16 v105, v72, v8, v105
	v_pk_fma_f16 v107, v72, v9, v107
	;; [unrolled: 1-line block ×4, first 2 shown]
	s_wait_dscnt 0x0
	v_lshrrev_b32_e32 v8, 16, v66
	v_and_b32_e32 v9, 0xffff, v66
	v_pk_fma_f16 v63, v72, v10, v63
	v_pk_fma_f16 v57, v72, v11, v57
	;; [unrolled: 1-line block ×8, first 2 shown]
	v_lshrrev_b32_e32 v10, 16, v67
	v_lshrrev_b32_e32 v11, 16, v68
	v_mul_u32_u24_e32 v101, 0x10001, v9
	v_and_b32_e32 v9, 0xffff, v68
	v_mul_u32_u24_e32 v68, 0x10001, v8
	v_and_b32_e32 v8, 0xffff, v69
	v_pk_fma_f16 v106, v72, v102, v106
	v_pk_fma_f16 v108, v72, v103, v108
	;; [unrolled: 1-line block ×3, first 2 shown]
	v_lshrrev_b32_e32 v66, 16, v69
	v_and_b32_e32 v67, 0xffff, v67
	v_mul_u32_u24_e32 v69, 0x10001, v10
	v_mul_u32_u24_e32 v102, 0x10001, v9
	;; [unrolled: 1-line block ×4, first 2 shown]
	ds_load_b128 v[8:11], v90 offset:224
	v_pk_fma_f16 v72, v72, v109, v110
	v_mul_u32_u24_e32 v67, 0x10001, v67
	v_mul_u32_u24_e32 v109, 0x10001, v66
	v_pk_fma_f16 v105, v74, v101, v105
	v_pk_fma_f16 v106, v74, v68, v106
	;; [unrolled: 1-line block ×14, first 2 shown]
	ds_load_2addr_b64 v[66:69], v55 offset0:192 offset1:224
	v_pk_fma_f16 v59, v75, v104, v59
	v_pk_fma_f16 v101, v75, v109, v73
	ds_load_b128 v[72:75], v90 offset:240
	s_wait_dscnt 0x2
	v_lshrrev_b32_e32 v102, 16, v8
	v_and_b32_e32 v8, 0xffff, v8
	v_lshrrev_b32_e32 v103, 16, v9
	v_and_b32_e32 v9, 0xffff, v9
	v_lshrrev_b32_e32 v104, 16, v10
	v_lshrrev_b32_e32 v109, 16, v11
	v_mul_u32_u24_e32 v8, 0x10001, v8
	v_and_b32_e32 v10, 0xffff, v10
	v_mul_u32_u24_e32 v102, 0x10001, v102
	v_and_b32_e32 v11, 0xffff, v11
	v_mul_u32_u24_e32 v9, 0x10001, v9
	v_mul_u32_u24_e32 v103, 0x10001, v103
	;; [unrolled: 1-line block ×6, first 2 shown]
	s_wait_dscnt 0x1
	v_pk_fma_f16 v105, v66, v8, v105
	v_pk_fma_f16 v106, v66, v102, v106
	;; [unrolled: 1-line block ×6, first 2 shown]
	s_wait_dscnt 0x0
	v_lshrrev_b32_e32 v8, 16, v72
	v_and_b32_e32 v9, 0xffff, v72
	v_pk_fma_f16 v63, v66, v10, v63
	v_pk_fma_f16 v57, v66, v11, v57
	;; [unrolled: 1-line block ×4, first 2 shown]
	v_lshrrev_b32_e32 v10, 16, v73
	v_lshrrev_b32_e32 v11, 16, v74
	v_and_b32_e32 v72, 0xffff, v73
	v_mul_u32_u24_e32 v73, 0x10001, v9
	v_and_b32_e32 v9, 0xffff, v74
	v_mul_u32_u24_e32 v74, 0x10001, v8
	v_and_b32_e32 v8, 0xffff, v75
	v_pk_fma_f16 v108, v66, v103, v108
	v_pk_fma_f16 v60, v66, v104, v60
	;; [unrolled: 1-line block ×5, first 2 shown]
	v_lshrrev_b32_e32 v56, 16, v75
	v_mul_u32_u24_e32 v75, 0x10001, v10
	v_mul_u32_u24_e32 v101, 0x10001, v9
	;; [unrolled: 1-line block ×4, first 2 shown]
	ds_load_b128 v[8:11], v90 offset:256
	v_pk_fma_f16 v66, v66, v109, v110
	v_mul_u32_u24_e32 v72, 0x10001, v72
	v_mul_u32_u24_e32 v109, 0x10001, v56
	v_add_nc_u32_e32 v56, 0x1000, v93
	v_pk_fma_f16 v105, v68, v73, v105
	v_pk_fma_f16 v106, v68, v74, v106
	;; [unrolled: 1-line block ×14, first 2 shown]
	ds_load_2addr_b64 v[72:75], v56 offset1:32
	v_pk_fma_f16 v59, v69, v104, v59
	v_pk_fma_f16 v101, v69, v109, v67
	ds_load_b128 v[66:69], v90 offset:272
	s_wait_dscnt 0x2
	v_lshrrev_b32_e32 v103, 16, v8
	v_and_b32_e32 v8, 0xffff, v8
	v_lshrrev_b32_e32 v104, 16, v9
	v_and_b32_e32 v9, 0xffff, v9
	v_lshrrev_b32_e32 v109, 16, v10
	v_lshrrev_b32_e32 v111, 16, v11
	v_mul_u32_u24_e32 v8, 0x10001, v8
	v_and_b32_e32 v10, 0xffff, v10
	v_and_b32_e32 v11, 0xffff, v11
	v_mul_u32_u24_e32 v9, 0x10001, v9
	v_mul_u32_u24_e32 v103, 0x10001, v103
	;; [unrolled: 1-line block ×7, first 2 shown]
	s_wait_dscnt 0x1
	v_pk_fma_f16 v105, v72, v8, v105
	v_pk_fma_f16 v107, v72, v9, v107
	;; [unrolled: 1-line block ×4, first 2 shown]
	s_wait_dscnt 0x0
	v_lshrrev_b32_e32 v8, 16, v66
	v_and_b32_e32 v9, 0xffff, v66
	v_pk_fma_f16 v63, v72, v10, v63
	v_pk_fma_f16 v57, v72, v11, v57
	;; [unrolled: 1-line block ×8, first 2 shown]
	v_lshrrev_b32_e32 v10, 16, v67
	v_lshrrev_b32_e32 v11, 16, v68
	v_mul_u32_u24_e32 v101, 0x10001, v9
	v_and_b32_e32 v9, 0xffff, v68
	v_mul_u32_u24_e32 v68, 0x10001, v8
	v_and_b32_e32 v8, 0xffff, v69
	v_pk_fma_f16 v106, v72, v103, v106
	v_pk_fma_f16 v108, v72, v104, v108
	;; [unrolled: 1-line block ×3, first 2 shown]
	v_lshrrev_b32_e32 v66, 16, v69
	v_and_b32_e32 v67, 0xffff, v67
	v_mul_u32_u24_e32 v69, 0x10001, v10
	v_mul_u32_u24_e32 v103, 0x10001, v9
	;; [unrolled: 1-line block ×4, first 2 shown]
	ds_load_b128 v[8:11], v90 offset:288
	v_pk_fma_f16 v72, v72, v111, v110
	v_mul_u32_u24_e32 v67, 0x10001, v67
	v_mul_u32_u24_e32 v110, 0x10001, v66
	v_pk_fma_f16 v105, v74, v101, v105
	v_pk_fma_f16 v106, v74, v68, v106
	;; [unrolled: 1-line block ×14, first 2 shown]
	ds_load_2addr_b64 v[66:69], v56 offset0:64 offset1:96
	v_pk_fma_f16 v59, v75, v109, v59
	v_pk_fma_f16 v102, v75, v110, v73
	ds_load_b128 v[72:75], v90 offset:304
	s_wait_dscnt 0x2
	v_lshrrev_b32_e32 v103, 16, v8
	v_and_b32_e32 v8, 0xffff, v8
	v_lshrrev_b32_e32 v104, 16, v9
	v_lshrrev_b32_e32 v109, 16, v10
	;; [unrolled: 1-line block ×3, first 2 shown]
	v_and_b32_e32 v9, 0xffff, v9
	v_and_b32_e32 v10, 0xffff, v10
	;; [unrolled: 1-line block ×3, first 2 shown]
	v_mul_u32_u24_e32 v8, 0x10001, v8
	v_mul_u32_u24_e32 v103, 0x10001, v103
	;; [unrolled: 1-line block ×8, first 2 shown]
	s_wait_dscnt 0x1
	v_pk_fma_f16 v105, v66, v8, v105
	v_pk_fma_f16 v107, v66, v9, v107
	v_pk_fma_f16 v63, v66, v10, v63
	v_pk_fma_f16 v57, v66, v11, v57
	v_pk_fma_f16 v8, v67, v8, v98
	v_pk_fma_f16 v98, v67, v103, v100
	v_pk_fma_f16 v9, v67, v9, v101
	v_pk_fma_f16 v99, v67, v104, v99
	v_pk_fma_f16 v10, v67, v10, v64
	v_pk_fma_f16 v61, v67, v109, v61
	v_pk_fma_f16 v59, v67, v11, v59
	v_pk_fma_f16 v64, v67, v110, v102
	s_wait_dscnt 0x0
	v_lshrrev_b32_e32 v11, 16, v72
	v_and_b32_e32 v67, 0xffff, v72
	v_lshrrev_b32_e32 v72, 16, v73
	v_lshrrev_b32_e32 v100, 16, v74
	;; [unrolled: 1-line block ×3, first 2 shown]
	v_and_b32_e32 v73, 0xffff, v73
	v_and_b32_e32 v74, 0xffff, v74
	;; [unrolled: 1-line block ×3, first 2 shown]
	v_pk_fma_f16 v106, v66, v103, v106
	v_pk_fma_f16 v108, v66, v104, v108
	v_pk_fma_f16 v60, v66, v109, v60
	v_mul_u32_u24_e32 v102, 0x10001, v73
	v_mul_u32_u24_e32 v103, 0x10001, v72
	;; [unrolled: 1-line block ×4, first 2 shown]
	ds_load_b128 v[72:75], v90 offset:320
	v_pk_fma_f16 v66, v66, v110, v111
	v_mul_u32_u24_e32 v67, 0x10001, v67
	v_mul_u32_u24_e32 v11, 0x10001, v11
	;; [unrolled: 1-line block ×4, first 2 shown]
	v_pk_fma_f16 v107, v68, v102, v107
	v_pk_fma_f16 v105, v68, v67, v105
	;; [unrolled: 1-line block ×14, first 2 shown]
	ds_load_2addr_b64 v[8:11], v56 offset0:128 offset1:160
	v_pk_fma_f16 v59, v69, v109, v59
	v_pk_fma_f16 v64, v69, v101, v64
	ds_load_b128 v[66:69], v90 offset:336
	s_wait_dscnt 0x2
	v_lshrrev_b32_e32 v109, 16, v75
	v_and_b32_e32 v75, 0xffff, v75
	v_lshrrev_b32_e32 v104, 16, v74
	v_and_b32_e32 v74, 0xffff, v74
	;; [unrolled: 2-line block ×3, first 2 shown]
	v_mul_u32_u24_e32 v75, 0x10001, v75
	v_lshrrev_b32_e32 v101, 16, v73
	v_and_b32_e32 v73, 0xffff, v73
	v_mul_u32_u24_e32 v74, 0x10001, v74
	v_mul_u32_u24_e32 v104, 0x10001, v104
	;; [unrolled: 1-line block ×7, first 2 shown]
	s_wait_dscnt 0x1
	v_pk_fma_f16 v167, v9, v75, v59
	v_pk_fma_f16 v159, v8, v74, v63
	;; [unrolled: 1-line block ×3, first 2 shown]
	s_wait_dscnt 0x0
	v_and_b32_e32 v59, 0xffff, v66
	v_lshrrev_b32_e32 v60, 16, v67
	v_lshrrev_b32_e32 v63, 16, v68
	v_pk_fma_f16 v105, v8, v72, v105
	v_pk_fma_f16 v106, v8, v100, v106
	v_mul_u32_u24_e32 v168, 0x10001, v59
	v_and_b32_e32 v59, 0xffff, v68
	v_pk_fma_f16 v107, v8, v73, v107
	v_pk_fma_f16 v158, v8, v101, v108
	;; [unrolled: 1-line block ×4, first 2 shown]
	v_lshrrev_b32_e32 v8, 16, v66
	v_pk_fma_f16 v162, v9, v72, v111
	v_pk_fma_f16 v163, v9, v100, v98
	;; [unrolled: 1-line block ×7, first 2 shown]
	v_lshrrev_b32_e32 v64, 16, v69
	v_mul_u32_u24_e32 v172, 0x10001, v59
	s_wait_alu 0xfffe
	v_add_co_u32 v59, vcc_lo, s12, v16
	v_mul_u32_u24_e32 v171, 0x10001, v60
	v_mul_u32_u24_e32 v173, 0x10001, v63
	s_wait_alu 0xfffd
	v_add_co_ci_u32_e64 v60, null, s13, v17, vcc_lo
	v_add_co_u32 v63, vcc_lo, s12, v18
	v_and_b32_e32 v66, 0xffff, v67
	v_mul_u32_u24_e32 v169, 0x10001, v8
	v_and_b32_e32 v8, 0xffff, v69
	v_mul_u32_u24_e32 v175, 0x10001, v64
	s_wait_alu 0xfffd
	v_add_co_ci_u32_e64 v64, null, s13, v19, vcc_lo
	v_add_co_u32 v59, vcc_lo, v59, v96
	s_wait_alu 0xfffd
	v_add_co_ci_u32_e64 v60, null, 0, v60, vcc_lo
	v_add_co_u32 v63, vcc_lo, v63, v96
	v_mul_u32_u24_e32 v170, 0x10001, v66
	v_mul_u32_u24_e32 v174, 0x10001, v8
	v_add_nc_u32_e32 v8, 0x1800, v93
	s_wait_alu 0xfffd
	v_add_co_ci_u32_e64 v64, null, 0, v64, vcc_lo
	v_pk_fma_f16 v176, v10, v168, v105
	v_pk_fma_f16 v177, v10, v169, v106
	;; [unrolled: 1-line block ×3, first 2 shown]
	ds_load_2addr_b64 v[66:69], v56 offset0:192 offset1:224
	ds_load_b128 v[72:75], v90 offset:352
	ds_load_b128 v[98:101], v90 offset:368
	ds_load_2addr_b64 v[102:105], v8 offset1:32
	ds_load_b128 v[106:109], v90 offset:384
	ds_load_b128 v[110:113], v90 offset:400
	ds_load_2addr_b64 v[114:117], v8 offset0:64 offset1:96
	ds_load_b128 v[118:121], v90 offset:416
	ds_load_b128 v[122:125], v90 offset:432
	ds_load_2addr_b64 v[126:129], v8 offset0:128 offset1:160
	;; [unrolled: 3-line block ×3, first 2 shown]
	ds_load_b128 v[142:145], v90 offset:480
	ds_load_b128 v[146:149], v90 offset:496
	s_wait_loadcnt_dscnt 0x0
	s_barrier_signal -1
	s_barrier_wait -1
	global_inv scope:SCOPE_SE
	s_clause 0x1
	global_load_b128 v[150:153], v[59:60], off
	global_load_b128 v[154:157], v[63:64], off
	v_pk_fma_f16 v59, v10, v171, v158
	v_pk_fma_f16 v60, v10, v172, v159
	;; [unrolled: 1-line block ×13, first 2 shown]
	v_lshrrev_b32_e32 v11, 16, v72
	v_and_b32_e32 v72, 0xffff, v72
	v_lshrrev_b32_e32 v163, 16, v73
	v_lshrrev_b32_e32 v164, 16, v74
	;; [unrolled: 1-line block ×3, first 2 shown]
	v_and_b32_e32 v73, 0xffff, v73
	v_and_b32_e32 v74, 0xffff, v74
	;; [unrolled: 1-line block ×3, first 2 shown]
	v_mul_u32_u24_e32 v72, 0x10001, v72
	v_mul_u32_u24_e32 v11, 0x10001, v11
	v_mul_u32_u24_e32 v73, 0x10001, v73
	v_mul_u32_u24_e32 v163, 0x10001, v163
	v_mul_u32_u24_e32 v74, 0x10001, v74
	v_mul_u32_u24_e32 v164, 0x10001, v164
	v_mul_u32_u24_e32 v75, 0x10001, v75
	v_mul_u32_u24_e32 v165, 0x10001, v165
	v_pk_fma_f16 v166, v66, v72, v176
	v_pk_fma_f16 v167, v66, v11, v177
	;; [unrolled: 1-line block ×16, first 2 shown]
	v_lshrrev_b32_e32 v67, 16, v98
	v_and_b32_e32 v75, 0xffff, v98
	v_lshrrev_b32_e32 v98, 16, v99
	v_lshrrev_b32_e32 v158, 16, v100
	;; [unrolled: 1-line block ×3, first 2 shown]
	v_and_b32_e32 v99, 0xffff, v99
	v_and_b32_e32 v100, 0xffff, v100
	;; [unrolled: 1-line block ×3, first 2 shown]
	v_mul_u32_u24_e32 v75, 0x10001, v75
	v_mul_u32_u24_e32 v67, 0x10001, v67
	;; [unrolled: 1-line block ×8, first 2 shown]
	v_pk_fma_f16 v160, v68, v75, v166
	v_pk_fma_f16 v161, v68, v67, v167
	v_pk_fma_f16 v162, v68, v99, v168
	v_pk_fma_f16 v59, v68, v98, v59
	v_pk_fma_f16 v60, v68, v100, v60
	v_pk_fma_f16 v63, v68, v158, v63
	v_pk_fma_f16 v57, v68, v101, v57
	v_pk_fma_f16 v10, v68, v159, v10
	v_pk_fma_f16 v64, v69, v75, v64
	v_pk_fma_f16 v11, v69, v67, v11
	v_pk_fma_f16 v66, v69, v99, v66
	v_pk_fma_f16 v67, v69, v98, v72
	v_pk_fma_f16 v68, v69, v100, v73
	v_pk_fma_f16 v61, v69, v158, v61
	v_pk_fma_f16 v72, v69, v101, v74
	v_pk_fma_f16 v9, v69, v159, v9
	v_lshrrev_b32_e32 v69, 16, v106
	v_and_b32_e32 v73, 0xffff, v106
	v_lshrrev_b32_e32 v74, 16, v107
	v_and_b32_e32 v99, 0xffff, v107
	v_and_b32_e32 v101, 0xffff, v109
	v_lshrrev_b32_e32 v75, 16, v108
	v_mul_u32_u24_e32 v73, 0x10001, v73
	v_and_b32_e32 v100, 0xffff, v108
	v_mul_u32_u24_e32 v69, 0x10001, v69
	v_mul_u32_u24_e32 v99, 0x10001, v99
	;; [unrolled: 1-line block ×4, first 2 shown]
	v_lshrrev_b32_e32 v98, 16, v109
	v_mul_u32_u24_e32 v100, 0x10001, v100
	v_mul_u32_u24_e32 v75, 0x10001, v75
	v_pk_fma_f16 v106, v102, v73, v160
	v_pk_fma_f16 v107, v102, v69, v161
	;; [unrolled: 1-line block ×9, first 2 shown]
	v_lshrrev_b32_e32 v72, 16, v110
	v_and_b32_e32 v73, 0xffff, v110
	v_lshrrev_b32_e32 v74, 16, v111
	v_and_b32_e32 v99, 0xffff, v111
	v_mul_u32_u24_e32 v98, 0x10001, v98
	v_pk_fma_f16 v60, v102, v100, v60
	v_pk_fma_f16 v63, v102, v75, v63
	;; [unrolled: 1-line block ×5, first 2 shown]
	v_lshrrev_b32_e32 v75, 16, v112
	v_mul_u32_u24_e32 v73, 0x10001, v73
	v_and_b32_e32 v100, 0xffff, v112
	v_mul_u32_u24_e32 v72, 0x10001, v72
	v_and_b32_e32 v101, 0xffff, v113
	v_mul_u32_u24_e32 v99, 0x10001, v99
	v_mul_u32_u24_e32 v74, 0x10001, v74
	v_pk_fma_f16 v10, v102, v98, v10
	v_pk_fma_f16 v9, v103, v98, v9
	v_lshrrev_b32_e32 v98, 16, v113
	v_mul_u32_u24_e32 v100, 0x10001, v100
	v_mul_u32_u24_e32 v75, 0x10001, v75
	;; [unrolled: 1-line block ×3, first 2 shown]
	v_pk_fma_f16 v102, v104, v73, v106
	v_pk_fma_f16 v103, v104, v72, v107
	;; [unrolled: 1-line block ×8, first 2 shown]
	v_lshrrev_b32_e32 v72, 16, v118
	v_and_b32_e32 v73, 0xffff, v118
	v_lshrrev_b32_e32 v74, 16, v119
	v_and_b32_e32 v99, 0xffff, v119
	v_mul_u32_u24_e32 v98, 0x10001, v98
	v_pk_fma_f16 v60, v104, v100, v60
	v_pk_fma_f16 v63, v104, v75, v63
	;; [unrolled: 1-line block ×6, first 2 shown]
	v_lshrrev_b32_e32 v75, 16, v120
	v_mul_u32_u24_e32 v73, 0x10001, v73
	v_and_b32_e32 v100, 0xffff, v120
	v_mul_u32_u24_e32 v72, 0x10001, v72
	v_and_b32_e32 v101, 0xffff, v121
	v_mul_u32_u24_e32 v99, 0x10001, v99
	v_mul_u32_u24_e32 v74, 0x10001, v74
	v_pk_fma_f16 v10, v104, v98, v10
	v_mul_u32_u24_e32 v100, 0x10001, v100
	v_mul_u32_u24_e32 v75, 0x10001, v75
	;; [unrolled: 1-line block ×3, first 2 shown]
	v_pk_fma_f16 v102, v114, v73, v102
	v_pk_fma_f16 v103, v114, v72, v103
	;; [unrolled: 1-line block ×8, first 2 shown]
	v_lshrrev_b32_e32 v72, 16, v122
	v_and_b32_e32 v73, 0xffff, v122
	v_lshrrev_b32_e32 v74, 16, v123
	v_and_b32_e32 v99, 0xffff, v123
	v_pk_fma_f16 v9, v105, v98, v9
	v_lshrrev_b32_e32 v98, 16, v121
	v_pk_fma_f16 v60, v114, v100, v60
	v_pk_fma_f16 v63, v114, v75, v63
	v_pk_fma_f16 v57, v114, v101, v57
	v_pk_fma_f16 v68, v115, v100, v68
	v_pk_fma_f16 v61, v115, v75, v61
	v_pk_fma_f16 v69, v115, v101, v69
	v_lshrrev_b32_e32 v75, 16, v124
	v_mul_u32_u24_e32 v73, 0x10001, v73
	v_and_b32_e32 v100, 0xffff, v124
	v_mul_u32_u24_e32 v72, 0x10001, v72
	v_and_b32_e32 v101, 0xffff, v125
	v_mul_u32_u24_e32 v99, 0x10001, v99
	v_mul_u32_u24_e32 v74, 0x10001, v74
	v_mul_u32_u24_e32 v98, 0x10001, v98
	v_mul_u32_u24_e32 v100, 0x10001, v100
	v_mul_u32_u24_e32 v75, 0x10001, v75
	v_mul_u32_u24_e32 v101, 0x10001, v101
	v_pk_fma_f16 v102, v116, v73, v102
	v_pk_fma_f16 v103, v116, v72, v103
	v_pk_fma_f16 v104, v116, v99, v104
	v_pk_fma_f16 v59, v116, v74, v59
	v_pk_fma_f16 v64, v117, v73, v64
	v_pk_fma_f16 v11, v117, v72, v11
	v_pk_fma_f16 v66, v117, v99, v66
	v_pk_fma_f16 v67, v117, v74, v67
	v_lshrrev_b32_e32 v72, 16, v130
	v_and_b32_e32 v73, 0xffff, v130
	v_lshrrev_b32_e32 v74, 16, v131
	v_and_b32_e32 v99, 0xffff, v131
	v_pk_fma_f16 v10, v114, v98, v10
	v_pk_fma_f16 v9, v115, v98, v9
	v_lshrrev_b32_e32 v98, 16, v125
	v_pk_fma_f16 v60, v116, v100, v60
	v_pk_fma_f16 v63, v116, v75, v63
	v_pk_fma_f16 v57, v116, v101, v57
	v_pk_fma_f16 v68, v117, v100, v68
	v_pk_fma_f16 v61, v117, v75, v61
	v_pk_fma_f16 v69, v117, v101, v69
	v_lshrrev_b32_e32 v75, 16, v132
	v_mul_u32_u24_e32 v73, 0x10001, v73
	v_and_b32_e32 v100, 0xffff, v132
	v_mul_u32_u24_e32 v72, 0x10001, v72
	v_and_b32_e32 v101, 0xffff, v133
	v_mul_u32_u24_e32 v99, 0x10001, v99
	v_mul_u32_u24_e32 v74, 0x10001, v74
	v_mul_u32_u24_e32 v98, 0x10001, v98
	v_mul_u32_u24_e32 v100, 0x10001, v100
	v_mul_u32_u24_e32 v75, 0x10001, v75
	v_mul_u32_u24_e32 v101, 0x10001, v101
	v_pk_fma_f16 v102, v126, v73, v102
	v_pk_fma_f16 v103, v126, v72, v103
	v_pk_fma_f16 v104, v126, v99, v104
	v_pk_fma_f16 v59, v126, v74, v59
	v_pk_fma_f16 v64, v127, v73, v64
	v_pk_fma_f16 v11, v127, v72, v11
	v_pk_fma_f16 v66, v127, v99, v66
	v_pk_fma_f16 v67, v127, v74, v67
	v_lshrrev_b32_e32 v72, 16, v134
	v_and_b32_e32 v73, 0xffff, v134
	v_lshrrev_b32_e32 v74, 16, v135
	v_and_b32_e32 v99, 0xffff, v135
	v_pk_fma_f16 v10, v116, v98, v10
	v_pk_fma_f16 v9, v117, v98, v9
	v_lshrrev_b32_e32 v98, 16, v133
	v_pk_fma_f16 v60, v126, v100, v60
	v_pk_fma_f16 v63, v126, v75, v63
	v_pk_fma_f16 v57, v126, v101, v57
	v_pk_fma_f16 v68, v127, v100, v68
	v_pk_fma_f16 v61, v127, v75, v61
	v_pk_fma_f16 v69, v127, v101, v69
	v_lshrrev_b32_e32 v75, 16, v136
	v_mul_u32_u24_e32 v73, 0x10001, v73
	v_and_b32_e32 v100, 0xffff, v136
	v_mul_u32_u24_e32 v72, 0x10001, v72
	v_and_b32_e32 v101, 0xffff, v137
	v_mul_u32_u24_e32 v99, 0x10001, v99
	v_mul_u32_u24_e32 v74, 0x10001, v74
	v_mul_u32_u24_e32 v98, 0x10001, v98
	v_mul_u32_u24_e32 v100, 0x10001, v100
	v_mul_u32_u24_e32 v75, 0x10001, v75
	v_mul_u32_u24_e32 v101, 0x10001, v101
	v_pk_fma_f16 v102, v128, v73, v102
	v_pk_fma_f16 v103, v128, v72, v103
	v_pk_fma_f16 v104, v128, v99, v104
	v_pk_fma_f16 v59, v128, v74, v59
	v_pk_fma_f16 v64, v129, v73, v64
	v_pk_fma_f16 v11, v129, v72, v11
	v_pk_fma_f16 v66, v129, v99, v66
	v_pk_fma_f16 v67, v129, v74, v67
	v_lshrrev_b32_e32 v72, 16, v142
	v_and_b32_e32 v73, 0xffff, v142
	v_lshrrev_b32_e32 v74, 16, v143
	v_and_b32_e32 v99, 0xffff, v143
	v_pk_fma_f16 v10, v126, v98, v10
	v_pk_fma_f16 v9, v127, v98, v9
	v_lshrrev_b32_e32 v98, 16, v137
	v_pk_fma_f16 v60, v128, v100, v60
	v_pk_fma_f16 v63, v128, v75, v63
	v_pk_fma_f16 v57, v128, v101, v57
	v_pk_fma_f16 v68, v129, v100, v68
	v_pk_fma_f16 v61, v129, v75, v61
	v_pk_fma_f16 v69, v129, v101, v69
	v_lshrrev_b32_e32 v75, 16, v144
	v_mul_u32_u24_e32 v73, 0x10001, v73
	v_and_b32_e32 v100, 0xffff, v144
	v_mul_u32_u24_e32 v72, 0x10001, v72
	v_and_b32_e32 v101, 0xffff, v145
	v_mul_u32_u24_e32 v99, 0x10001, v99
	v_mul_u32_u24_e32 v74, 0x10001, v74
	v_mul_u32_u24_e32 v98, 0x10001, v98
	v_mul_u32_u24_e32 v100, 0x10001, v100
	v_mul_u32_u24_e32 v75, 0x10001, v75
	v_mul_u32_u24_e32 v101, 0x10001, v101
	v_pk_fma_f16 v102, v138, v73, v102
	v_pk_fma_f16 v103, v138, v72, v103
	;; [unrolled: 1-line block ×6, first 2 shown]
	v_lshrrev_b32_e32 v66, 16, v146
	v_and_b32_e32 v67, 0xffff, v146
	v_pk_fma_f16 v10, v128, v98, v10
	v_pk_fma_f16 v9, v129, v98, v9
	v_lshrrev_b32_e32 v98, 16, v145
	v_pk_fma_f16 v59, v138, v74, v59
	v_pk_fma_f16 v60, v138, v100, v60
	;; [unrolled: 1-line block ×7, first 2 shown]
	v_lshrrev_b32_e32 v68, 16, v147
	v_lshrrev_b32_e32 v69, 16, v148
	v_mul_u32_u24_e32 v100, 0x10001, v67
	v_and_b32_e32 v67, 0xffff, v148
	v_mul_u32_u24_e32 v101, 0x10001, v66
	v_and_b32_e32 v66, 0xffff, v149
	v_mul_u32_u24_e32 v98, 0x10001, v98
	v_mul_u32_u24_e32 v105, 0x10001, v68
	v_mul_u32_u24_e32 v106, 0x10001, v67
	v_mul_u32_u24_e32 v107, 0x10001, v69
	v_mul_u32_u24_e32 v108, 0x10001, v66
	s_wait_loadcnt 0x1
	ds_store_b128 v91, v[150:153]
	s_wait_loadcnt 0x0
	ds_store_b128 v92, v[154:157]
	s_wait_dscnt 0x0
	s_barrier_signal -1
	s_barrier_wait -1
	global_inv scope:SCOPE_SE
	ds_load_b128 v[66:69], v90 offset:512
	v_pk_fma_f16 v104, v138, v99, v104
	v_pk_fma_f16 v10, v138, v98, v10
	;; [unrolled: 1-line block ×3, first 2 shown]
	v_lshrrev_b32_e32 v98, 16, v149
	v_and_b32_e32 v99, 0xffff, v147
	v_pk_fma_f16 v110, v140, v100, v102
	v_pk_fma_f16 v111, v140, v101, v103
	;; [unrolled: 1-line block ×3, first 2 shown]
	v_mul_u32_u24_e32 v98, 0x10001, v98
	v_mul_u32_u24_e32 v99, 0x10001, v99
	v_pk_fma_f16 v60, v140, v106, v60
	v_pk_fma_f16 v63, v140, v107, v63
	;; [unrolled: 1-line block ×13, first 2 shown]
	ds_load_2addr_b64 v[72:75], v93 offset1:32
	ds_load_b128 v[98:101], v90 offset:528
	ds_load_b128 v[102:105], v90 offset:544
	;; [unrolled: 1-line block ×3, first 2 shown]
	s_wait_dscnt 0x4
	v_lshrrev_b32_e32 v117, 16, v66
	v_and_b32_e32 v66, 0xffff, v66
	v_lshrrev_b32_e32 v118, 16, v67
	v_lshrrev_b32_e32 v119, 16, v68
	;; [unrolled: 1-line block ×3, first 2 shown]
	v_and_b32_e32 v67, 0xffff, v67
	v_and_b32_e32 v68, 0xffff, v68
	;; [unrolled: 1-line block ×3, first 2 shown]
	v_mul_u32_u24_e32 v66, 0x10001, v66
	v_mul_u32_u24_e32 v117, 0x10001, v117
	;; [unrolled: 1-line block ×8, first 2 shown]
	s_wait_dscnt 0x3
	v_pk_fma_f16 v110, v72, v66, v110
	v_pk_fma_f16 v111, v72, v117, v111
	;; [unrolled: 1-line block ×16, first 2 shown]
	s_wait_dscnt 0x2
	v_lshrrev_b32_e32 v69, 16, v98
	v_and_b32_e32 v73, 0xffff, v98
	v_lshrrev_b32_e32 v98, 16, v99
	v_lshrrev_b32_e32 v113, 16, v100
	;; [unrolled: 1-line block ×3, first 2 shown]
	v_and_b32_e32 v99, 0xffff, v99
	v_and_b32_e32 v100, 0xffff, v100
	;; [unrolled: 1-line block ×3, first 2 shown]
	v_mul_u32_u24_e32 v73, 0x10001, v73
	v_mul_u32_u24_e32 v69, 0x10001, v69
	;; [unrolled: 1-line block ×8, first 2 shown]
	v_pk_fma_f16 v110, v74, v73, v110
	v_pk_fma_f16 v111, v74, v69, v111
	;; [unrolled: 1-line block ×13, first 2 shown]
	ds_load_2addr_b64 v[66:69], v93 offset0:64 offset1:96
	v_pk_fma_f16 v61, v75, v113, v61
	v_pk_fma_f16 v72, v75, v101, v72
	;; [unrolled: 1-line block ×3, first 2 shown]
	s_wait_dscnt 0x2
	v_lshrrev_b32_e32 v75, 16, v102
	v_and_b32_e32 v99, 0xffff, v102
	v_lshrrev_b32_e32 v100, 16, v103
	v_lshrrev_b32_e32 v101, 16, v104
	;; [unrolled: 1-line block ×3, first 2 shown]
	v_and_b32_e32 v103, 0xffff, v103
	v_and_b32_e32 v104, 0xffff, v104
	;; [unrolled: 1-line block ×3, first 2 shown]
	v_mul_u32_u24_e32 v99, 0x10001, v99
	v_mul_u32_u24_e32 v75, 0x10001, v75
	;; [unrolled: 1-line block ×8, first 2 shown]
	s_wait_dscnt 0x0
	v_pk_fma_f16 v110, v66, v99, v110
	v_pk_fma_f16 v111, v66, v75, v111
	;; [unrolled: 1-line block ×10, first 2 shown]
	v_and_b32_e32 v72, 0xffff, v106
	v_pk_fma_f16 v64, v67, v99, v64
	v_pk_fma_f16 v11, v67, v75, v11
	;; [unrolled: 1-line block ×4, first 2 shown]
	v_lshrrev_b32_e32 v73, 16, v107
	v_lshrrev_b32_e32 v74, 16, v108
	v_and_b32_e32 v75, 0xffff, v107
	v_mul_u32_u24_e32 v101, 0x10001, v72
	v_and_b32_e32 v72, 0xffff, v108
	v_pk_fma_f16 v98, v67, v104, v98
	v_pk_fma_f16 v9, v67, v102, v9
	v_lshrrev_b32_e32 v67, 16, v106
	v_lshrrev_b32_e32 v100, 16, v109
	v_and_b32_e32 v102, 0xffff, v109
	v_mul_u32_u24_e32 v104, 0x10001, v75
	v_mul_u32_u24_e32 v105, 0x10001, v73
	;; [unrolled: 1-line block ×4, first 2 shown]
	ds_load_b128 v[72:75], v90 offset:576
	v_mul_u32_u24_e32 v67, 0x10001, v67
	v_mul_u32_u24_e32 v102, 0x10001, v102
	;; [unrolled: 1-line block ×3, first 2 shown]
	v_pk_fma_f16 v109, v68, v101, v110
	v_pk_fma_f16 v59, v68, v105, v59
	;; [unrolled: 1-line block ×14, first 2 shown]
	ds_load_2addr_b64 v[98:101], v93 offset0:128 offset1:160
	v_pk_fma_f16 v102, v69, v102, v103
	v_pk_fma_f16 v9, v69, v108, v9
	ds_load_b128 v[66:69], v90 offset:592
	s_wait_dscnt 0x2
	v_lshrrev_b32_e32 v103, 16, v72
	v_and_b32_e32 v72, 0xffff, v72
	v_lshrrev_b32_e32 v107, 16, v73
	v_lshrrev_b32_e32 v108, 16, v74
	;; [unrolled: 1-line block ×3, first 2 shown]
	v_and_b32_e32 v73, 0xffff, v73
	v_and_b32_e32 v74, 0xffff, v74
	;; [unrolled: 1-line block ×3, first 2 shown]
	v_mul_u32_u24_e32 v72, 0x10001, v72
	v_mul_u32_u24_e32 v103, 0x10001, v103
	;; [unrolled: 1-line block ×8, first 2 shown]
	s_wait_dscnt 0x1
	v_pk_fma_f16 v109, v98, v72, v109
	v_pk_fma_f16 v110, v98, v103, v110
	;; [unrolled: 1-line block ×9, first 2 shown]
	s_wait_dscnt 0x0
	v_lshrrev_b32_e32 v75, 16, v66
	v_and_b32_e32 v66, 0xffff, v66
	v_pk_fma_f16 v64, v99, v72, v64
	v_pk_fma_f16 v11, v99, v103, v11
	v_pk_fma_f16 v72, v99, v73, v104
	v_pk_fma_f16 v73, v99, v107, v105
	v_pk_fma_f16 v74, v99, v74, v106
	v_pk_fma_f16 v61, v99, v108, v61
	v_pk_fma_f16 v9, v99, v112, v9
	v_lshrrev_b32_e32 v99, 16, v67
	v_lshrrev_b32_e32 v102, 16, v68
	v_and_b32_e32 v67, 0xffff, v67
	v_mul_u32_u24_e32 v104, 0x10001, v66
	v_and_b32_e32 v66, 0xffff, v68
	v_and_b32_e32 v68, 0xffff, v69
	v_lshrrev_b32_e32 v103, 16, v69
	v_mul_u32_u24_e32 v105, 0x10001, v67
	v_mul_u32_u24_e32 v75, 0x10001, v75
	;; [unrolled: 1-line block ×4, first 2 shown]
	ds_load_b128 v[66:69], v90 offset:608
	v_mul_u32_u24_e32 v99, 0x10001, v99
	v_mul_u32_u24_e32 v102, 0x10001, v102
	;; [unrolled: 1-line block ×3, first 2 shown]
	v_pk_fma_f16 v108, v100, v104, v109
	v_pk_fma_f16 v109, v100, v75, v110
	;; [unrolled: 1-line block ×14, first 2 shown]
	ds_load_2addr_b64 v[72:75], v93 offset0:192 offset1:224
	v_pk_fma_f16 v102, v101, v107, v98
	v_pk_fma_f16 v9, v101, v103, v9
	ds_load_b128 v[98:101], v90 offset:624
	s_wait_dscnt 0x2
	v_lshrrev_b32_e32 v103, 16, v66
	v_and_b32_e32 v66, 0xffff, v66
	v_lshrrev_b32_e32 v107, 16, v67
	v_lshrrev_b32_e32 v111, 16, v68
	;; [unrolled: 1-line block ×3, first 2 shown]
	v_and_b32_e32 v67, 0xffff, v67
	v_and_b32_e32 v68, 0xffff, v68
	;; [unrolled: 1-line block ×3, first 2 shown]
	v_mul_u32_u24_e32 v66, 0x10001, v66
	v_mul_u32_u24_e32 v103, 0x10001, v103
	;; [unrolled: 1-line block ×8, first 2 shown]
	s_wait_dscnt 0x1
	v_pk_fma_f16 v108, v72, v66, v108
	v_pk_fma_f16 v109, v72, v103, v109
	v_pk_fma_f16 v110, v72, v67, v110
	v_pk_fma_f16 v59, v72, v107, v59
	v_pk_fma_f16 v60, v72, v68, v60
	v_pk_fma_f16 v63, v72, v111, v63
	v_pk_fma_f16 v57, v72, v69, v57
	v_pk_fma_f16 v10, v72, v112, v10
	v_pk_fma_f16 v64, v73, v66, v64
	v_pk_fma_f16 v72, v73, v67, v104
	s_wait_dscnt 0x0
	v_lshrrev_b32_e32 v66, 16, v98
	v_and_b32_e32 v67, 0xffff, v98
	v_pk_fma_f16 v104, v73, v68, v106
	v_pk_fma_f16 v102, v73, v69, v102
	v_lshrrev_b32_e32 v68, 16, v99
	v_lshrrev_b32_e32 v69, 16, v100
	v_and_b32_e32 v98, 0xffff, v99
	v_mul_u32_u24_e32 v99, 0x10001, v67
	v_and_b32_e32 v67, 0xffff, v100
	v_mul_u32_u24_e32 v100, 0x10001, v66
	v_and_b32_e32 v66, 0xffff, v101
	v_pk_fma_f16 v11, v73, v103, v11
	v_pk_fma_f16 v103, v73, v107, v105
	;; [unrolled: 1-line block ×4, first 2 shown]
	v_lshrrev_b32_e32 v73, 16, v101
	v_mul_u32_u24_e32 v101, 0x10001, v68
	v_mul_u32_u24_e32 v105, 0x10001, v67
	;; [unrolled: 1-line block ×4, first 2 shown]
	ds_load_b128 v[66:69], v90 offset:640
	v_mul_u32_u24_e32 v98, 0x10001, v98
	v_mul_u32_u24_e32 v73, 0x10001, v73
	v_pk_fma_f16 v108, v74, v99, v108
	v_pk_fma_f16 v109, v74, v100, v109
	;; [unrolled: 1-line block ×14, first 2 shown]
	ds_load_2addr_b64 v[98:101], v55 offset1:32
	v_pk_fma_f16 v102, v75, v107, v102
	v_pk_fma_f16 v9, v75, v73, v9
	ds_load_b128 v[72:75], v90 offset:656
	s_wait_dscnt 0x2
	v_lshrrev_b32_e32 v105, 16, v66
	v_and_b32_e32 v66, 0xffff, v66
	v_lshrrev_b32_e32 v106, 16, v67
	v_lshrrev_b32_e32 v107, 16, v68
	;; [unrolled: 1-line block ×3, first 2 shown]
	v_and_b32_e32 v67, 0xffff, v67
	v_and_b32_e32 v68, 0xffff, v68
	;; [unrolled: 1-line block ×3, first 2 shown]
	v_mul_u32_u24_e32 v66, 0x10001, v66
	v_mul_u32_u24_e32 v105, 0x10001, v105
	;; [unrolled: 1-line block ×8, first 2 shown]
	s_wait_dscnt 0x1
	v_pk_fma_f16 v108, v98, v66, v108
	v_pk_fma_f16 v109, v98, v105, v109
	v_pk_fma_f16 v110, v98, v67, v110
	v_pk_fma_f16 v59, v98, v106, v59
	v_pk_fma_f16 v60, v98, v68, v60
	v_pk_fma_f16 v63, v98, v107, v63
	v_pk_fma_f16 v57, v98, v69, v57
	v_pk_fma_f16 v10, v98, v112, v10
	v_pk_fma_f16 v64, v99, v66, v64
	v_pk_fma_f16 v98, v99, v67, v111
	s_wait_dscnt 0x0
	v_lshrrev_b32_e32 v66, 16, v72
	v_and_b32_e32 v67, 0xffff, v72
	v_pk_fma_f16 v11, v99, v105, v11
	v_pk_fma_f16 v103, v99, v106, v103
	;; [unrolled: 1-line block ×6, first 2 shown]
	v_lshrrev_b32_e32 v68, 16, v73
	v_lshrrev_b32_e32 v69, 16, v74
	v_mul_u32_u24_e32 v99, 0x10001, v67
	v_and_b32_e32 v67, 0xffff, v74
	v_mul_u32_u24_e32 v74, 0x10001, v66
	v_and_b32_e32 v66, 0xffff, v75
	v_lshrrev_b32_e32 v72, 16, v75
	v_and_b32_e32 v73, 0xffff, v73
	v_mul_u32_u24_e32 v75, 0x10001, v68
	v_mul_u32_u24_e32 v105, 0x10001, v67
	;; [unrolled: 1-line block ×4, first 2 shown]
	ds_load_b128 v[66:69], v90 offset:672
	v_mul_u32_u24_e32 v73, 0x10001, v73
	v_mul_u32_u24_e32 v111, 0x10001, v72
	v_pk_fma_f16 v108, v100, v99, v108
	v_pk_fma_f16 v109, v100, v74, v109
	;; [unrolled: 1-line block ×14, first 2 shown]
	ds_load_2addr_b64 v[72:75], v55 offset0:64 offset1:96
	v_pk_fma_f16 v102, v101, v107, v102
	v_pk_fma_f16 v9, v101, v111, v9
	ds_load_b128 v[98:101], v90 offset:688
	s_wait_dscnt 0x2
	v_lshrrev_b32_e32 v105, 16, v66
	v_and_b32_e32 v66, 0xffff, v66
	v_lshrrev_b32_e32 v106, 16, v67
	v_lshrrev_b32_e32 v107, 16, v68
	;; [unrolled: 1-line block ×3, first 2 shown]
	v_and_b32_e32 v67, 0xffff, v67
	v_and_b32_e32 v68, 0xffff, v68
	;; [unrolled: 1-line block ×3, first 2 shown]
	v_mul_u32_u24_e32 v66, 0x10001, v66
	v_mul_u32_u24_e32 v105, 0x10001, v105
	;; [unrolled: 1-line block ×8, first 2 shown]
	s_wait_dscnt 0x1
	v_pk_fma_f16 v108, v72, v66, v108
	v_pk_fma_f16 v109, v72, v105, v109
	;; [unrolled: 1-line block ×10, first 2 shown]
	s_wait_dscnt 0x0
	v_lshrrev_b32_e32 v66, 16, v98
	v_and_b32_e32 v67, 0xffff, v98
	v_pk_fma_f16 v104, v73, v68, v104
	v_pk_fma_f16 v102, v73, v69, v102
	v_lshrrev_b32_e32 v68, 16, v99
	v_lshrrev_b32_e32 v69, 16, v100
	v_and_b32_e32 v98, 0xffff, v99
	v_mul_u32_u24_e32 v99, 0x10001, v67
	v_and_b32_e32 v67, 0xffff, v100
	v_mul_u32_u24_e32 v100, 0x10001, v66
	v_and_b32_e32 v66, 0xffff, v101
	v_pk_fma_f16 v11, v73, v105, v11
	v_pk_fma_f16 v103, v73, v106, v103
	;; [unrolled: 1-line block ×4, first 2 shown]
	v_lshrrev_b32_e32 v73, 16, v101
	v_mul_u32_u24_e32 v101, 0x10001, v68
	v_mul_u32_u24_e32 v105, 0x10001, v67
	;; [unrolled: 1-line block ×4, first 2 shown]
	ds_load_b128 v[66:69], v90 offset:704
	v_mul_u32_u24_e32 v98, 0x10001, v98
	v_mul_u32_u24_e32 v73, 0x10001, v73
	v_pk_fma_f16 v108, v74, v99, v108
	v_pk_fma_f16 v109, v74, v100, v109
	;; [unrolled: 1-line block ×14, first 2 shown]
	ds_load_2addr_b64 v[98:101], v55 offset0:128 offset1:160
	v_pk_fma_f16 v102, v75, v107, v102
	v_pk_fma_f16 v9, v75, v73, v9
	ds_load_b128 v[72:75], v90 offset:720
	s_wait_dscnt 0x2
	v_lshrrev_b32_e32 v105, 16, v66
	v_and_b32_e32 v66, 0xffff, v66
	v_lshrrev_b32_e32 v106, 16, v67
	v_lshrrev_b32_e32 v107, 16, v68
	;; [unrolled: 1-line block ×3, first 2 shown]
	v_and_b32_e32 v67, 0xffff, v67
	v_and_b32_e32 v68, 0xffff, v68
	;; [unrolled: 1-line block ×3, first 2 shown]
	v_mul_u32_u24_e32 v66, 0x10001, v66
	v_mul_u32_u24_e32 v105, 0x10001, v105
	;; [unrolled: 1-line block ×8, first 2 shown]
	s_wait_dscnt 0x1
	v_pk_fma_f16 v108, v98, v66, v108
	v_pk_fma_f16 v109, v98, v105, v109
	v_pk_fma_f16 v110, v98, v67, v110
	v_pk_fma_f16 v59, v98, v106, v59
	v_pk_fma_f16 v60, v98, v68, v60
	v_pk_fma_f16 v63, v98, v107, v63
	v_pk_fma_f16 v57, v98, v69, v57
	v_pk_fma_f16 v10, v98, v112, v10
	v_pk_fma_f16 v64, v99, v66, v64
	v_pk_fma_f16 v98, v99, v67, v111
	s_wait_dscnt 0x0
	v_lshrrev_b32_e32 v66, 16, v72
	v_and_b32_e32 v67, 0xffff, v72
	v_pk_fma_f16 v11, v99, v105, v11
	v_pk_fma_f16 v103, v99, v106, v103
	;; [unrolled: 1-line block ×6, first 2 shown]
	v_lshrrev_b32_e32 v68, 16, v73
	v_lshrrev_b32_e32 v69, 16, v74
	v_mul_u32_u24_e32 v99, 0x10001, v67
	v_and_b32_e32 v67, 0xffff, v74
	v_mul_u32_u24_e32 v74, 0x10001, v66
	v_and_b32_e32 v66, 0xffff, v75
	v_lshrrev_b32_e32 v72, 16, v75
	v_and_b32_e32 v73, 0xffff, v73
	v_mul_u32_u24_e32 v75, 0x10001, v68
	v_mul_u32_u24_e32 v105, 0x10001, v67
	;; [unrolled: 1-line block ×4, first 2 shown]
	ds_load_b128 v[66:69], v90 offset:736
	v_mul_u32_u24_e32 v73, 0x10001, v73
	v_mul_u32_u24_e32 v111, 0x10001, v72
	v_pk_fma_f16 v108, v100, v99, v108
	v_pk_fma_f16 v109, v100, v74, v109
	;; [unrolled: 1-line block ×14, first 2 shown]
	ds_load_2addr_b64 v[72:75], v55 offset0:192 offset1:224
	v_pk_fma_f16 v55, v101, v107, v102
	v_pk_fma_f16 v9, v101, v111, v9
	ds_load_b128 v[98:101], v90 offset:752
	s_wait_dscnt 0x2
	v_lshrrev_b32_e32 v102, 16, v66
	v_and_b32_e32 v66, 0xffff, v66
	v_lshrrev_b32_e32 v105, 16, v67
	v_lshrrev_b32_e32 v106, 16, v68
	;; [unrolled: 1-line block ×3, first 2 shown]
	v_and_b32_e32 v67, 0xffff, v67
	v_and_b32_e32 v68, 0xffff, v68
	;; [unrolled: 1-line block ×3, first 2 shown]
	v_mul_u32_u24_e32 v66, 0x10001, v66
	v_mul_u32_u24_e32 v102, 0x10001, v102
	;; [unrolled: 1-line block ×8, first 2 shown]
	s_wait_dscnt 0x1
	v_pk_fma_f16 v108, v72, v66, v108
	v_pk_fma_f16 v109, v72, v102, v109
	v_pk_fma_f16 v110, v72, v67, v110
	v_pk_fma_f16 v59, v72, v105, v59
	v_pk_fma_f16 v60, v72, v68, v60
	v_pk_fma_f16 v63, v72, v106, v63
	v_pk_fma_f16 v57, v72, v69, v57
	v_pk_fma_f16 v10, v72, v107, v10
	v_pk_fma_f16 v64, v73, v66, v64
	v_pk_fma_f16 v72, v73, v67, v112
	s_wait_dscnt 0x0
	v_lshrrev_b32_e32 v66, 16, v98
	v_and_b32_e32 v67, 0xffff, v98
	v_pk_fma_f16 v11, v73, v102, v11
	v_pk_fma_f16 v102, v73, v105, v103
	v_pk_fma_f16 v103, v73, v68, v104
	v_pk_fma_f16 v55, v73, v69, v55
	v_lshrrev_b32_e32 v68, 16, v99
	v_lshrrev_b32_e32 v69, 16, v100
	v_and_b32_e32 v98, 0xffff, v99
	v_mul_u32_u24_e32 v99, 0x10001, v67
	v_and_b32_e32 v67, 0xffff, v100
	v_mul_u32_u24_e32 v100, 0x10001, v66
	v_and_b32_e32 v66, 0xffff, v101
	v_pk_fma_f16 v61, v73, v106, v61
	v_pk_fma_f16 v9, v73, v107, v9
	v_lshrrev_b32_e32 v73, 16, v101
	v_mul_u32_u24_e32 v101, 0x10001, v68
	v_mul_u32_u24_e32 v104, 0x10001, v67
	;; [unrolled: 1-line block ×4, first 2 shown]
	ds_load_b128 v[66:69], v90 offset:768
	v_mul_u32_u24_e32 v98, 0x10001, v98
	v_mul_u32_u24_e32 v73, 0x10001, v73
	v_pk_fma_f16 v107, v74, v99, v108
	v_pk_fma_f16 v108, v74, v100, v109
	;; [unrolled: 1-line block ×14, first 2 shown]
	ds_load_2addr_b64 v[98:101], v56 offset1:32
	v_pk_fma_f16 v55, v75, v106, v55
	v_pk_fma_f16 v9, v75, v73, v9
	ds_load_b128 v[72:75], v90 offset:784
	s_wait_dscnt 0x2
	v_lshrrev_b32_e32 v104, 16, v66
	v_and_b32_e32 v66, 0xffff, v66
	v_lshrrev_b32_e32 v105, 16, v67
	v_lshrrev_b32_e32 v106, 16, v68
	;; [unrolled: 1-line block ×3, first 2 shown]
	v_and_b32_e32 v67, 0xffff, v67
	v_and_b32_e32 v68, 0xffff, v68
	;; [unrolled: 1-line block ×3, first 2 shown]
	v_mul_u32_u24_e32 v66, 0x10001, v66
	v_mul_u32_u24_e32 v104, 0x10001, v104
	;; [unrolled: 1-line block ×8, first 2 shown]
	s_wait_dscnt 0x1
	v_pk_fma_f16 v107, v98, v66, v107
	v_pk_fma_f16 v108, v98, v104, v108
	;; [unrolled: 1-line block ×10, first 2 shown]
	s_wait_dscnt 0x0
	v_lshrrev_b32_e32 v66, 16, v72
	v_and_b32_e32 v67, 0xffff, v72
	v_pk_fma_f16 v11, v99, v104, v11
	v_pk_fma_f16 v102, v99, v105, v102
	;; [unrolled: 1-line block ×6, first 2 shown]
	v_lshrrev_b32_e32 v68, 16, v73
	v_lshrrev_b32_e32 v69, 16, v74
	v_mul_u32_u24_e32 v99, 0x10001, v67
	v_and_b32_e32 v67, 0xffff, v74
	v_mul_u32_u24_e32 v74, 0x10001, v66
	v_and_b32_e32 v66, 0xffff, v75
	v_lshrrev_b32_e32 v72, 16, v75
	v_and_b32_e32 v73, 0xffff, v73
	v_mul_u32_u24_e32 v75, 0x10001, v68
	v_mul_u32_u24_e32 v104, 0x10001, v67
	;; [unrolled: 1-line block ×4, first 2 shown]
	ds_load_b128 v[66:69], v90 offset:800
	v_mul_u32_u24_e32 v73, 0x10001, v73
	v_mul_u32_u24_e32 v110, 0x10001, v72
	v_pk_fma_f16 v107, v100, v99, v107
	v_pk_fma_f16 v108, v100, v74, v108
	;; [unrolled: 1-line block ×14, first 2 shown]
	ds_load_2addr_b64 v[72:75], v56 offset0:64 offset1:96
	v_pk_fma_f16 v55, v101, v106, v55
	v_pk_fma_f16 v9, v101, v110, v9
	ds_load_b128 v[98:101], v90 offset:816
	s_wait_dscnt 0x2
	v_lshrrev_b32_e32 v104, 16, v66
	v_and_b32_e32 v66, 0xffff, v66
	v_lshrrev_b32_e32 v105, 16, v67
	v_lshrrev_b32_e32 v106, 16, v68
	;; [unrolled: 1-line block ×3, first 2 shown]
	v_and_b32_e32 v67, 0xffff, v67
	v_and_b32_e32 v68, 0xffff, v68
	;; [unrolled: 1-line block ×3, first 2 shown]
	v_mul_u32_u24_e32 v66, 0x10001, v66
	v_mul_u32_u24_e32 v104, 0x10001, v104
	;; [unrolled: 1-line block ×8, first 2 shown]
	s_wait_dscnt 0x1
	v_pk_fma_f16 v107, v72, v66, v107
	v_pk_fma_f16 v108, v72, v104, v108
	;; [unrolled: 1-line block ×10, first 2 shown]
	s_wait_dscnt 0x0
	v_lshrrev_b32_e32 v66, 16, v98
	v_and_b32_e32 v67, 0xffff, v98
	v_pk_fma_f16 v103, v73, v68, v103
	v_pk_fma_f16 v55, v73, v69, v55
	v_lshrrev_b32_e32 v68, 16, v99
	v_lshrrev_b32_e32 v69, 16, v100
	v_and_b32_e32 v98, 0xffff, v99
	v_mul_u32_u24_e32 v99, 0x10001, v67
	v_and_b32_e32 v67, 0xffff, v100
	v_mul_u32_u24_e32 v100, 0x10001, v66
	v_and_b32_e32 v66, 0xffff, v101
	v_pk_fma_f16 v11, v73, v104, v11
	v_pk_fma_f16 v102, v73, v105, v102
	;; [unrolled: 1-line block ×4, first 2 shown]
	v_lshrrev_b32_e32 v73, 16, v101
	v_mul_u32_u24_e32 v101, 0x10001, v68
	v_mul_u32_u24_e32 v104, 0x10001, v67
	v_mul_u32_u24_e32 v105, 0x10001, v69
	v_mul_u32_u24_e32 v106, 0x10001, v66
	ds_load_b128 v[66:69], v90 offset:832
	v_mul_u32_u24_e32 v98, 0x10001, v98
	v_mul_u32_u24_e32 v73, 0x10001, v73
	v_pk_fma_f16 v107, v74, v99, v107
	v_pk_fma_f16 v108, v74, v100, v108
	;; [unrolled: 1-line block ×14, first 2 shown]
	ds_load_2addr_b64 v[98:101], v56 offset0:128 offset1:160
	v_pk_fma_f16 v55, v75, v106, v55
	v_pk_fma_f16 v9, v75, v73, v9
	ds_load_b128 v[72:75], v90 offset:848
	s_wait_dscnt 0x2
	v_lshrrev_b32_e32 v104, 16, v66
	v_and_b32_e32 v66, 0xffff, v66
	v_lshrrev_b32_e32 v105, 16, v67
	v_lshrrev_b32_e32 v106, 16, v68
	;; [unrolled: 1-line block ×3, first 2 shown]
	v_and_b32_e32 v67, 0xffff, v67
	v_and_b32_e32 v68, 0xffff, v68
	;; [unrolled: 1-line block ×3, first 2 shown]
	v_mul_u32_u24_e32 v66, 0x10001, v66
	v_mul_u32_u24_e32 v104, 0x10001, v104
	;; [unrolled: 1-line block ×8, first 2 shown]
	s_wait_dscnt 0x1
	v_pk_fma_f16 v107, v98, v66, v107
	v_pk_fma_f16 v108, v98, v104, v108
	v_pk_fma_f16 v109, v98, v67, v109
	v_pk_fma_f16 v59, v98, v105, v59
	v_pk_fma_f16 v60, v98, v68, v60
	v_pk_fma_f16 v63, v98, v106, v63
	v_pk_fma_f16 v57, v98, v69, v57
	v_pk_fma_f16 v10, v98, v111, v10
	v_pk_fma_f16 v64, v99, v66, v64
	v_pk_fma_f16 v98, v99, v67, v110
	s_wait_dscnt 0x0
	v_lshrrev_b32_e32 v66, 16, v72
	v_and_b32_e32 v67, 0xffff, v72
	v_pk_fma_f16 v11, v99, v104, v11
	v_pk_fma_f16 v102, v99, v105, v102
	;; [unrolled: 1-line block ×6, first 2 shown]
	v_lshrrev_b32_e32 v68, 16, v73
	v_lshrrev_b32_e32 v69, 16, v74
	v_mul_u32_u24_e32 v99, 0x10001, v67
	v_and_b32_e32 v67, 0xffff, v74
	v_mul_u32_u24_e32 v74, 0x10001, v66
	v_and_b32_e32 v66, 0xffff, v75
	v_lshrrev_b32_e32 v72, 16, v75
	v_and_b32_e32 v73, 0xffff, v73
	v_mul_u32_u24_e32 v75, 0x10001, v68
	v_mul_u32_u24_e32 v104, 0x10001, v67
	;; [unrolled: 1-line block ×4, first 2 shown]
	ds_load_b128 v[66:69], v90 offset:864
	v_mul_u32_u24_e32 v73, 0x10001, v73
	v_mul_u32_u24_e32 v110, 0x10001, v72
	v_pk_fma_f16 v107, v100, v99, v107
	v_pk_fma_f16 v108, v100, v74, v108
	;; [unrolled: 1-line block ×14, first 2 shown]
	ds_load_2addr_b64 v[72:75], v56 offset0:192 offset1:224
	v_pk_fma_f16 v55, v101, v106, v55
	v_pk_fma_f16 v9, v101, v110, v9
	ds_load_b128 v[98:101], v90 offset:880
	s_wait_dscnt 0x2
	v_lshrrev_b32_e32 v56, 16, v66
	v_and_b32_e32 v66, 0xffff, v66
	v_lshrrev_b32_e32 v104, 16, v67
	v_and_b32_e32 v67, 0xffff, v67
	v_lshrrev_b32_e32 v105, 16, v68
	v_lshrrev_b32_e32 v106, 16, v69
	v_mul_u32_u24_e32 v66, 0x10001, v66
	v_and_b32_e32 v68, 0xffff, v68
	v_mul_u32_u24_e32 v56, 0x10001, v56
	v_and_b32_e32 v69, 0xffff, v69
	v_mul_u32_u24_e32 v67, 0x10001, v67
	v_mul_u32_u24_e32 v104, 0x10001, v104
	;; [unrolled: 1-line block ×6, first 2 shown]
	s_wait_dscnt 0x1
	v_pk_fma_f16 v107, v72, v66, v107
	v_pk_fma_f16 v108, v72, v56, v108
	;; [unrolled: 1-line block ×6, first 2 shown]
	s_wait_dscnt 0x0
	v_lshrrev_b32_e32 v66, 16, v98
	v_and_b32_e32 v67, 0xffff, v98
	v_pk_fma_f16 v59, v72, v104, v59
	v_pk_fma_f16 v60, v72, v68, v60
	;; [unrolled: 1-line block ×8, first 2 shown]
	v_lshrrev_b32_e32 v68, 16, v99
	v_lshrrev_b32_e32 v69, 16, v100
	v_and_b32_e32 v98, 0xffff, v99
	v_mul_u32_u24_e32 v99, 0x10001, v67
	v_and_b32_e32 v67, 0xffff, v100
	v_mul_u32_u24_e32 v100, 0x10001, v66
	v_and_b32_e32 v66, 0xffff, v101
	v_pk_fma_f16 v61, v73, v105, v61
	v_pk_fma_f16 v9, v73, v106, v9
	v_lshrrev_b32_e32 v73, 16, v101
	v_mul_u32_u24_e32 v101, 0x10001, v68
	v_mul_u32_u24_e32 v103, 0x10001, v67
	;; [unrolled: 1-line block ×4, first 2 shown]
	ds_load_b128 v[66:69], v90 offset:896
	v_mul_u32_u24_e32 v98, 0x10001, v98
	v_mul_u32_u24_e32 v73, 0x10001, v73
	v_pk_fma_f16 v106, v74, v99, v107
	v_pk_fma_f16 v107, v74, v100, v108
	;; [unrolled: 1-line block ×14, first 2 shown]
	ds_load_2addr_b64 v[98:101], v8 offset1:32
	v_pk_fma_f16 v55, v75, v105, v55
	v_pk_fma_f16 v9, v75, v73, v9
	ds_load_b128 v[72:75], v90 offset:912
	s_wait_dscnt 0x2
	v_lshrrev_b32_e32 v103, 16, v66
	v_and_b32_e32 v66, 0xffff, v66
	v_lshrrev_b32_e32 v104, 16, v67
	v_and_b32_e32 v67, 0xffff, v67
	v_lshrrev_b32_e32 v105, 16, v68
	v_lshrrev_b32_e32 v110, 16, v69
	v_mul_u32_u24_e32 v66, 0x10001, v66
	v_and_b32_e32 v68, 0xffff, v68
	v_and_b32_e32 v69, 0xffff, v69
	v_mul_u32_u24_e32 v67, 0x10001, v67
	v_mul_u32_u24_e32 v103, 0x10001, v103
	;; [unrolled: 1-line block ×7, first 2 shown]
	s_wait_dscnt 0x1
	v_pk_fma_f16 v106, v98, v66, v106
	v_pk_fma_f16 v108, v98, v67, v108
	v_pk_fma_f16 v64, v99, v66, v64
	v_pk_fma_f16 v56, v99, v67, v56
	s_wait_dscnt 0x0
	v_lshrrev_b32_e32 v66, 16, v72
	v_and_b32_e32 v67, 0xffff, v72
	v_pk_fma_f16 v107, v98, v103, v107
	v_pk_fma_f16 v59, v98, v104, v59
	;; [unrolled: 1-line block ×12, first 2 shown]
	v_lshrrev_b32_e32 v68, 16, v73
	v_lshrrev_b32_e32 v69, 16, v74
	v_mul_u32_u24_e32 v99, 0x10001, v67
	v_and_b32_e32 v67, 0xffff, v74
	v_mul_u32_u24_e32 v74, 0x10001, v66
	v_and_b32_e32 v66, 0xffff, v75
	v_lshrrev_b32_e32 v72, 16, v75
	v_and_b32_e32 v73, 0xffff, v73
	v_mul_u32_u24_e32 v75, 0x10001, v68
	v_mul_u32_u24_e32 v103, 0x10001, v67
	;; [unrolled: 1-line block ×4, first 2 shown]
	ds_load_b128 v[66:69], v90 offset:928
	v_mul_u32_u24_e32 v73, 0x10001, v73
	v_mul_u32_u24_e32 v109, 0x10001, v72
	v_pk_fma_f16 v106, v100, v99, v106
	v_pk_fma_f16 v107, v100, v74, v107
	v_pk_fma_f16 v59, v100, v75, v59
	v_pk_fma_f16 v108, v100, v73, v108
	v_pk_fma_f16 v60, v100, v103, v60
	v_pk_fma_f16 v63, v100, v104, v63
	v_pk_fma_f16 v57, v100, v105, v57
	v_pk_fma_f16 v10, v100, v109, v10
	v_pk_fma_f16 v64, v101, v99, v64
	v_pk_fma_f16 v11, v101, v74, v11
	v_pk_fma_f16 v56, v101, v73, v56
	v_pk_fma_f16 v110, v101, v75, v98
	v_pk_fma_f16 v102, v101, v103, v102
	v_pk_fma_f16 v61, v101, v104, v61
	ds_load_2addr_b64 v[72:75], v8 offset0:64 offset1:96
	v_pk_fma_f16 v55, v101, v105, v55
	v_pk_fma_f16 v9, v101, v109, v9
	ds_load_b128 v[98:101], v90 offset:944
	s_wait_dscnt 0x2
	v_lshrrev_b32_e32 v103, 16, v66
	v_and_b32_e32 v66, 0xffff, v66
	v_lshrrev_b32_e32 v104, 16, v67
	v_and_b32_e32 v67, 0xffff, v67
	v_lshrrev_b32_e32 v105, 16, v68
	v_lshrrev_b32_e32 v109, 16, v69
	v_mul_u32_u24_e32 v66, 0x10001, v66
	v_and_b32_e32 v68, 0xffff, v68
	v_and_b32_e32 v69, 0xffff, v69
	v_mul_u32_u24_e32 v67, 0x10001, v67
	v_mul_u32_u24_e32 v103, 0x10001, v103
	;; [unrolled: 1-line block ×7, first 2 shown]
	s_wait_dscnt 0x1
	v_pk_fma_f16 v106, v72, v66, v106
	v_pk_fma_f16 v108, v72, v67, v108
	;; [unrolled: 1-line block ×4, first 2 shown]
	s_wait_dscnt 0x0
	v_lshrrev_b32_e32 v66, 16, v98
	v_and_b32_e32 v67, 0xffff, v98
	v_pk_fma_f16 v60, v72, v68, v60
	v_pk_fma_f16 v57, v72, v69, v57
	;; [unrolled: 1-line block ×4, first 2 shown]
	v_lshrrev_b32_e32 v68, 16, v99
	v_lshrrev_b32_e32 v69, 16, v100
	v_and_b32_e32 v98, 0xffff, v99
	v_mul_u32_u24_e32 v99, 0x10001, v67
	v_and_b32_e32 v67, 0xffff, v100
	v_mul_u32_u24_e32 v100, 0x10001, v66
	v_and_b32_e32 v66, 0xffff, v101
	v_pk_fma_f16 v107, v72, v103, v107
	v_pk_fma_f16 v59, v72, v104, v59
	;; [unrolled: 1-line block ×8, first 2 shown]
	v_lshrrev_b32_e32 v73, 16, v101
	v_mul_u32_u24_e32 v101, 0x10001, v68
	v_mul_u32_u24_e32 v103, 0x10001, v67
	;; [unrolled: 1-line block ×4, first 2 shown]
	ds_load_b128 v[66:69], v90 offset:960
	v_mul_u32_u24_e32 v98, 0x10001, v98
	v_mul_u32_u24_e32 v73, 0x10001, v73
	v_pk_fma_f16 v106, v74, v99, v106
	v_pk_fma_f16 v107, v74, v100, v107
	;; [unrolled: 1-line block ×14, first 2 shown]
	ds_load_2addr_b64 v[98:101], v8 offset0:128 offset1:160
	v_pk_fma_f16 v55, v75, v105, v55
	v_pk_fma_f16 v9, v75, v73, v9
	ds_load_b128 v[72:75], v90 offset:976
	s_wait_dscnt 0x2
	v_lshrrev_b32_e32 v103, 16, v66
	v_and_b32_e32 v66, 0xffff, v66
	v_lshrrev_b32_e32 v104, 16, v67
	v_lshrrev_b32_e32 v105, 16, v68
	;; [unrolled: 1-line block ×3, first 2 shown]
	v_and_b32_e32 v67, 0xffff, v67
	v_mul_u32_u24_e32 v66, 0x10001, v66
	v_and_b32_e32 v68, 0xffff, v68
	v_and_b32_e32 v69, 0xffff, v69
	v_mul_u32_u24_e32 v103, 0x10001, v103
	v_mul_u32_u24_e32 v67, 0x10001, v67
	;; [unrolled: 1-line block ×7, first 2 shown]
	s_wait_dscnt 0x1
	v_pk_fma_f16 v106, v98, v66, v106
	v_pk_fma_f16 v64, v99, v66, v64
	;; [unrolled: 1-line block ×3, first 2 shown]
	s_wait_dscnt 0x0
	v_and_b32_e32 v66, 0xffff, v72
	v_pk_fma_f16 v60, v98, v68, v60
	v_pk_fma_f16 v57, v98, v69, v57
	;; [unrolled: 1-line block ×5, first 2 shown]
	v_lshrrev_b32_e32 v67, 16, v73
	v_lshrrev_b32_e32 v68, 16, v74
	v_and_b32_e32 v69, 0xffff, v73
	v_mul_u32_u24_e32 v73, 0x10001, v66
	v_and_b32_e32 v66, 0xffff, v74
	v_pk_fma_f16 v107, v98, v103, v107
	v_pk_fma_f16 v59, v98, v104, v59
	;; [unrolled: 1-line block ×8, first 2 shown]
	v_lshrrev_b32_e32 v9, 16, v72
	v_lshrrev_b32_e32 v72, 16, v75
	v_and_b32_e32 v74, 0xffff, v75
	v_mul_u32_u24_e32 v75, 0x10001, v69
	v_mul_u32_u24_e32 v103, 0x10001, v67
	;; [unrolled: 1-line block ×4, first 2 shown]
	ds_load_b128 v[66:69], v90 offset:992
	v_mul_u32_u24_e32 v9, 0x10001, v9
	v_mul_u32_u24_e32 v74, 0x10001, v74
	;; [unrolled: 1-line block ×3, first 2 shown]
	v_pk_fma_f16 v106, v100, v73, v106
	v_pk_fma_f16 v108, v100, v75, v108
	;; [unrolled: 1-line block ×11, first 2 shown]
	ds_load_2addr_b64 v[8:11], v8 offset0:192 offset1:224
	v_pk_fma_f16 v55, v101, v74, v55
	v_pk_fma_f16 v99, v101, v72, v99
	ds_load_b128 v[72:75], v90 offset:1008
	v_pk_fma_f16 v98, v101, v103, v98
	v_pk_fma_f16 v102, v101, v104, v102
	s_wait_dscnt 0x2
	v_lshrrev_b32_e32 v103, 16, v67
	v_lshrrev_b32_e32 v104, 16, v68
	v_and_b32_e32 v67, 0xffff, v67
	s_wait_loadcnt_dscnt 0x0
	s_barrier_signal -1
	s_barrier_wait -1
	global_inv scope:SCOPE_SE
	s_load_b32 s12, s[6:7], 0x4
	v_pk_fma_f16 v61, v101, v105, v61
	v_lshrrev_b32_e32 v101, 16, v66
	v_and_b32_e32 v66, 0xffff, v66
	v_lshrrev_b32_e32 v105, 16, v69
	v_and_b32_e32 v68, 0xffff, v68
	v_and_b32_e32 v69, 0xffff, v69
	v_mul_u32_u24_e32 v67, 0x10001, v67
	v_mul_u32_u24_e32 v104, 0x10001, v104
	;; [unrolled: 1-line block ×8, first 2 shown]
	v_pk_fma_f16 v108, v8, v67, v108
	v_pk_fma_f16 v110, v8, v104, v63
	;; [unrolled: 1-line block ×3, first 2 shown]
	v_lshrrev_b32_e32 v56, 16, v72
	v_and_b32_e32 v63, 0xffff, v72
	v_pk_fma_f16 v106, v8, v66, v106
	v_pk_fma_f16 v107, v8, v101, v107
	;; [unrolled: 1-line block ×13, first 2 shown]
	v_lshrrev_b32_e32 v66, 16, v73
	v_and_b32_e32 v68, 0xffff, v73
	v_lshrrev_b32_e32 v69, 16, v74
	v_lshrrev_b32_e32 v72, 16, v75
	v_mul_u32_u24_e32 v73, 0x10001, v63
	v_mul_u32_u24_e32 v99, 0x10001, v56
	v_and_b32_e32 v56, 0xffff, v74
	v_and_b32_e32 v63, 0xffff, v75
	v_mul_u32_u24_e32 v68, 0x10001, v68
	v_mul_u32_u24_e32 v102, 0x10001, v66
	;; [unrolled: 1-line block ×6, first 2 shown]
	s_wait_kmcnt 0x0
	s_lshl_b32 s12, s12, 6
	v_pk_fma_f16 v74, v10, v73, v106
	v_pk_fma_f16 v72, v10, v99, v107
	;; [unrolled: 1-line block ×16, first 2 shown]
	s_wait_alu 0xfffe
	s_add_co_i32 s38, s12, s38
	s_wait_alu 0xfffe
	s_cmp_lt_i32 s38, s3
	s_cbranch_scc0 .LBB86_115
; %bb.105:                              ;   in Loop: Header=BB86_8 Depth=1
	v_dual_mov_b32 v107, v0 :: v_dual_mov_b32 v108, v1
	v_dual_mov_b32 v105, v2 :: v_dual_mov_b32 v104, v3
	v_dual_mov_b32 v102, v4 :: v_dual_mov_b32 v99, v5
	v_dual_mov_b32 v98, v6 :: v_dual_mov_b32 v11, v7
	v_dual_mov_b32 v7, v23 :: v_dual_mov_b32 v106, v22
	v_dual_mov_b32 v103, v42 :: v_dual_mov_b32 v100, v45
	v_dual_mov_b32 v101, v44 :: v_dual_mov_b32 v10, v46
	v_dual_mov_b32 v9, v47 :: v_dual_mov_b32 v8, v43
	s_branch .LBB86_8
.LBB86_106:                             ;   in Loop: Header=BB86_8 Depth=1
	v_mov_b32_e32 v114, 0
	v_cmp_ngt_f32_e64 s12, 0x3f200000, |v113|
                                        ; implicit-def: $vgpr116
	s_and_saveexec_b32 s13, s12
	s_wait_alu 0xfffe
	s_xor_b32 s12, exec_lo, s13
	s_cbranch_execz .LBB86_15
	s_branch .LBB86_14
.LBB86_107:                             ;   in Loop: Header=BB86_8 Depth=1
	v_mov_b32_e32 v118, 0
	v_cmp_ngt_f32_e64 s12, 0x3f200000, |v111|
                                        ; implicit-def: $vgpr123
	s_and_saveexec_b32 s13, s12
	s_wait_alu 0xfffe
	s_xor_b32 s12, exec_lo, s13
	s_cbranch_execz .LBB86_27
	s_branch .LBB86_26
.LBB86_108:                             ;   in Loop: Header=BB86_8 Depth=1
	v_mov_b32_e32 v110, 0
	v_cmp_ngt_f32_e64 s12, 0x3f200000, |v109|
                                        ; implicit-def: $vgpr123
	s_and_saveexec_b32 s13, s12
	s_wait_alu 0xfffe
	s_xor_b32 s12, exec_lo, s13
	s_cbranch_execz .LBB86_39
	s_branch .LBB86_38
.LBB86_109:                             ;   in Loop: Header=BB86_8 Depth=1
	v_mov_b32_e32 v47, 0
	v_cmp_ngt_f32_e64 s12, 0x3f200000, |v46|
                                        ; implicit-def: $vgpr123
	s_and_saveexec_b32 s13, s12
	s_wait_alu 0xfffe
	s_xor_b32 s12, exec_lo, s13
	s_cbranch_execz .LBB86_51
	s_branch .LBB86_50
.LBB86_110:                             ;   in Loop: Header=BB86_8 Depth=1
	v_mov_b32_e32 v45, 0
	v_cmp_ngt_f32_e64 s12, 0x3f200000, |v44|
                                        ; implicit-def: $vgpr123
	s_and_saveexec_b32 s13, s12
	s_wait_alu 0xfffe
	s_xor_b32 s12, exec_lo, s13
	s_cbranch_execz .LBB86_63
	s_branch .LBB86_62
.LBB86_111:                             ;   in Loop: Header=BB86_8 Depth=1
	v_mov_b32_e32 v43, 0
	v_cmp_ngt_f32_e64 s12, 0x3f200000, |v42|
                                        ; implicit-def: $vgpr124
	s_and_saveexec_b32 s13, s12
	s_wait_alu 0xfffe
	s_xor_b32 s12, exec_lo, s13
	s_cbranch_execz .LBB86_75
	s_branch .LBB86_74
.LBB86_112:                             ;   in Loop: Header=BB86_8 Depth=1
	v_mov_b32_e32 v123, 0
	v_cmp_ngt_f32_e64 s12, 0x3f200000, |v22|
                                        ; implicit-def: $vgpr128
	s_and_saveexec_b32 s13, s12
	s_wait_alu 0xfffe
	s_xor_b32 s12, exec_lo, s13
	s_cbranch_execz .LBB86_87
	s_branch .LBB86_86
.LBB86_113:                             ;   in Loop: Header=BB86_8 Depth=1
	v_mov_b32_e32 v127, 0
	v_cmp_ngt_f32_e64 s12, 0x3f200000, |v5|
                                        ; implicit-def: $vgpr3
	s_and_saveexec_b32 s13, s12
	s_wait_alu 0xfffe
	s_xor_b32 s12, exec_lo, s13
	s_cbranch_execz .LBB86_99
	s_branch .LBB86_98
.LBB86_114:
	v_dual_mov_b32 v0, 0xfeffffff :: v_dual_mov_b32 v47, 0
	v_dual_mov_b32 v46, 0 :: v_dual_mov_b32 v45, 0
	;; [unrolled: 1-line block ×3, first 2 shown]
	s_delay_alu instid0(VALU_DEP_3)
	v_dual_mov_b32 v1, v0 :: v_dual_mov_b32 v2, v0
	v_dual_mov_b32 v3, v0 :: v_dual_mov_b32 v4, v0
	v_dual_mov_b32 v5, v0 :: v_dual_mov_b32 v6, v0
	v_dual_mov_b32 v7, v0 :: v_dual_mov_b32 v74, 0
	v_dual_mov_b32 v42, 0 :: v_dual_mov_b32 v75, 0
	v_dual_mov_b32 v22, 0 :: v_dual_mov_b32 v73, 0
	v_dual_mov_b32 v72, 0 :: v_dual_mov_b32 v69, 0
	v_dual_mov_b32 v68, 0 :: v_dual_mov_b32 v67, 0
	v_dual_mov_b32 v66, 0 :: v_dual_mov_b32 v63, 0
	v_dual_mov_b32 v64, 0 :: v_dual_mov_b32 v61, 0
	v_dual_mov_b32 v60, 0 :: v_dual_mov_b32 v57, 0
	v_dual_mov_b32 v59, 0 :: v_dual_mov_b32 v56, 0
	v_mov_b32_e32 v55, 0
.LBB86_115:
	s_cmp_gt_i32 s2, s38
	s_cbranch_scc1 .LBB86_118
; %bb.116:
	v_mbcnt_lo_u32_b32 v8, -1, 0
	v_mov_b32_e32 v18, 32
	s_delay_alu instid0(VALU_DEP_2)
	v_xor_b32_e32 v82, 16, v8
	v_xor_b32_e32 v81, 8, v8
	;; [unrolled: 1-line block ×5, first 2 shown]
	s_cbranch_execz .LBB86_119
; %bb.117:
	v_mov_b32_e32 v20, v8
	s_branch .LBB86_264
.LBB86_118:
                                        ; implicit-def: $vgpr8
                                        ; implicit-def: $vgpr18
                                        ; implicit-def: $vgpr82
                                        ; implicit-def: $vgpr81
                                        ; implicit-def: $vgpr80
                                        ; implicit-def: $vgpr79
                                        ; implicit-def: $vgpr19
.LBB86_119:
	v_lshl_add_u32 v18, v48, 2, v78
	s_ashr_i32 s39, s38, 31
	s_ashr_i32 s9, s8, 31
	s_sub_co_i32 s19, s2, s38
	s_wait_alu 0xfffe
	s_mul_u64 s[10:11], s[38:39], s[8:9]
	v_mul_lo_u32 v11, s8, v18
	s_wait_alu 0xfffe
	s_lshl_b64 s[2:3], s[10:11], 2
	s_mov_b32 s44, 0
	s_add_nc_u64 s[4:5], s[4:5], s[2:3]
	s_mov_b32 s45, s44
	s_mov_b32 s46, s44
	v_lshlrev_b32_e32 v81, 2, v77
	v_cmp_gt_i32_e64 s2, s19, v18
	v_ashrrev_i32_e32 v12, 31, v11
	s_mov_b64 s[6:7], src_private_base
	v_mov_b32_e32 v13, 0
	v_mov_b32_e32 v93, 0
	;; [unrolled: 1-line block ×3, first 2 shown]
	v_lshlrev_b64_e32 v[8:9], 2, v[11:12]
	v_lshl_add_u32 v11, s8, 5, v11
	v_dual_mov_b32 v89, 0 :: v_dual_mov_b32 v94, 0
	v_dual_mov_b32 v87, 0 :: v_dual_mov_b32 v92, 0
	s_wait_alu 0xfffe
	s_delay_alu instid0(VALU_DEP_4) | instskip(SKIP_3) | instid1(VALU_DEP_3)
	v_add_co_u32 v8, vcc_lo, s4, v8
	s_wait_alu 0xfffd
	v_add_co_ci_u32_e64 v9, null, s5, v9, vcc_lo
	v_ashrrev_i32_e32 v12, 31, v11
	v_add_co_u32 v17, vcc_lo, v8, v81
	s_wait_alu 0xfffd
	s_delay_alu instid0(VALU_DEP_3) | instskip(SKIP_2) | instid1(VALU_DEP_3)
	v_add_co_ci_u32_e64 v19, null, 0, v9, vcc_lo
	v_dual_mov_b32 v8, s44 :: v_dual_mov_b32 v9, s45
	v_mov_b32_e32 v10, s46
	v_cndmask_b32_e64 v15, s7, v19, s2
	v_cndmask_b32_e64 v14, 0, v17, s2
	s_clause 0x1
	scratch_store_b32 off, v13, off
	scratch_store_b96 off, v[8:10], off offset:4
	v_lshlrev_b64_e32 v[11:12], 2, v[11:12]
	v_dual_mov_b32 v85, 0 :: v_dual_mov_b32 v90, 0
	flat_load_b128 v[77:80], v[14:15]
	v_add_nc_u32_e32 v14, 32, v18
	s_clause 0x1
	scratch_store_b32 off, v13, off
	scratch_store_b96 off, v[8:10], off offset:4
	v_add_co_u32 v11, vcc_lo, s4, v11
	s_wait_alu 0xfffd
	v_add_co_ci_u32_e64 v12, null, s5, v12, vcc_lo
	v_dual_mov_b32 v88, 0 :: v_dual_mov_b32 v83, 0
	s_delay_alu instid0(VALU_DEP_3) | instskip(SKIP_1) | instid1(VALU_DEP_3)
	v_add_co_u32 v15, vcc_lo, v11, v81
	s_wait_alu 0xfffd
	v_add_co_ci_u32_e64 v16, null, 0, v12, vcc_lo
	v_cmp_gt_i32_e32 vcc_lo, s19, v14
	v_mad_u32_u24 v14, 0x90, v18, v81
	v_mov_b32_e32 v84, 0
	v_mov_b32_e32 v18, 0
	;; [unrolled: 1-line block ×3, first 2 shown]
	s_wait_alu 0xfffd
	v_cndmask_b32_e32 v12, s7, v16, vcc_lo
	v_cndmask_b32_e32 v11, 0, v15, vcc_lo
	v_add_co_u32 v17, s3, 0x80, v17
	s_wait_alu 0xf1ff
	v_add_co_ci_u32_e64 v19, null, 0, v19, s3
	s_delay_alu instid0(VALU_DEP_2) | instskip(NEXT) | instid1(VALU_DEP_2)
	v_cndmask_b32_e64 v131, 0, v17, s2
	v_cndmask_b32_e64 v132, s7, v19, s2
	v_add_co_u32 v15, s2, 0x80, v15
	s_wait_alu 0xf1ff
	v_add_co_ci_u32_e64 v16, null, 0, v16, s2
	s_delay_alu instid0(VALU_DEP_2) | instskip(NEXT) | instid1(VALU_DEP_2)
	v_cndmask_b32_e32 v15, 0, v15, vcc_lo
	v_cndmask_b32_e32 v16, s7, v16, vcc_lo
	s_wait_loadcnt_dscnt 0x0
	ds_store_b128 v14, v[77:80] offset:16384
	flat_load_b128 v[77:80], v[11:12]
	v_mul_u32_u24_e32 v12, 0x90, v40
	v_mov_b32_e32 v11, 0
	s_wait_loadcnt_dscnt 0x0
	ds_store_b128 v14, v[77:80] offset:20992
	s_wait_storecnt_dscnt 0x0
	s_barrier_signal -1
	s_barrier_wait -1
	global_inv scope:SCOPE_SE
	ds_load_b128 v[79:82], v12 offset:16384
	ds_load_b128 v[95:98], v76
	ds_load_b128 v[99:102], v76 offset:256
	ds_load_b128 v[103:106], v76 offset:512
	;; [unrolled: 1-line block ×8, first 2 shown]
	v_dual_mov_b32 v78, 0 :: v_dual_mov_b32 v77, 0
	s_wait_dscnt 0x8
	;;#ASMSTART
	v_dot2_f32_f16 v11, v79, v95, v11
	;;#ASMEND
	;;#ASMSTART
	v_dot2_f32_f16 v11, v80, v96, v11
	;;#ASMEND
	;;#ASMSTART
	v_dot2_f32_f16 v11, v81, v97, v11
	;;#ASMEND
	;;#ASMSTART
	v_dot2_f32_f16 v11, v82, v98, v11
	;;#ASMEND
	s_wait_dscnt 0x7
	;;#ASMSTART
	v_dot2_f32_f16 v93, v79, v99, v93
	;;#ASMEND
	;;#ASMSTART
	v_dot2_f32_f16 v93, v80, v100, v93
	;;#ASMEND
	;;#ASMSTART
	v_dot2_f32_f16 v93, v81, v101, v93
	;;#ASMEND
	;;#ASMSTART
	v_dot2_f32_f16 v93, v82, v102, v93
	;;#ASMEND
	;; [unrolled: 13-line block ×8, first 2 shown]
	;;#ASMSTART
	v_dot2_f32_f16 v18, v111, v95, v18
	;;#ASMEND
	;;#ASMSTART
	v_dot2_f32_f16 v18, v112, v96, v18
	;;#ASMEND
	;; [unrolled: 3-line block ×32, first 2 shown]
	ds_load_b128 v[79:82], v12 offset:16400
	ds_load_b128 v[95:98], v76 offset:16
	;; [unrolled: 1-line block ×10, first 2 shown]
	s_wait_dscnt 0x8
	;;#ASMSTART
	v_dot2_f32_f16 v11, v79, v95, v11
	;;#ASMEND
	;;#ASMSTART
	v_dot2_f32_f16 v11, v80, v96, v11
	;;#ASMEND
	;;#ASMSTART
	v_dot2_f32_f16 v11, v81, v97, v11
	;;#ASMEND
	;;#ASMSTART
	v_dot2_f32_f16 v11, v82, v98, v11
	;;#ASMEND
	s_wait_dscnt 0x7
	;;#ASMSTART
	v_dot2_f32_f16 v93, v79, v99, v93
	;;#ASMEND
	;;#ASMSTART
	v_dot2_f32_f16 v93, v80, v100, v93
	;;#ASMEND
	;;#ASMSTART
	v_dot2_f32_f16 v93, v81, v101, v93
	;;#ASMEND
	;;#ASMSTART
	v_dot2_f32_f16 v93, v82, v102, v93
	;;#ASMEND
	s_wait_dscnt 0x6
	;;#ASMSTART
	v_dot2_f32_f16 v91, v79, v103, v91
	;;#ASMEND
	;;#ASMSTART
	v_dot2_f32_f16 v91, v80, v104, v91
	;;#ASMEND
	;;#ASMSTART
	v_dot2_f32_f16 v91, v81, v105, v91
	;;#ASMEND
	;;#ASMSTART
	v_dot2_f32_f16 v91, v82, v106, v91
	;;#ASMEND
	s_wait_dscnt 0x5
	;;#ASMSTART
	v_dot2_f32_f16 v89, v79, v107, v89
	;;#ASMEND
	;;#ASMSTART
	v_dot2_f32_f16 v89, v80, v108, v89
	;;#ASMEND
	;;#ASMSTART
	v_dot2_f32_f16 v89, v81, v109, v89
	;;#ASMEND
	;;#ASMSTART
	v_dot2_f32_f16 v89, v82, v110, v89
	;;#ASMEND
	s_wait_dscnt 0x3
	;;#ASMSTART
	v_dot2_f32_f16 v87, v79, v115, v87
	;;#ASMEND
	;;#ASMSTART
	v_dot2_f32_f16 v87, v80, v116, v87
	;;#ASMEND
	;;#ASMSTART
	v_dot2_f32_f16 v87, v81, v117, v87
	;;#ASMEND
	;;#ASMSTART
	v_dot2_f32_f16 v87, v82, v118, v87
	;;#ASMEND
	s_wait_dscnt 0x2
	;;#ASMSTART
	v_dot2_f32_f16 v85, v79, v119, v85
	;;#ASMEND
	;;#ASMSTART
	v_dot2_f32_f16 v85, v80, v120, v85
	;;#ASMEND
	;;#ASMSTART
	v_dot2_f32_f16 v85, v81, v121, v85
	;;#ASMEND
	;;#ASMSTART
	v_dot2_f32_f16 v85, v82, v122, v85
	;;#ASMEND
	s_wait_dscnt 0x1
	;;#ASMSTART
	v_dot2_f32_f16 v84, v79, v123, v84
	;;#ASMEND
	;;#ASMSTART
	v_dot2_f32_f16 v84, v80, v124, v84
	;;#ASMEND
	;;#ASMSTART
	v_dot2_f32_f16 v84, v81, v125, v84
	;;#ASMEND
	;;#ASMSTART
	v_dot2_f32_f16 v84, v82, v126, v84
	;;#ASMEND
	s_wait_dscnt 0x0
	;;#ASMSTART
	v_dot2_f32_f16 v78, v79, v127, v78
	;;#ASMEND
	;;#ASMSTART
	v_dot2_f32_f16 v78, v80, v128, v78
	;;#ASMEND
	;;#ASMSTART
	v_dot2_f32_f16 v78, v81, v129, v78
	;;#ASMEND
	;;#ASMSTART
	v_dot2_f32_f16 v78, v82, v130, v78
	;;#ASMEND
	;;#ASMSTART
	v_dot2_f32_f16 v18, v111, v95, v18
	;;#ASMEND
	;;#ASMSTART
	v_dot2_f32_f16 v18, v112, v96, v18
	;;#ASMEND
	;; [unrolled: 3-line block ×32, first 2 shown]
	ds_load_b128 v[79:82], v12 offset:16416
	ds_load_b128 v[95:98], v76 offset:32
	;; [unrolled: 1-line block ×10, first 2 shown]
	s_wait_dscnt 0x8
	;;#ASMSTART
	v_dot2_f32_f16 v11, v79, v95, v11
	;;#ASMEND
	;;#ASMSTART
	v_dot2_f32_f16 v11, v80, v96, v11
	;;#ASMEND
	;;#ASMSTART
	v_dot2_f32_f16 v11, v81, v97, v11
	;;#ASMEND
	;;#ASMSTART
	v_dot2_f32_f16 v11, v82, v98, v11
	;;#ASMEND
	s_wait_dscnt 0x7
	;;#ASMSTART
	v_dot2_f32_f16 v93, v79, v99, v93
	;;#ASMEND
	;;#ASMSTART
	v_dot2_f32_f16 v93, v80, v100, v93
	;;#ASMEND
	;;#ASMSTART
	v_dot2_f32_f16 v93, v81, v101, v93
	;;#ASMEND
	;;#ASMSTART
	v_dot2_f32_f16 v93, v82, v102, v93
	;;#ASMEND
	;; [unrolled: 13-line block ×8, first 2 shown]
	;;#ASMSTART
	v_dot2_f32_f16 v18, v111, v95, v18
	;;#ASMEND
	;;#ASMSTART
	v_dot2_f32_f16 v18, v112, v96, v18
	;;#ASMEND
	;; [unrolled: 3-line block ×32, first 2 shown]
	ds_load_b128 v[79:82], v12 offset:16432
	ds_load_b128 v[95:98], v76 offset:48
	;; [unrolled: 1-line block ×10, first 2 shown]
	s_wait_dscnt 0x8
	;;#ASMSTART
	v_dot2_f32_f16 v11, v79, v95, v11
	;;#ASMEND
	;;#ASMSTART
	v_dot2_f32_f16 v11, v80, v96, v11
	;;#ASMEND
	;;#ASMSTART
	v_dot2_f32_f16 v11, v81, v97, v11
	;;#ASMEND
	;;#ASMSTART
	v_dot2_f32_f16 v11, v82, v98, v11
	;;#ASMEND
	s_wait_dscnt 0x7
	;;#ASMSTART
	v_dot2_f32_f16 v93, v79, v99, v93
	;;#ASMEND
	;;#ASMSTART
	v_dot2_f32_f16 v93, v80, v100, v93
	;;#ASMEND
	;;#ASMSTART
	v_dot2_f32_f16 v93, v81, v101, v93
	;;#ASMEND
	;;#ASMSTART
	v_dot2_f32_f16 v93, v82, v102, v93
	;;#ASMEND
	;; [unrolled: 13-line block ×8, first 2 shown]
	;;#ASMSTART
	v_dot2_f32_f16 v18, v111, v95, v18
	;;#ASMEND
	;;#ASMSTART
	v_dot2_f32_f16 v18, v112, v96, v18
	;;#ASMEND
	;; [unrolled: 3-line block ×32, first 2 shown]
	ds_load_b128 v[79:82], v12 offset:16448
	ds_load_b128 v[95:98], v76 offset:64
	;; [unrolled: 1-line block ×10, first 2 shown]
	s_wait_dscnt 0x8
	;;#ASMSTART
	v_dot2_f32_f16 v11, v79, v95, v11
	;;#ASMEND
	;;#ASMSTART
	v_dot2_f32_f16 v11, v80, v96, v11
	;;#ASMEND
	;;#ASMSTART
	v_dot2_f32_f16 v11, v81, v97, v11
	;;#ASMEND
	;;#ASMSTART
	v_dot2_f32_f16 v11, v82, v98, v11
	;;#ASMEND
	s_wait_dscnt 0x7
	;;#ASMSTART
	v_dot2_f32_f16 v93, v79, v99, v93
	;;#ASMEND
	;;#ASMSTART
	v_dot2_f32_f16 v93, v80, v100, v93
	;;#ASMEND
	;;#ASMSTART
	v_dot2_f32_f16 v93, v81, v101, v93
	;;#ASMEND
	;;#ASMSTART
	v_dot2_f32_f16 v93, v82, v102, v93
	;;#ASMEND
	s_wait_dscnt 0x6
	;;#ASMSTART
	v_dot2_f32_f16 v91, v79, v103, v91
	;;#ASMEND
	;;#ASMSTART
	v_dot2_f32_f16 v91, v80, v104, v91
	;;#ASMEND
	;;#ASMSTART
	v_dot2_f32_f16 v91, v81, v105, v91
	;;#ASMEND
	;;#ASMSTART
	v_dot2_f32_f16 v91, v82, v106, v91
	;;#ASMEND
	s_wait_dscnt 0x5
	;;#ASMSTART
	v_dot2_f32_f16 v89, v79, v107, v89
	;;#ASMEND
	;;#ASMSTART
	v_dot2_f32_f16 v89, v80, v108, v89
	;;#ASMEND
	;;#ASMSTART
	v_dot2_f32_f16 v89, v81, v109, v89
	;;#ASMEND
	;;#ASMSTART
	v_dot2_f32_f16 v89, v82, v110, v89
	;;#ASMEND
	s_wait_dscnt 0x3
	;;#ASMSTART
	v_dot2_f32_f16 v87, v79, v115, v87
	;;#ASMEND
	;;#ASMSTART
	v_dot2_f32_f16 v87, v80, v116, v87
	;;#ASMEND
	;;#ASMSTART
	v_dot2_f32_f16 v87, v81, v117, v87
	;;#ASMEND
	;;#ASMSTART
	v_dot2_f32_f16 v87, v82, v118, v87
	;;#ASMEND
	s_wait_dscnt 0x2
	;;#ASMSTART
	v_dot2_f32_f16 v85, v79, v119, v85
	;;#ASMEND
	;;#ASMSTART
	v_dot2_f32_f16 v85, v80, v120, v85
	;;#ASMEND
	;;#ASMSTART
	v_dot2_f32_f16 v85, v81, v121, v85
	;;#ASMEND
	;;#ASMSTART
	v_dot2_f32_f16 v85, v82, v122, v85
	;;#ASMEND
	s_wait_dscnt 0x1
	;;#ASMSTART
	v_dot2_f32_f16 v84, v79, v123, v84
	;;#ASMEND
	;;#ASMSTART
	v_dot2_f32_f16 v84, v80, v124, v84
	;;#ASMEND
	;;#ASMSTART
	v_dot2_f32_f16 v84, v81, v125, v84
	;;#ASMEND
	;;#ASMSTART
	v_dot2_f32_f16 v84, v82, v126, v84
	;;#ASMEND
	s_wait_dscnt 0x0
	;;#ASMSTART
	v_dot2_f32_f16 v78, v79, v127, v78
	;;#ASMEND
	;;#ASMSTART
	v_dot2_f32_f16 v78, v80, v128, v78
	;;#ASMEND
	;;#ASMSTART
	v_dot2_f32_f16 v78, v81, v129, v78
	;;#ASMEND
	;;#ASMSTART
	v_dot2_f32_f16 v78, v82, v130, v78
	;;#ASMEND
	;;#ASMSTART
	v_dot2_f32_f16 v18, v111, v95, v18
	;;#ASMEND
	;;#ASMSTART
	v_dot2_f32_f16 v18, v112, v96, v18
	;;#ASMEND
	;; [unrolled: 3-line block ×32, first 2 shown]
	ds_load_b128 v[79:82], v12 offset:16464
	ds_load_b128 v[95:98], v76 offset:80
	;; [unrolled: 1-line block ×10, first 2 shown]
	s_wait_dscnt 0x8
	;;#ASMSTART
	v_dot2_f32_f16 v11, v79, v95, v11
	;;#ASMEND
	;;#ASMSTART
	v_dot2_f32_f16 v11, v80, v96, v11
	;;#ASMEND
	;;#ASMSTART
	v_dot2_f32_f16 v11, v81, v97, v11
	;;#ASMEND
	;;#ASMSTART
	v_dot2_f32_f16 v11, v82, v98, v11
	;;#ASMEND
	s_wait_dscnt 0x7
	;;#ASMSTART
	v_dot2_f32_f16 v93, v79, v99, v93
	;;#ASMEND
	;;#ASMSTART
	v_dot2_f32_f16 v93, v80, v100, v93
	;;#ASMEND
	;;#ASMSTART
	v_dot2_f32_f16 v93, v81, v101, v93
	;;#ASMEND
	;;#ASMSTART
	v_dot2_f32_f16 v93, v82, v102, v93
	;;#ASMEND
	;; [unrolled: 13-line block ×8, first 2 shown]
	;;#ASMSTART
	v_dot2_f32_f16 v18, v111, v95, v18
	;;#ASMEND
	;;#ASMSTART
	v_dot2_f32_f16 v18, v112, v96, v18
	;;#ASMEND
	;; [unrolled: 3-line block ×32, first 2 shown]
	ds_load_b128 v[79:82], v12 offset:16480
	ds_load_b128 v[95:98], v76 offset:96
	;; [unrolled: 1-line block ×10, first 2 shown]
	s_wait_dscnt 0x8
	;;#ASMSTART
	v_dot2_f32_f16 v11, v79, v95, v11
	;;#ASMEND
	;;#ASMSTART
	v_dot2_f32_f16 v11, v80, v96, v11
	;;#ASMEND
	;;#ASMSTART
	v_dot2_f32_f16 v11, v81, v97, v11
	;;#ASMEND
	;;#ASMSTART
	v_dot2_f32_f16 v11, v82, v98, v11
	;;#ASMEND
	s_wait_dscnt 0x7
	;;#ASMSTART
	v_dot2_f32_f16 v93, v79, v99, v93
	;;#ASMEND
	;;#ASMSTART
	v_dot2_f32_f16 v93, v80, v100, v93
	;;#ASMEND
	;;#ASMSTART
	v_dot2_f32_f16 v93, v81, v101, v93
	;;#ASMEND
	;;#ASMSTART
	v_dot2_f32_f16 v93, v82, v102, v93
	;;#ASMEND
	;; [unrolled: 13-line block ×8, first 2 shown]
	;;#ASMSTART
	v_dot2_f32_f16 v18, v111, v95, v18
	;;#ASMEND
	;;#ASMSTART
	v_dot2_f32_f16 v18, v112, v96, v18
	;;#ASMEND
	;; [unrolled: 3-line block ×32, first 2 shown]
	ds_load_b128 v[79:82], v12 offset:16496
	ds_load_b128 v[95:98], v76 offset:112
	;; [unrolled: 1-line block ×10, first 2 shown]
	s_wait_dscnt 0x8
	;;#ASMSTART
	v_dot2_f32_f16 v11, v79, v95, v11
	;;#ASMEND
	;;#ASMSTART
	v_dot2_f32_f16 v11, v80, v96, v11
	;;#ASMEND
	;;#ASMSTART
	v_dot2_f32_f16 v11, v81, v97, v11
	;;#ASMEND
	;;#ASMSTART
	v_dot2_f32_f16 v11, v82, v98, v11
	;;#ASMEND
	s_wait_dscnt 0x7
	;;#ASMSTART
	v_dot2_f32_f16 v93, v79, v99, v93
	;;#ASMEND
	;;#ASMSTART
	v_dot2_f32_f16 v93, v80, v100, v93
	;;#ASMEND
	;;#ASMSTART
	v_dot2_f32_f16 v93, v81, v101, v93
	;;#ASMEND
	;;#ASMSTART
	v_dot2_f32_f16 v93, v82, v102, v93
	;;#ASMEND
	;; [unrolled: 13-line block ×8, first 2 shown]
	;;#ASMSTART
	v_dot2_f32_f16 v18, v111, v95, v18
	;;#ASMEND
	;;#ASMSTART
	v_dot2_f32_f16 v18, v112, v96, v18
	;;#ASMEND
	;; [unrolled: 3-line block ×32, first 2 shown]
	s_wait_loadcnt 0x0
	s_barrier_signal -1
	s_barrier_wait -1
	global_inv scope:SCOPE_SE
	s_clause 0x1
	scratch_store_b32 off, v13, off
	scratch_store_b96 off, v[8:10], off offset:4
	flat_load_b128 v[79:82], v[131:132]
	s_clause 0x1
	scratch_store_b32 off, v13, off
	scratch_store_b96 off, v[8:10], off offset:4
                                        ; implicit-def: $vgpr8
	s_wait_loadcnt_dscnt 0x0
	ds_store_b128 v14, v[79:82] offset:16384
	flat_load_b128 v[79:82], v[15:16]
	s_wait_loadcnt_dscnt 0x0
	ds_store_b128 v14, v[79:82] offset:20992
	s_wait_storecnt_dscnt 0x0
	s_barrier_signal -1
	s_barrier_wait -1
	global_inv scope:SCOPE_SE
	ds_load_b128 v[13:16], v12 offset:16384
	ds_load_b128 v[79:82], v76 offset:128
	;; [unrolled: 1-line block ×10, first 2 shown]
	s_wait_dscnt 0x8
	;;#ASMSTART
	v_dot2_f32_f16 v11, v13, v79, v11
	;;#ASMEND
	;;#ASMSTART
	v_dot2_f32_f16 v11, v14, v80, v11
	;;#ASMEND
	;;#ASMSTART
	v_dot2_f32_f16 v11, v15, v81, v11
	;;#ASMEND
	;;#ASMSTART
	v_dot2_f32_f16 v11, v16, v82, v11
	;;#ASMEND
	s_wait_dscnt 0x7
	;;#ASMSTART
	v_dot2_f32_f16 v93, v13, v95, v93
	;;#ASMEND
	;;#ASMSTART
	v_dot2_f32_f16 v93, v14, v96, v93
	;;#ASMEND
	;;#ASMSTART
	v_dot2_f32_f16 v93, v15, v97, v93
	;;#ASMEND
	;;#ASMSTART
	v_dot2_f32_f16 v93, v16, v98, v93
	;;#ASMEND
	;; [unrolled: 13-line block ×8, first 2 shown]
	;;#ASMSTART
	v_dot2_f32_f16 v18, v107, v79, v18
	;;#ASMEND
	;;#ASMSTART
	v_dot2_f32_f16 v18, v108, v80, v18
	;;#ASMEND
	;; [unrolled: 3-line block ×32, first 2 shown]
	ds_load_b128 v[13:16], v12 offset:16400
	ds_load_b128 v[79:82], v76 offset:144
	;; [unrolled: 1-line block ×10, first 2 shown]
	s_wait_dscnt 0x8
	;;#ASMSTART
	v_dot2_f32_f16 v11, v13, v79, v11
	;;#ASMEND
	;;#ASMSTART
	v_dot2_f32_f16 v11, v14, v80, v11
	;;#ASMEND
	;;#ASMSTART
	v_dot2_f32_f16 v11, v15, v81, v11
	;;#ASMEND
	;;#ASMSTART
	v_dot2_f32_f16 v11, v16, v82, v11
	;;#ASMEND
	s_wait_dscnt 0x7
	;;#ASMSTART
	v_dot2_f32_f16 v93, v13, v95, v93
	;;#ASMEND
	;;#ASMSTART
	v_dot2_f32_f16 v93, v14, v96, v93
	;;#ASMEND
	;;#ASMSTART
	v_dot2_f32_f16 v93, v15, v97, v93
	;;#ASMEND
	;;#ASMSTART
	v_dot2_f32_f16 v93, v16, v98, v93
	;;#ASMEND
	;; [unrolled: 13-line block ×8, first 2 shown]
	;;#ASMSTART
	v_dot2_f32_f16 v18, v107, v79, v18
	;;#ASMEND
	;;#ASMSTART
	v_dot2_f32_f16 v18, v108, v80, v18
	;;#ASMEND
	;; [unrolled: 3-line block ×32, first 2 shown]
	ds_load_b128 v[13:16], v12 offset:16416
	ds_load_b128 v[79:82], v76 offset:160
	;; [unrolled: 1-line block ×10, first 2 shown]
	s_wait_dscnt 0x8
	;;#ASMSTART
	v_dot2_f32_f16 v11, v13, v79, v11
	;;#ASMEND
	;;#ASMSTART
	v_dot2_f32_f16 v11, v14, v80, v11
	;;#ASMEND
	;;#ASMSTART
	v_dot2_f32_f16 v11, v15, v81, v11
	;;#ASMEND
	;;#ASMSTART
	v_dot2_f32_f16 v11, v16, v82, v11
	;;#ASMEND
	s_wait_dscnt 0x7
	;;#ASMSTART
	v_dot2_f32_f16 v93, v13, v95, v93
	;;#ASMEND
	;;#ASMSTART
	v_dot2_f32_f16 v93, v14, v96, v93
	;;#ASMEND
	;;#ASMSTART
	v_dot2_f32_f16 v93, v15, v97, v93
	;;#ASMEND
	;;#ASMSTART
	v_dot2_f32_f16 v93, v16, v98, v93
	;;#ASMEND
	;; [unrolled: 13-line block ×8, first 2 shown]
	;;#ASMSTART
	v_dot2_f32_f16 v18, v107, v79, v18
	;;#ASMEND
	;;#ASMSTART
	v_dot2_f32_f16 v18, v108, v80, v18
	;;#ASMEND
	;; [unrolled: 3-line block ×32, first 2 shown]
	ds_load_b128 v[13:16], v12 offset:16432
	ds_load_b128 v[79:82], v76 offset:176
	ds_load_b128 v[95:98], v76 offset:432
	ds_load_b128 v[99:102], v76 offset:688
	ds_load_b128 v[103:106], v76 offset:944
	ds_load_b128 v[107:110], v12 offset:21040
	ds_load_b128 v[111:114], v76 offset:1200
	ds_load_b128 v[115:118], v76 offset:1456
	ds_load_b128 v[119:122], v76 offset:1712
	ds_load_b128 v[123:126], v76 offset:1968
	s_wait_dscnt 0x8
	;;#ASMSTART
	v_dot2_f32_f16 v11, v13, v79, v11
	;;#ASMEND
	;;#ASMSTART
	v_dot2_f32_f16 v11, v14, v80, v11
	;;#ASMEND
	;;#ASMSTART
	v_dot2_f32_f16 v11, v15, v81, v11
	;;#ASMEND
	;;#ASMSTART
	v_dot2_f32_f16 v11, v16, v82, v11
	;;#ASMEND
	s_wait_dscnt 0x7
	;;#ASMSTART
	v_dot2_f32_f16 v93, v13, v95, v93
	;;#ASMEND
	;;#ASMSTART
	v_dot2_f32_f16 v93, v14, v96, v93
	;;#ASMEND
	;;#ASMSTART
	v_dot2_f32_f16 v93, v15, v97, v93
	;;#ASMEND
	;;#ASMSTART
	v_dot2_f32_f16 v93, v16, v98, v93
	;;#ASMEND
	;; [unrolled: 13-line block ×8, first 2 shown]
	;;#ASMSTART
	v_dot2_f32_f16 v18, v107, v79, v18
	;;#ASMEND
	;;#ASMSTART
	v_dot2_f32_f16 v18, v108, v80, v18
	;;#ASMEND
	;; [unrolled: 3-line block ×32, first 2 shown]
	ds_load_b128 v[13:16], v12 offset:16448
	ds_load_b128 v[79:82], v76 offset:192
	;; [unrolled: 1-line block ×10, first 2 shown]
	s_wait_dscnt 0x8
	;;#ASMSTART
	v_dot2_f32_f16 v11, v13, v79, v11
	;;#ASMEND
	;;#ASMSTART
	v_dot2_f32_f16 v11, v14, v80, v11
	;;#ASMEND
	;;#ASMSTART
	v_dot2_f32_f16 v11, v15, v81, v11
	;;#ASMEND
	;;#ASMSTART
	v_dot2_f32_f16 v11, v16, v82, v11
	;;#ASMEND
	s_wait_dscnt 0x7
	;;#ASMSTART
	v_dot2_f32_f16 v93, v13, v95, v93
	;;#ASMEND
	;;#ASMSTART
	v_dot2_f32_f16 v93, v14, v96, v93
	;;#ASMEND
	;;#ASMSTART
	v_dot2_f32_f16 v93, v15, v97, v93
	;;#ASMEND
	;;#ASMSTART
	v_dot2_f32_f16 v93, v16, v98, v93
	;;#ASMEND
	;; [unrolled: 13-line block ×8, first 2 shown]
	;;#ASMSTART
	v_dot2_f32_f16 v18, v107, v79, v18
	;;#ASMEND
	;;#ASMSTART
	v_dot2_f32_f16 v18, v108, v80, v18
	;;#ASMEND
	;; [unrolled: 3-line block ×32, first 2 shown]
	ds_load_b128 v[13:16], v12 offset:16464
	ds_load_b128 v[79:82], v76 offset:208
	;; [unrolled: 1-line block ×10, first 2 shown]
	s_wait_dscnt 0x8
	;;#ASMSTART
	v_dot2_f32_f16 v11, v13, v79, v11
	;;#ASMEND
	;;#ASMSTART
	v_dot2_f32_f16 v11, v14, v80, v11
	;;#ASMEND
	;;#ASMSTART
	v_dot2_f32_f16 v11, v15, v81, v11
	;;#ASMEND
	;;#ASMSTART
	v_dot2_f32_f16 v11, v16, v82, v11
	;;#ASMEND
	s_wait_dscnt 0x7
	;;#ASMSTART
	v_dot2_f32_f16 v93, v13, v95, v93
	;;#ASMEND
	;;#ASMSTART
	v_dot2_f32_f16 v93, v14, v96, v93
	;;#ASMEND
	;;#ASMSTART
	v_dot2_f32_f16 v93, v15, v97, v93
	;;#ASMEND
	;;#ASMSTART
	v_dot2_f32_f16 v93, v16, v98, v93
	;;#ASMEND
	;; [unrolled: 13-line block ×8, first 2 shown]
	;;#ASMSTART
	v_dot2_f32_f16 v18, v107, v79, v18
	;;#ASMEND
	;;#ASMSTART
	v_dot2_f32_f16 v18, v108, v80, v18
	;;#ASMEND
	;; [unrolled: 3-line block ×32, first 2 shown]
	ds_load_b128 v[13:16], v12 offset:16480
	ds_load_b128 v[79:82], v76 offset:224
	;; [unrolled: 1-line block ×10, first 2 shown]
	s_wait_dscnt 0x8
	;;#ASMSTART
	v_dot2_f32_f16 v11, v13, v79, v11
	;;#ASMEND
	;;#ASMSTART
	v_dot2_f32_f16 v11, v14, v80, v11
	;;#ASMEND
	;;#ASMSTART
	v_dot2_f32_f16 v11, v15, v81, v11
	;;#ASMEND
	;;#ASMSTART
	v_dot2_f32_f16 v11, v16, v82, v11
	;;#ASMEND
	s_wait_dscnt 0x7
	;;#ASMSTART
	v_dot2_f32_f16 v93, v13, v95, v93
	;;#ASMEND
	;;#ASMSTART
	v_dot2_f32_f16 v93, v14, v96, v93
	;;#ASMEND
	;;#ASMSTART
	v_dot2_f32_f16 v93, v15, v97, v93
	;;#ASMEND
	;;#ASMSTART
	v_dot2_f32_f16 v93, v16, v98, v93
	;;#ASMEND
	;; [unrolled: 13-line block ×8, first 2 shown]
	;;#ASMSTART
	v_dot2_f32_f16 v18, v107, v79, v18
	;;#ASMEND
	;;#ASMSTART
	v_dot2_f32_f16 v18, v108, v80, v18
	;;#ASMEND
	;; [unrolled: 3-line block ×32, first 2 shown]
	ds_load_b128 v[13:16], v12 offset:16496
	ds_load_b128 v[79:82], v76 offset:240
	ds_load_b128 v[95:98], v76 offset:496
	ds_load_b128 v[99:102], v76 offset:752
	ds_load_b128 v[103:106], v76 offset:1008
	ds_load_b128 v[107:110], v12 offset:21104
	ds_load_b128 v[111:114], v76 offset:1264
	ds_load_b128 v[115:118], v76 offset:1520
	ds_load_b128 v[119:122], v76 offset:1776
	ds_load_b128 v[123:126], v76 offset:2032
	s_wait_dscnt 0x8
	;;#ASMSTART
	v_dot2_f32_f16 v11, v13, v79, v11
	;;#ASMEND
	;;#ASMSTART
	v_dot2_f32_f16 v11, v14, v80, v11
	;;#ASMEND
	;;#ASMSTART
	v_dot2_f32_f16 v11, v15, v81, v11
	;;#ASMEND
	;;#ASMSTART
	v_dot2_f32_f16 v11, v16, v82, v11
	;;#ASMEND
	s_wait_dscnt 0x7
	;;#ASMSTART
	v_dot2_f32_f16 v93, v13, v95, v93
	;;#ASMEND
	;;#ASMSTART
	v_dot2_f32_f16 v93, v14, v96, v93
	;;#ASMEND
	;;#ASMSTART
	v_dot2_f32_f16 v93, v15, v97, v93
	;;#ASMEND
	;;#ASMSTART
	v_dot2_f32_f16 v93, v16, v98, v93
	;;#ASMEND
	;; [unrolled: 13-line block ×8, first 2 shown]
	;;#ASMSTART
	v_dot2_f32_f16 v18, v107, v79, v18
	;;#ASMEND
	;;#ASMSTART
	v_dot2_f32_f16 v18, v108, v80, v18
	;;#ASMEND
	;; [unrolled: 3-line block ×25, first 2 shown]
	v_cmp_ngt_f32_e64 s2, 0x3f200000, |v11|
	;;#ASMSTART
	v_dot2_f32_f16 v83, v108, v120, v83
	;;#ASMEND
	;;#ASMSTART
	v_dot2_f32_f16 v83, v109, v121, v83
	;;#ASMEND
	;; [unrolled: 3-line block ×7, first 2 shown]
	s_and_saveexec_b32 s3, s2
	s_wait_alu 0xfffe
	s_xor_b32 s2, exec_lo, s3
	s_cbranch_execz .LBB86_121
; %bb.120:
	v_add_f32_e64 v8, |v11|, |v11|
	s_delay_alu instid0(VALU_DEP_1) | instskip(SKIP_1) | instid1(VALU_DEP_2)
	v_mul_f32_e32 v9, 0x3fb8aa3b, v8
	v_cmp_ngt_f32_e32 vcc_lo, 0xc2ce8ed0, v8
	v_rndne_f32_e32 v10, v9
	v_fma_f32 v12, 0x3fb8aa3b, v8, -v9
	s_delay_alu instid0(VALU_DEP_1) | instskip(SKIP_1) | instid1(VALU_DEP_2)
	v_dual_sub_f32 v9, v9, v10 :: v_dual_fmamk_f32 v12, v8, 0x32a5705f, v12
	v_cvt_i32_f32_e32 v10, v10
	v_add_f32_e32 v9, v9, v12
	s_delay_alu instid0(VALU_DEP_1) | instskip(NEXT) | instid1(TRANS32_DEP_1)
	v_exp_f32_e32 v9, v9
	v_ldexp_f32 v9, v9, v10
	s_wait_alu 0xfffd
	s_delay_alu instid0(VALU_DEP_1) | instskip(SKIP_2) | instid1(VALU_DEP_2)
	v_cndmask_b32_e32 v9, 0, v9, vcc_lo
	v_cmp_nlt_f32_e32 vcc_lo, 0x42b17218, v8
	s_wait_alu 0xfffd
	v_cndmask_b32_e32 v8, 0x7f800000, v9, vcc_lo
	s_delay_alu instid0(VALU_DEP_1) | instskip(NEXT) | instid1(VALU_DEP_1)
	v_add_f32_e32 v8, 1.0, v8
	v_rcp_f32_e32 v8, v8
	s_delay_alu instid0(TRANS32_DEP_1)
	v_fma_f32 v8, v8, -2.0, 1.0
.LBB86_121:
	s_wait_alu 0xfffe
	s_and_not1_saveexec_b32 s2, s2
	s_cbranch_execz .LBB86_123
; %bb.122:
	v_mul_f32_e32 v8, v11, v11
	s_mov_b32 s3, 0xbbbac73d
	s_wait_alu 0xfffe
	s_delay_alu instid0(VALU_DEP_1) | instskip(NEXT) | instid1(VALU_DEP_1)
	v_fmaak_f32 v9, s3, v8, 0x3ca908c9
	v_fmaak_f32 v9, v8, v9, 0xbd5c1c4e
	s_delay_alu instid0(VALU_DEP_1) | instskip(NEXT) | instid1(VALU_DEP_1)
	v_fmaak_f32 v9, v8, v9, 0x3e088382
	v_fmaak_f32 v9, v8, v9, 0xbeaaaa99
	s_delay_alu instid0(VALU_DEP_1) | instskip(NEXT) | instid1(VALU_DEP_1)
	v_mul_f32_e64 v9, |v11|, v9
	v_fma_f32 v8, v8, v9, |v11|
.LBB86_123:
	s_wait_alu 0xfffe
	s_or_b32 exec_lo, exec_lo, s2
	s_delay_alu instid0(VALU_DEP_1)
	v_bfi_b32 v8, 0x7fffffff, v8, v11
	s_cmp_lg_u64 s[40:41], 0
	v_mad_co_u64_u32 v[16:17], null, v70, s14, s[38:39]
	s_cselect_b32 s4, -1, 0
	v_dual_mul_f32 v70, s15, v8 :: v_dual_mov_b32 v15, v7
	v_cmp_gt_i32_e64 s2, s19, v40
	s_wait_alu 0xfffe
	v_cndmask_b32_e64 v97, 0, 1, s4
	v_dual_mov_b32 v14, v6 :: v_dual_mov_b32 v13, v5
	v_dual_mov_b32 v12, v4 :: v_dual_mov_b32 v11, v3
	;; [unrolled: 1-line block ×3, first 2 shown]
	v_mov_b32_e32 v8, v0
	s_and_saveexec_b32 s3, s2
	s_cbranch_execz .LBB86_128
; %bb.124:
	s_and_not1_b32 vcc_lo, exec_lo, s4
	s_wait_alu 0xfffe
	s_cbranch_vccnz .LBB86_126
; %bb.125:
	v_add_nc_u32_e32 v8, v16, v40
	s_delay_alu instid0(VALU_DEP_1) | instskip(NEXT) | instid1(VALU_DEP_1)
	v_ashrrev_i32_e32 v9, 31, v8
	v_lshlrev_b64_e32 v[8:9], 1, v[8:9]
	s_delay_alu instid0(VALU_DEP_1) | instskip(SKIP_1) | instid1(VALU_DEP_2)
	v_add_co_u32 v8, vcc_lo, s40, v8
	s_wait_alu 0xfffd
	v_add_co_ci_u32_e64 v9, null, s41, v9, vcc_lo
	global_load_u16 v8, v[8:9], off
	s_wait_loadcnt 0x0
	v_cvt_f32_f16_e32 v8, v8
	s_delay_alu instid0(VALU_DEP_1)
	v_mul_f32_e32 v8, v51, v8
	s_branch .LBB86_127
.LBB86_126:
	v_mov_b32_e32 v8, 0
.LBB86_127:
	s_delay_alu instid0(VALU_DEP_1) | instskip(NEXT) | instid1(VALU_DEP_1)
	v_add_f32_e32 v70, v70, v8
	v_dual_max_num_f32 v9, v0, v0 :: v_dual_add_f32 v8, 0x40051340, v70
	s_delay_alu instid0(VALU_DEP_1)
	v_max_num_f32_e32 v17, v9, v8
	v_mov_b32_e32 v15, v7
	v_dual_mov_b32 v9, v1 :: v_dual_mov_b32 v8, v0
	v_dual_mov_b32 v14, v6 :: v_dual_mov_b32 v13, v5
	;; [unrolled: 1-line block ×3, first 2 shown]
	v_mov_b32_e32 v10, v2
	v_mov_b32_e32 v8, v17
.LBB86_128:
	s_wait_alu 0xfffe
	s_or_b32 exec_lo, exec_lo, s3
	v_cmp_ngt_f32_e64 s3, 0x3f200000, |v18|
                                        ; implicit-def: $vgpr17
	s_and_saveexec_b32 s4, s3
	s_wait_alu 0xfffe
	s_xor_b32 s3, exec_lo, s4
	s_cbranch_execz .LBB86_130
; %bb.129:
	v_add_f32_e64 v17, |v18|, |v18|
	s_delay_alu instid0(VALU_DEP_1) | instskip(SKIP_1) | instid1(VALU_DEP_2)
	v_mul_f32_e32 v19, 0x3fb8aa3b, v17
	v_cmp_ngt_f32_e32 vcc_lo, 0xc2ce8ed0, v17
	v_rndne_f32_e32 v76, v19
	v_fma_f32 v79, 0x3fb8aa3b, v17, -v19
	s_delay_alu instid0(VALU_DEP_2) | instskip(NEXT) | instid1(VALU_DEP_2)
	v_sub_f32_e32 v19, v19, v76
	v_fmamk_f32 v79, v17, 0x32a5705f, v79
	v_cvt_i32_f32_e32 v76, v76
	s_delay_alu instid0(VALU_DEP_2) | instskip(NEXT) | instid1(VALU_DEP_1)
	v_add_f32_e32 v19, v19, v79
	v_exp_f32_e32 v19, v19
	s_delay_alu instid0(TRANS32_DEP_1) | instskip(SKIP_1) | instid1(VALU_DEP_1)
	v_ldexp_f32 v19, v19, v76
	s_wait_alu 0xfffd
	v_cndmask_b32_e32 v19, 0, v19, vcc_lo
	v_cmp_nlt_f32_e32 vcc_lo, 0x42b17218, v17
	s_wait_alu 0xfffd
	s_delay_alu instid0(VALU_DEP_2) | instskip(NEXT) | instid1(VALU_DEP_1)
	v_cndmask_b32_e32 v17, 0x7f800000, v19, vcc_lo
	v_add_f32_e32 v17, 1.0, v17
	s_delay_alu instid0(VALU_DEP_1) | instskip(NEXT) | instid1(TRANS32_DEP_1)
	v_rcp_f32_e32 v17, v17
	v_fma_f32 v17, v17, -2.0, 1.0
.LBB86_130:
	s_wait_alu 0xfffe
	s_and_not1_saveexec_b32 s3, s3
	s_cbranch_execz .LBB86_132
; %bb.131:
	v_mul_f32_e32 v17, v18, v18
	s_mov_b32 s4, 0xbbbac73d
	s_wait_alu 0xfffe
	s_delay_alu instid0(VALU_DEP_1) | instskip(NEXT) | instid1(VALU_DEP_1)
	v_fmaak_f32 v19, s4, v17, 0x3ca908c9
	v_fmaak_f32 v19, v17, v19, 0xbd5c1c4e
	s_delay_alu instid0(VALU_DEP_1) | instskip(NEXT) | instid1(VALU_DEP_1)
	v_fmaak_f32 v19, v17, v19, 0x3e088382
	v_fmaak_f32 v19, v17, v19, 0xbeaaaa99
	s_delay_alu instid0(VALU_DEP_1) | instskip(NEXT) | instid1(VALU_DEP_1)
	v_mul_f32_e64 v19, |v18|, v19
	v_fma_f32 v17, v17, v19, |v18|
.LBB86_132:
	s_wait_alu 0xfffe
	s_or_b32 exec_lo, exec_lo, s3
	s_delay_alu instid0(VALU_DEP_1) | instskip(NEXT) | instid1(VALU_DEP_1)
	v_bfi_b32 v17, 0x7fffffff, v17, v18
	v_dual_mul_f32 v96, s15, v17 :: v_dual_add_nc_u32 v95, 32, v40
	s_delay_alu instid0(VALU_DEP_1)
	v_cmp_gt_i32_e64 s3, s19, v95
	s_and_saveexec_b32 s4, s3
	s_cbranch_execz .LBB86_137
; %bb.133:
	v_cmp_ne_u32_e32 vcc_lo, 1, v97
	s_cbranch_vccnz .LBB86_135
; %bb.134:
	v_ashrrev_i32_e32 v17, 31, v16
	v_add_co_u32 v16, vcc_lo, v16, v40
	s_wait_alu 0xfffd
	s_delay_alu instid0(VALU_DEP_2) | instskip(NEXT) | instid1(VALU_DEP_1)
	v_add_co_ci_u32_e64 v17, null, 0, v17, vcc_lo
	v_lshlrev_b64_e32 v[16:17], 1, v[16:17]
	s_delay_alu instid0(VALU_DEP_1) | instskip(SKIP_1) | instid1(VALU_DEP_2)
	v_add_co_u32 v16, vcc_lo, s40, v16
	s_wait_alu 0xfffd
	v_add_co_ci_u32_e64 v17, null, s41, v17, vcc_lo
	global_load_u16 v16, v[16:17], off offset:64
	s_wait_loadcnt 0x0
	v_cvt_f32_f16_e32 v16, v16
	s_delay_alu instid0(VALU_DEP_1)
	v_mul_f32_e32 v16, v51, v16
	s_branch .LBB86_136
.LBB86_135:
	v_mov_b32_e32 v16, 0
.LBB86_136:
	s_delay_alu instid0(VALU_DEP_1) | instskip(SKIP_1) | instid1(VALU_DEP_2)
	v_add_f32_e32 v96, v96, v16
	v_max_num_f32_e32 v8, v8, v8
	v_add_f32_e32 v16, 0x40051340, v96
	s_delay_alu instid0(VALU_DEP_1)
	v_max_num_f32_e32 v8, v8, v16
.LBB86_137:
	s_wait_alu 0xfffe
	s_or_b32 exec_lo, exec_lo, s4
	v_xor_b32_e32 v82, 16, v20
	v_xor_b32_e32 v81, 8, v20
	;; [unrolled: 1-line block ×5, first 2 shown]
	v_cmp_gt_i32_e32 vcc_lo, 32, v82
	v_cmp_ngt_f32_e64 s4, 0x3f200000, |v93|
	v_mov_b32_e32 v18, 32
	s_wait_alu 0xfffd
	v_cndmask_b32_e32 v16, v20, v82, vcc_lo
	v_cmp_gt_i32_e32 vcc_lo, 32, v81
	s_wait_alu 0xfffd
	v_cndmask_b32_e32 v17, v20, v81, vcc_lo
	v_cmp_gt_i32_e32 vcc_lo, 32, v80
	s_delay_alu instid0(VALU_DEP_2)
	v_lshlrev_b32_e32 v99, 2, v17
	s_wait_alu 0xfffd
	v_cndmask_b32_e32 v17, v20, v80, vcc_lo
	v_cmp_gt_i32_e32 vcc_lo, 32, v79
	v_lshlrev_b32_e32 v98, 2, v16
	s_wait_alu 0xfffd
	s_delay_alu instid0(VALU_DEP_3)
	v_dual_cndmask_b32 v17, v20, v79 :: v_dual_lshlrev_b32 v100, 2, v17
	ds_bpermute_b32 v16, v98, v8
	v_max_num_f32_e32 v8, v8, v8
	v_cmp_gt_i32_e32 vcc_lo, 32, v19
	v_lshlrev_b32_e32 v101, 2, v17
	s_wait_alu 0xfffd
	v_cndmask_b32_e32 v17, v20, v19, vcc_lo
	s_delay_alu instid0(VALU_DEP_1) | instskip(SKIP_2) | instid1(VALU_DEP_1)
	v_lshlrev_b32_e32 v102, 2, v17
                                        ; implicit-def: $vgpr17
	s_wait_dscnt 0x0
	v_max_num_f32_e32 v16, v16, v16
	v_max_num_f32_e32 v8, v8, v16
	ds_bpermute_b32 v16, v99, v8
	s_wait_dscnt 0x0
	v_max_num_f32_e32 v16, v16, v16
	s_delay_alu instid0(VALU_DEP_1) | instskip(SKIP_3) | instid1(VALU_DEP_1)
	v_max_num_f32_e32 v8, v8, v16
	ds_bpermute_b32 v16, v100, v8
	s_wait_dscnt 0x0
	v_max_num_f32_e32 v16, v16, v16
	v_max_num_f32_e32 v8, v8, v16
	ds_bpermute_b32 v16, v101, v8
	s_wait_dscnt 0x0
	v_max_num_f32_e32 v16, v16, v16
	s_delay_alu instid0(VALU_DEP_1)
	v_max_num_f32_e32 v8, v8, v16
	ds_bpermute_b32 v16, v102, v8
	s_and_saveexec_b32 s5, s4
	s_wait_alu 0xfffe
	s_xor_b32 s4, exec_lo, s5
	s_cbranch_execz .LBB86_139
; %bb.138:
	v_add_f32_e64 v17, |v93|, |v93|
	s_delay_alu instid0(VALU_DEP_1) | instskip(SKIP_1) | instid1(VALU_DEP_2)
	v_mul_f32_e32 v76, 0x3fb8aa3b, v17
	v_cmp_ngt_f32_e32 vcc_lo, 0xc2ce8ed0, v17
	v_rndne_f32_e32 v103, v76
	v_fma_f32 v104, 0x3fb8aa3b, v17, -v76
	s_delay_alu instid0(VALU_DEP_2) | instskip(NEXT) | instid1(VALU_DEP_2)
	v_sub_f32_e32 v76, v76, v103
	v_fmamk_f32 v104, v17, 0x32a5705f, v104
	v_cvt_i32_f32_e32 v103, v103
	s_delay_alu instid0(VALU_DEP_2) | instskip(NEXT) | instid1(VALU_DEP_1)
	v_add_f32_e32 v76, v76, v104
	v_exp_f32_e32 v76, v76
	s_delay_alu instid0(TRANS32_DEP_1) | instskip(SKIP_1) | instid1(VALU_DEP_1)
	v_ldexp_f32 v76, v76, v103
	s_wait_alu 0xfffd
	v_cndmask_b32_e32 v76, 0, v76, vcc_lo
	v_cmp_nlt_f32_e32 vcc_lo, 0x42b17218, v17
	s_wait_alu 0xfffd
	s_delay_alu instid0(VALU_DEP_2) | instskip(NEXT) | instid1(VALU_DEP_1)
	v_cndmask_b32_e32 v17, 0x7f800000, v76, vcc_lo
	v_add_f32_e32 v17, 1.0, v17
	s_delay_alu instid0(VALU_DEP_1) | instskip(NEXT) | instid1(TRANS32_DEP_1)
	v_rcp_f32_e32 v17, v17
	v_fma_f32 v17, v17, -2.0, 1.0
.LBB86_139:
	s_wait_alu 0xfffe
	s_and_not1_saveexec_b32 s4, s4
	s_cbranch_execz .LBB86_141
; %bb.140:
	v_mul_f32_e32 v17, v93, v93
	s_mov_b32 s5, 0xbbbac73d
	s_wait_alu 0xfffe
	s_delay_alu instid0(VALU_DEP_1) | instskip(NEXT) | instid1(VALU_DEP_1)
	v_fmaak_f32 v76, s5, v17, 0x3ca908c9
	v_fmaak_f32 v76, v17, v76, 0xbd5c1c4e
	s_delay_alu instid0(VALU_DEP_1) | instskip(NEXT) | instid1(VALU_DEP_1)
	v_fmaak_f32 v76, v17, v76, 0x3e088382
	v_fmaak_f32 v76, v17, v76, 0xbeaaaa99
	s_delay_alu instid0(VALU_DEP_1) | instskip(NEXT) | instid1(VALU_DEP_1)
	v_mul_f32_e64 v76, |v93|, v76
	v_fma_f32 v17, v17, v76, |v93|
.LBB86_141:
	s_wait_alu 0xfffe
	s_or_b32 exec_lo, exec_lo, s4
	v_mul_hi_u32 v76, s24, v71
	s_delay_alu instid0(VALU_DEP_2) | instskip(SKIP_1) | instid1(VALU_DEP_3)
	v_bfi_b32 v93, 0x7fffffff, v17, v93
	v_max_num_f32_e32 v8, v8, v8
	v_add_nc_u32_e32 v76, v71, v76
	s_delay_alu instid0(VALU_DEP_1) | instskip(NEXT) | instid1(VALU_DEP_1)
	v_lshrrev_b32_e32 v76, s25, v76
	v_mul_lo_u32 v76, v76, s26
	s_delay_alu instid0(VALU_DEP_1) | instskip(SKIP_2) | instid1(VALU_DEP_2)
	v_sub_nc_u32_e32 v71, v71, v76
	s_wait_dscnt 0x0
	v_max_num_f32_e32 v76, v16, v16
	v_mad_co_u64_u32 v[16:17], null, v71, s14, s[38:39]
	s_delay_alu instid0(VALU_DEP_2)
	v_dual_max_num_f32 v8, v8, v76 :: v_dual_mul_f32 v71, s15, v93
	s_and_saveexec_b32 s4, s2
	s_cbranch_execz .LBB86_146
; %bb.142:
	v_cmp_ne_u32_e32 vcc_lo, 1, v97
	s_cbranch_vccnz .LBB86_144
; %bb.143:
	s_delay_alu instid0(VALU_DEP_3) | instskip(NEXT) | instid1(VALU_DEP_1)
	v_add_nc_u32_e32 v103, v16, v40
	v_ashrrev_i32_e32 v104, 31, v103
	s_delay_alu instid0(VALU_DEP_1) | instskip(NEXT) | instid1(VALU_DEP_1)
	v_lshlrev_b64_e32 v[103:104], 1, v[103:104]
	v_add_co_u32 v103, vcc_lo, s40, v103
	s_wait_alu 0xfffd
	s_delay_alu instid0(VALU_DEP_2) | instskip(SKIP_3) | instid1(VALU_DEP_1)
	v_add_co_ci_u32_e64 v104, null, s41, v104, vcc_lo
	global_load_u16 v17, v[103:104], off
	s_wait_loadcnt 0x0
	v_cvt_f32_f16_e32 v17, v17
	v_mul_f32_e32 v17, v51, v17
	s_branch .LBB86_145
.LBB86_144:
	v_mov_b32_e32 v17, 0
.LBB86_145:
	s_delay_alu instid0(VALU_DEP_1) | instskip(SKIP_1) | instid1(VALU_DEP_2)
	v_add_f32_e32 v71, v71, v17
	v_max_num_f32_e32 v9, v9, v9
	v_add_f32_e32 v17, 0x40051340, v71
	s_delay_alu instid0(VALU_DEP_1)
	v_max_num_f32_e32 v9, v9, v17
.LBB86_146:
	s_wait_alu 0xfffe
	s_or_b32 exec_lo, exec_lo, s4
	v_cmp_ngt_f32_e64 s4, 0x3f200000, |v94|
                                        ; implicit-def: $vgpr17
	s_and_saveexec_b32 s5, s4
	s_wait_alu 0xfffe
	s_xor_b32 s4, exec_lo, s5
	s_cbranch_execz .LBB86_148
; %bb.147:
	v_add_f32_e64 v17, |v94|, |v94|
	s_delay_alu instid0(VALU_DEP_1) | instskip(SKIP_1) | instid1(VALU_DEP_2)
	v_mul_f32_e32 v76, 0x3fb8aa3b, v17
	v_cmp_ngt_f32_e32 vcc_lo, 0xc2ce8ed0, v17
	v_rndne_f32_e32 v93, v76
	v_fma_f32 v103, 0x3fb8aa3b, v17, -v76
	s_delay_alu instid0(VALU_DEP_1) | instskip(SKIP_1) | instid1(VALU_DEP_2)
	v_dual_sub_f32 v76, v76, v93 :: v_dual_fmamk_f32 v103, v17, 0x32a5705f, v103
	v_cvt_i32_f32_e32 v93, v93
	v_add_f32_e32 v76, v76, v103
	s_delay_alu instid0(VALU_DEP_1) | instskip(NEXT) | instid1(TRANS32_DEP_1)
	v_exp_f32_e32 v76, v76
	v_ldexp_f32 v76, v76, v93
	s_wait_alu 0xfffd
	s_delay_alu instid0(VALU_DEP_1) | instskip(SKIP_2) | instid1(VALU_DEP_2)
	v_cndmask_b32_e32 v76, 0, v76, vcc_lo
	v_cmp_nlt_f32_e32 vcc_lo, 0x42b17218, v17
	s_wait_alu 0xfffd
	v_cndmask_b32_e32 v17, 0x7f800000, v76, vcc_lo
	s_delay_alu instid0(VALU_DEP_1) | instskip(NEXT) | instid1(VALU_DEP_1)
	v_add_f32_e32 v17, 1.0, v17
	v_rcp_f32_e32 v17, v17
	s_delay_alu instid0(TRANS32_DEP_1)
	v_fma_f32 v17, v17, -2.0, 1.0
.LBB86_148:
	s_wait_alu 0xfffe
	s_and_not1_saveexec_b32 s4, s4
	s_cbranch_execz .LBB86_150
; %bb.149:
	v_mul_f32_e32 v17, v94, v94
	s_mov_b32 s5, 0xbbbac73d
	s_wait_alu 0xfffe
	s_delay_alu instid0(VALU_DEP_1) | instskip(NEXT) | instid1(VALU_DEP_1)
	v_fmaak_f32 v76, s5, v17, 0x3ca908c9
	v_fmaak_f32 v76, v17, v76, 0xbd5c1c4e
	s_delay_alu instid0(VALU_DEP_1) | instskip(NEXT) | instid1(VALU_DEP_1)
	v_fmaak_f32 v76, v17, v76, 0x3e088382
	v_fmaak_f32 v76, v17, v76, 0xbeaaaa99
	s_delay_alu instid0(VALU_DEP_1) | instskip(NEXT) | instid1(VALU_DEP_1)
	v_mul_f32_e64 v76, |v94|, v76
	v_fma_f32 v17, v17, v76, |v94|
.LBB86_150:
	s_wait_alu 0xfffe
	s_or_b32 exec_lo, exec_lo, s4
	s_delay_alu instid0(VALU_DEP_1) | instskip(NEXT) | instid1(VALU_DEP_1)
	v_bfi_b32 v17, 0x7fffffff, v17, v94
	v_mul_f32_e32 v93, s15, v17
	s_and_saveexec_b32 s4, s3
	s_cbranch_execz .LBB86_155
; %bb.151:
	v_cmp_ne_u32_e32 vcc_lo, 1, v97
	s_cbranch_vccnz .LBB86_153
; %bb.152:
	v_ashrrev_i32_e32 v17, 31, v16
	v_add_co_u32 v16, vcc_lo, v16, v40
	s_wait_alu 0xfffd
	s_delay_alu instid0(VALU_DEP_2) | instskip(NEXT) | instid1(VALU_DEP_1)
	v_add_co_ci_u32_e64 v17, null, 0, v17, vcc_lo
	v_lshlrev_b64_e32 v[16:17], 1, v[16:17]
	s_delay_alu instid0(VALU_DEP_1) | instskip(SKIP_1) | instid1(VALU_DEP_2)
	v_add_co_u32 v16, vcc_lo, s40, v16
	s_wait_alu 0xfffd
	v_add_co_ci_u32_e64 v17, null, s41, v17, vcc_lo
	global_load_u16 v16, v[16:17], off offset:64
	s_wait_loadcnt 0x0
	v_cvt_f32_f16_e32 v16, v16
	s_delay_alu instid0(VALU_DEP_1)
	v_mul_f32_e32 v16, v51, v16
	s_branch .LBB86_154
.LBB86_153:
	v_mov_b32_e32 v16, 0
.LBB86_154:
	s_delay_alu instid0(VALU_DEP_1) | instskip(SKIP_1) | instid1(VALU_DEP_2)
	v_add_f32_e32 v93, v93, v16
	v_max_num_f32_e32 v9, v9, v9
	v_add_f32_e32 v16, 0x40051340, v93
	s_delay_alu instid0(VALU_DEP_1)
	v_max_num_f32_e32 v9, v9, v16
.LBB86_155:
	s_wait_alu 0xfffe
	s_or_b32 exec_lo, exec_lo, s4
	ds_bpermute_b32 v16, v98, v9
	v_cmp_ngt_f32_e64 s4, 0x3f200000, |v91|
                                        ; implicit-def: $vgpr17
	s_wait_dscnt 0x0
	v_dual_max_num_f32 v9, v9, v9 :: v_dual_max_num_f32 v16, v16, v16
	s_delay_alu instid0(VALU_DEP_1) | instskip(SKIP_3) | instid1(VALU_DEP_1)
	v_max_num_f32_e32 v9, v9, v16
	ds_bpermute_b32 v16, v99, v9
	s_wait_dscnt 0x0
	v_max_num_f32_e32 v16, v16, v16
	v_max_num_f32_e32 v9, v9, v16
	ds_bpermute_b32 v16, v100, v9
	s_wait_dscnt 0x0
	v_max_num_f32_e32 v16, v16, v16
	s_delay_alu instid0(VALU_DEP_1) | instskip(SKIP_3) | instid1(VALU_DEP_1)
	v_max_num_f32_e32 v9, v9, v16
	ds_bpermute_b32 v16, v101, v9
	s_wait_dscnt 0x0
	v_max_num_f32_e32 v16, v16, v16
	v_max_num_f32_e32 v9, v9, v16
	ds_bpermute_b32 v16, v102, v9
	s_and_saveexec_b32 s5, s4
	s_wait_alu 0xfffe
	s_xor_b32 s4, exec_lo, s5
	s_cbranch_execz .LBB86_157
; %bb.156:
	v_add_f32_e64 v17, |v91|, |v91|
	s_delay_alu instid0(VALU_DEP_1) | instskip(SKIP_1) | instid1(VALU_DEP_2)
	v_mul_f32_e32 v76, 0x3fb8aa3b, v17
	v_cmp_ngt_f32_e32 vcc_lo, 0xc2ce8ed0, v17
	v_rndne_f32_e32 v94, v76
	v_fma_f32 v103, 0x3fb8aa3b, v17, -v76
	s_delay_alu instid0(VALU_DEP_1) | instskip(SKIP_1) | instid1(VALU_DEP_2)
	v_dual_sub_f32 v76, v76, v94 :: v_dual_fmamk_f32 v103, v17, 0x32a5705f, v103
	v_cvt_i32_f32_e32 v94, v94
	v_add_f32_e32 v76, v76, v103
	s_delay_alu instid0(VALU_DEP_1) | instskip(NEXT) | instid1(TRANS32_DEP_1)
	v_exp_f32_e32 v76, v76
	v_ldexp_f32 v76, v76, v94
	s_wait_alu 0xfffd
	s_delay_alu instid0(VALU_DEP_1) | instskip(SKIP_2) | instid1(VALU_DEP_2)
	v_cndmask_b32_e32 v76, 0, v76, vcc_lo
	v_cmp_nlt_f32_e32 vcc_lo, 0x42b17218, v17
	s_wait_alu 0xfffd
	v_cndmask_b32_e32 v17, 0x7f800000, v76, vcc_lo
	s_delay_alu instid0(VALU_DEP_1) | instskip(NEXT) | instid1(VALU_DEP_1)
	v_add_f32_e32 v17, 1.0, v17
	v_rcp_f32_e32 v17, v17
	s_delay_alu instid0(TRANS32_DEP_1)
	v_fma_f32 v17, v17, -2.0, 1.0
.LBB86_157:
	s_wait_alu 0xfffe
	s_and_not1_saveexec_b32 s4, s4
	s_cbranch_execz .LBB86_159
; %bb.158:
	v_mul_f32_e32 v17, v91, v91
	s_mov_b32 s5, 0xbbbac73d
	s_wait_alu 0xfffe
	s_delay_alu instid0(VALU_DEP_1) | instskip(NEXT) | instid1(VALU_DEP_1)
	v_fmaak_f32 v76, s5, v17, 0x3ca908c9
	v_fmaak_f32 v76, v17, v76, 0xbd5c1c4e
	s_delay_alu instid0(VALU_DEP_1) | instskip(NEXT) | instid1(VALU_DEP_1)
	v_fmaak_f32 v76, v17, v76, 0x3e088382
	v_fmaak_f32 v76, v17, v76, 0xbeaaaa99
	s_delay_alu instid0(VALU_DEP_1) | instskip(NEXT) | instid1(VALU_DEP_1)
	v_mul_f32_e64 v76, |v91|, v76
	v_fma_f32 v17, v17, v76, |v91|
.LBB86_159:
	s_wait_alu 0xfffe
	s_or_b32 exec_lo, exec_lo, s4
	v_mul_hi_u32 v76, s24, v65
	s_delay_alu instid0(VALU_DEP_2) | instskip(SKIP_1) | instid1(VALU_DEP_3)
	v_bfi_b32 v91, 0x7fffffff, v17, v91
	v_max_num_f32_e32 v9, v9, v9
	v_add_nc_u32_e32 v76, v65, v76
	s_delay_alu instid0(VALU_DEP_1) | instskip(NEXT) | instid1(VALU_DEP_1)
	v_lshrrev_b32_e32 v76, s25, v76
	v_mul_lo_u32 v76, v76, s26
	s_delay_alu instid0(VALU_DEP_1) | instskip(SKIP_2) | instid1(VALU_DEP_2)
	v_sub_nc_u32_e32 v65, v65, v76
	s_wait_dscnt 0x0
	v_max_num_f32_e32 v76, v16, v16
	v_mad_co_u64_u32 v[16:17], null, v65, s14, s[38:39]
	s_delay_alu instid0(VALU_DEP_2)
	v_max_num_f32_e32 v9, v9, v76
	v_mul_f32_e32 v65, s15, v91
	s_and_saveexec_b32 s4, s2
	s_cbranch_execz .LBB86_164
; %bb.160:
	v_cmp_ne_u32_e32 vcc_lo, 1, v97
	s_cbranch_vccnz .LBB86_162
; %bb.161:
	s_delay_alu instid0(VALU_DEP_4) | instskip(NEXT) | instid1(VALU_DEP_1)
	v_add_nc_u32_e32 v103, v16, v40
	v_ashrrev_i32_e32 v104, 31, v103
	s_delay_alu instid0(VALU_DEP_1) | instskip(NEXT) | instid1(VALU_DEP_1)
	v_lshlrev_b64_e32 v[103:104], 1, v[103:104]
	v_add_co_u32 v103, vcc_lo, s40, v103
	s_wait_alu 0xfffd
	s_delay_alu instid0(VALU_DEP_2) | instskip(SKIP_3) | instid1(VALU_DEP_1)
	v_add_co_ci_u32_e64 v104, null, s41, v104, vcc_lo
	global_load_u16 v17, v[103:104], off
	s_wait_loadcnt 0x0
	v_cvt_f32_f16_e32 v17, v17
	v_mul_f32_e32 v17, v51, v17
	s_branch .LBB86_163
.LBB86_162:
	v_mov_b32_e32 v17, 0
.LBB86_163:
	s_delay_alu instid0(VALU_DEP_1) | instskip(NEXT) | instid1(VALU_DEP_1)
	v_dual_add_f32 v65, v65, v17 :: v_dual_max_num_f32 v10, v10, v10
	v_add_f32_e32 v17, 0x40051340, v65
	s_delay_alu instid0(VALU_DEP_1)
	v_max_num_f32_e32 v10, v10, v17
.LBB86_164:
	s_wait_alu 0xfffe
	s_or_b32 exec_lo, exec_lo, s4
	v_cmp_ngt_f32_e64 s4, 0x3f200000, |v92|
                                        ; implicit-def: $vgpr17
	s_and_saveexec_b32 s5, s4
	s_wait_alu 0xfffe
	s_xor_b32 s4, exec_lo, s5
	s_cbranch_execz .LBB86_166
; %bb.165:
	v_add_f32_e64 v17, |v92|, |v92|
	s_delay_alu instid0(VALU_DEP_1) | instskip(SKIP_1) | instid1(VALU_DEP_2)
	v_mul_f32_e32 v76, 0x3fb8aa3b, v17
	v_cmp_ngt_f32_e32 vcc_lo, 0xc2ce8ed0, v17
	v_rndne_f32_e32 v91, v76
	v_fma_f32 v94, 0x3fb8aa3b, v17, -v76
	s_delay_alu instid0(VALU_DEP_2) | instskip(NEXT) | instid1(VALU_DEP_2)
	v_sub_f32_e32 v76, v76, v91
	v_fmamk_f32 v94, v17, 0x32a5705f, v94
	v_cvt_i32_f32_e32 v91, v91
	s_delay_alu instid0(VALU_DEP_2) | instskip(NEXT) | instid1(VALU_DEP_1)
	v_add_f32_e32 v76, v76, v94
	v_exp_f32_e32 v76, v76
	s_delay_alu instid0(TRANS32_DEP_1) | instskip(SKIP_1) | instid1(VALU_DEP_1)
	v_ldexp_f32 v76, v76, v91
	s_wait_alu 0xfffd
	v_cndmask_b32_e32 v76, 0, v76, vcc_lo
	v_cmp_nlt_f32_e32 vcc_lo, 0x42b17218, v17
	s_wait_alu 0xfffd
	s_delay_alu instid0(VALU_DEP_2) | instskip(NEXT) | instid1(VALU_DEP_1)
	v_cndmask_b32_e32 v17, 0x7f800000, v76, vcc_lo
	v_add_f32_e32 v17, 1.0, v17
	s_delay_alu instid0(VALU_DEP_1) | instskip(NEXT) | instid1(TRANS32_DEP_1)
	v_rcp_f32_e32 v17, v17
	v_fma_f32 v17, v17, -2.0, 1.0
.LBB86_166:
	s_wait_alu 0xfffe
	s_and_not1_saveexec_b32 s4, s4
	s_cbranch_execz .LBB86_168
; %bb.167:
	v_mul_f32_e32 v17, v92, v92
	s_mov_b32 s5, 0xbbbac73d
	s_wait_alu 0xfffe
	s_delay_alu instid0(VALU_DEP_1) | instskip(NEXT) | instid1(VALU_DEP_1)
	v_fmaak_f32 v76, s5, v17, 0x3ca908c9
	v_fmaak_f32 v76, v17, v76, 0xbd5c1c4e
	s_delay_alu instid0(VALU_DEP_1) | instskip(NEXT) | instid1(VALU_DEP_1)
	v_fmaak_f32 v76, v17, v76, 0x3e088382
	v_fmaak_f32 v76, v17, v76, 0xbeaaaa99
	s_delay_alu instid0(VALU_DEP_1) | instskip(NEXT) | instid1(VALU_DEP_1)
	v_mul_f32_e64 v76, |v92|, v76
	v_fma_f32 v17, v17, v76, |v92|
.LBB86_168:
	s_wait_alu 0xfffe
	s_or_b32 exec_lo, exec_lo, s4
	s_delay_alu instid0(VALU_DEP_1) | instskip(NEXT) | instid1(VALU_DEP_1)
	v_bfi_b32 v17, 0x7fffffff, v17, v92
	v_mul_f32_e32 v76, s15, v17
	s_and_saveexec_b32 s4, s3
	s_cbranch_execz .LBB86_173
; %bb.169:
	v_cmp_ne_u32_e32 vcc_lo, 1, v97
	s_cbranch_vccnz .LBB86_171
; %bb.170:
	v_ashrrev_i32_e32 v17, 31, v16
	v_add_co_u32 v16, vcc_lo, v16, v40
	s_wait_alu 0xfffd
	s_delay_alu instid0(VALU_DEP_2) | instskip(NEXT) | instid1(VALU_DEP_1)
	v_add_co_ci_u32_e64 v17, null, 0, v17, vcc_lo
	v_lshlrev_b64_e32 v[16:17], 1, v[16:17]
	s_delay_alu instid0(VALU_DEP_1) | instskip(SKIP_1) | instid1(VALU_DEP_2)
	v_add_co_u32 v16, vcc_lo, s40, v16
	s_wait_alu 0xfffd
	v_add_co_ci_u32_e64 v17, null, s41, v17, vcc_lo
	global_load_u16 v16, v[16:17], off offset:64
	s_wait_loadcnt 0x0
	v_cvt_f32_f16_e32 v16, v16
	s_delay_alu instid0(VALU_DEP_1)
	v_mul_f32_e32 v16, v51, v16
	s_branch .LBB86_172
.LBB86_171:
	v_mov_b32_e32 v16, 0
.LBB86_172:
	s_delay_alu instid0(VALU_DEP_1) | instskip(SKIP_1) | instid1(VALU_DEP_2)
	v_add_f32_e32 v76, v76, v16
	v_max_num_f32_e32 v10, v10, v10
	v_add_f32_e32 v16, 0x40051340, v76
	s_delay_alu instid0(VALU_DEP_1)
	v_max_num_f32_e32 v10, v10, v16
.LBB86_173:
	s_wait_alu 0xfffe
	s_or_b32 exec_lo, exec_lo, s4
	ds_bpermute_b32 v16, v98, v10
	v_max_num_f32_e32 v10, v10, v10
	v_cmp_ngt_f32_e64 s4, 0x3f200000, |v89|
                                        ; implicit-def: $vgpr17
	s_wait_dscnt 0x0
	v_max_num_f32_e32 v16, v16, v16
	s_delay_alu instid0(VALU_DEP_1) | instskip(SKIP_3) | instid1(VALU_DEP_1)
	v_max_num_f32_e32 v10, v10, v16
	ds_bpermute_b32 v16, v99, v10
	s_wait_dscnt 0x0
	v_max_num_f32_e32 v16, v16, v16
	v_max_num_f32_e32 v10, v10, v16
	ds_bpermute_b32 v16, v100, v10
	s_wait_dscnt 0x0
	v_max_num_f32_e32 v16, v16, v16
	s_delay_alu instid0(VALU_DEP_1) | instskip(SKIP_3) | instid1(VALU_DEP_1)
	v_max_num_f32_e32 v10, v10, v16
	ds_bpermute_b32 v16, v101, v10
	s_wait_dscnt 0x0
	v_max_num_f32_e32 v16, v16, v16
	v_max_num_f32_e32 v10, v10, v16
	ds_bpermute_b32 v16, v102, v10
	s_and_saveexec_b32 s5, s4
	s_wait_alu 0xfffe
	s_xor_b32 s4, exec_lo, s5
	s_cbranch_execz .LBB86_175
; %bb.174:
	v_add_f32_e64 v17, |v89|, |v89|
	s_delay_alu instid0(VALU_DEP_1) | instskip(SKIP_1) | instid1(VALU_DEP_2)
	v_mul_f32_e32 v91, 0x3fb8aa3b, v17
	v_cmp_ngt_f32_e32 vcc_lo, 0xc2ce8ed0, v17
	v_rndne_f32_e32 v92, v91
	v_fma_f32 v94, 0x3fb8aa3b, v17, -v91
	s_delay_alu instid0(VALU_DEP_1) | instskip(SKIP_1) | instid1(VALU_DEP_2)
	v_dual_sub_f32 v91, v91, v92 :: v_dual_fmamk_f32 v94, v17, 0x32a5705f, v94
	v_cvt_i32_f32_e32 v92, v92
	v_add_f32_e32 v91, v91, v94
	s_delay_alu instid0(VALU_DEP_1) | instskip(NEXT) | instid1(TRANS32_DEP_1)
	v_exp_f32_e32 v91, v91
	v_ldexp_f32 v91, v91, v92
	s_wait_alu 0xfffd
	s_delay_alu instid0(VALU_DEP_1) | instskip(SKIP_2) | instid1(VALU_DEP_2)
	v_cndmask_b32_e32 v91, 0, v91, vcc_lo
	v_cmp_nlt_f32_e32 vcc_lo, 0x42b17218, v17
	s_wait_alu 0xfffd
	v_cndmask_b32_e32 v17, 0x7f800000, v91, vcc_lo
	s_delay_alu instid0(VALU_DEP_1) | instskip(NEXT) | instid1(VALU_DEP_1)
	v_add_f32_e32 v17, 1.0, v17
	v_rcp_f32_e32 v17, v17
	s_delay_alu instid0(TRANS32_DEP_1)
	v_fma_f32 v17, v17, -2.0, 1.0
.LBB86_175:
	s_wait_alu 0xfffe
	s_and_not1_saveexec_b32 s4, s4
	s_cbranch_execz .LBB86_177
; %bb.176:
	v_mul_f32_e32 v17, v89, v89
	s_mov_b32 s5, 0xbbbac73d
	s_wait_alu 0xfffe
	s_delay_alu instid0(VALU_DEP_1) | instskip(NEXT) | instid1(VALU_DEP_1)
	v_fmaak_f32 v91, s5, v17, 0x3ca908c9
	v_fmaak_f32 v91, v17, v91, 0xbd5c1c4e
	s_delay_alu instid0(VALU_DEP_1) | instskip(NEXT) | instid1(VALU_DEP_1)
	v_fmaak_f32 v91, v17, v91, 0x3e088382
	v_fmaak_f32 v91, v17, v91, 0xbeaaaa99
	s_delay_alu instid0(VALU_DEP_1) | instskip(NEXT) | instid1(VALU_DEP_1)
	v_mul_f32_e64 v91, |v89|, v91
	v_fma_f32 v17, v17, v91, |v89|
.LBB86_177:
	s_wait_alu 0xfffe
	s_or_b32 exec_lo, exec_lo, s4
	v_mul_hi_u32 v91, s24, v62
	s_delay_alu instid0(VALU_DEP_2) | instskip(SKIP_1) | instid1(VALU_DEP_3)
	v_bfi_b32 v89, 0x7fffffff, v17, v89
	v_max_num_f32_e32 v10, v10, v10
	v_add_nc_u32_e32 v91, v62, v91
	s_delay_alu instid0(VALU_DEP_1) | instskip(NEXT) | instid1(VALU_DEP_1)
	v_lshrrev_b32_e32 v91, s25, v91
	v_mul_lo_u32 v91, v91, s26
	s_delay_alu instid0(VALU_DEP_1) | instskip(SKIP_2) | instid1(VALU_DEP_2)
	v_sub_nc_u32_e32 v62, v62, v91
	s_wait_dscnt 0x0
	v_max_num_f32_e32 v91, v16, v16
	v_mad_co_u64_u32 v[16:17], null, v62, s14, s[38:39]
	s_delay_alu instid0(VALU_DEP_2)
	v_max_num_f32_e32 v10, v10, v91
	v_mul_f32_e32 v62, s15, v89
	s_and_saveexec_b32 s4, s2
	s_cbranch_execz .LBB86_182
; %bb.178:
	v_cmp_ne_u32_e32 vcc_lo, 1, v97
	s_cbranch_vccnz .LBB86_180
; %bb.179:
	s_delay_alu instid0(VALU_DEP_4) | instskip(NEXT) | instid1(VALU_DEP_1)
	v_add_nc_u32_e32 v91, v16, v40
	v_ashrrev_i32_e32 v92, 31, v91
	s_delay_alu instid0(VALU_DEP_1) | instskip(NEXT) | instid1(VALU_DEP_1)
	v_lshlrev_b64_e32 v[91:92], 1, v[91:92]
	v_add_co_u32 v91, vcc_lo, s40, v91
	s_wait_alu 0xfffd
	s_delay_alu instid0(VALU_DEP_2) | instskip(SKIP_3) | instid1(VALU_DEP_1)
	v_add_co_ci_u32_e64 v92, null, s41, v92, vcc_lo
	global_load_u16 v17, v[91:92], off
	s_wait_loadcnt 0x0
	v_cvt_f32_f16_e32 v17, v17
	v_mul_f32_e32 v17, v51, v17
	s_branch .LBB86_181
.LBB86_180:
	v_mov_b32_e32 v17, 0
.LBB86_181:
	s_delay_alu instid0(VALU_DEP_1) | instskip(NEXT) | instid1(VALU_DEP_1)
	v_dual_add_f32 v62, v62, v17 :: v_dual_max_num_f32 v11, v11, v11
	v_add_f32_e32 v17, 0x40051340, v62
	s_delay_alu instid0(VALU_DEP_1)
	v_max_num_f32_e32 v11, v11, v17
.LBB86_182:
	s_wait_alu 0xfffe
	s_or_b32 exec_lo, exec_lo, s4
	v_cmp_ngt_f32_e64 s4, 0x3f200000, |v90|
                                        ; implicit-def: $vgpr17
	s_and_saveexec_b32 s5, s4
	s_wait_alu 0xfffe
	s_xor_b32 s4, exec_lo, s5
	s_cbranch_execz .LBB86_184
; %bb.183:
	v_add_f32_e64 v17, |v90|, |v90|
	s_delay_alu instid0(VALU_DEP_1) | instskip(SKIP_1) | instid1(VALU_DEP_2)
	v_mul_f32_e32 v89, 0x3fb8aa3b, v17
	v_cmp_ngt_f32_e32 vcc_lo, 0xc2ce8ed0, v17
	v_rndne_f32_e32 v91, v89
	v_fma_f32 v92, 0x3fb8aa3b, v17, -v89
	s_delay_alu instid0(VALU_DEP_2) | instskip(NEXT) | instid1(VALU_DEP_2)
	v_sub_f32_e32 v89, v89, v91
	v_fmamk_f32 v92, v17, 0x32a5705f, v92
	v_cvt_i32_f32_e32 v91, v91
	s_delay_alu instid0(VALU_DEP_2) | instskip(NEXT) | instid1(VALU_DEP_1)
	v_add_f32_e32 v89, v89, v92
	v_exp_f32_e32 v89, v89
	s_delay_alu instid0(TRANS32_DEP_1) | instskip(SKIP_1) | instid1(VALU_DEP_1)
	v_ldexp_f32 v89, v89, v91
	s_wait_alu 0xfffd
	v_cndmask_b32_e32 v89, 0, v89, vcc_lo
	v_cmp_nlt_f32_e32 vcc_lo, 0x42b17218, v17
	s_wait_alu 0xfffd
	s_delay_alu instid0(VALU_DEP_2) | instskip(NEXT) | instid1(VALU_DEP_1)
	v_cndmask_b32_e32 v17, 0x7f800000, v89, vcc_lo
	v_add_f32_e32 v17, 1.0, v17
	s_delay_alu instid0(VALU_DEP_1) | instskip(NEXT) | instid1(TRANS32_DEP_1)
	v_rcp_f32_e32 v17, v17
	v_fma_f32 v17, v17, -2.0, 1.0
.LBB86_184:
	s_wait_alu 0xfffe
	s_and_not1_saveexec_b32 s4, s4
	s_cbranch_execz .LBB86_186
; %bb.185:
	v_mul_f32_e32 v17, v90, v90
	s_mov_b32 s5, 0xbbbac73d
	s_wait_alu 0xfffe
	s_delay_alu instid0(VALU_DEP_1) | instskip(NEXT) | instid1(VALU_DEP_1)
	v_fmaak_f32 v89, s5, v17, 0x3ca908c9
	v_fmaak_f32 v89, v17, v89, 0xbd5c1c4e
	s_delay_alu instid0(VALU_DEP_1) | instskip(NEXT) | instid1(VALU_DEP_1)
	v_fmaak_f32 v89, v17, v89, 0x3e088382
	v_fmaak_f32 v89, v17, v89, 0xbeaaaa99
	s_delay_alu instid0(VALU_DEP_1) | instskip(NEXT) | instid1(VALU_DEP_1)
	v_mul_f32_e64 v89, |v90|, v89
	v_fma_f32 v17, v17, v89, |v90|
.LBB86_186:
	s_wait_alu 0xfffe
	s_or_b32 exec_lo, exec_lo, s4
	s_delay_alu instid0(VALU_DEP_1) | instskip(NEXT) | instid1(VALU_DEP_1)
	v_bfi_b32 v17, 0x7fffffff, v17, v90
	v_mul_f32_e32 v89, s15, v17
	s_and_saveexec_b32 s4, s3
	s_cbranch_execz .LBB86_191
; %bb.187:
	v_cmp_ne_u32_e32 vcc_lo, 1, v97
	s_cbranch_vccnz .LBB86_189
; %bb.188:
	v_ashrrev_i32_e32 v17, 31, v16
	v_add_co_u32 v16, vcc_lo, v16, v40
	s_wait_alu 0xfffd
	s_delay_alu instid0(VALU_DEP_2) | instskip(NEXT) | instid1(VALU_DEP_1)
	v_add_co_ci_u32_e64 v17, null, 0, v17, vcc_lo
	v_lshlrev_b64_e32 v[16:17], 1, v[16:17]
	s_delay_alu instid0(VALU_DEP_1) | instskip(SKIP_1) | instid1(VALU_DEP_2)
	v_add_co_u32 v16, vcc_lo, s40, v16
	s_wait_alu 0xfffd
	v_add_co_ci_u32_e64 v17, null, s41, v17, vcc_lo
	global_load_u16 v16, v[16:17], off offset:64
	s_wait_loadcnt 0x0
	v_cvt_f32_f16_e32 v16, v16
	s_delay_alu instid0(VALU_DEP_1)
	v_mul_f32_e32 v16, v51, v16
	s_branch .LBB86_190
.LBB86_189:
	v_mov_b32_e32 v16, 0
.LBB86_190:
	s_delay_alu instid0(VALU_DEP_1) | instskip(NEXT) | instid1(VALU_DEP_1)
	v_add_f32_e32 v89, v89, v16
	v_dual_max_num_f32 v11, v11, v11 :: v_dual_add_f32 v16, 0x40051340, v89
	s_delay_alu instid0(VALU_DEP_1)
	v_max_num_f32_e32 v11, v11, v16
.LBB86_191:
	s_wait_alu 0xfffe
	s_or_b32 exec_lo, exec_lo, s4
	ds_bpermute_b32 v16, v98, v11
	v_cmp_ngt_f32_e64 s4, 0x3f200000, |v87|
                                        ; implicit-def: $vgpr17
	s_wait_dscnt 0x0
	v_dual_max_num_f32 v11, v11, v11 :: v_dual_max_num_f32 v16, v16, v16
	s_delay_alu instid0(VALU_DEP_1) | instskip(SKIP_3) | instid1(VALU_DEP_1)
	v_max_num_f32_e32 v11, v11, v16
	ds_bpermute_b32 v16, v99, v11
	s_wait_dscnt 0x0
	v_max_num_f32_e32 v16, v16, v16
	v_max_num_f32_e32 v11, v11, v16
	ds_bpermute_b32 v16, v100, v11
	s_wait_dscnt 0x0
	v_max_num_f32_e32 v16, v16, v16
	s_delay_alu instid0(VALU_DEP_1) | instskip(SKIP_3) | instid1(VALU_DEP_1)
	v_max_num_f32_e32 v11, v11, v16
	ds_bpermute_b32 v16, v101, v11
	s_wait_dscnt 0x0
	v_max_num_f32_e32 v16, v16, v16
	v_max_num_f32_e32 v11, v11, v16
	ds_bpermute_b32 v16, v102, v11
	s_and_saveexec_b32 s5, s4
	s_wait_alu 0xfffe
	s_xor_b32 s4, exec_lo, s5
	s_cbranch_execz .LBB86_193
; %bb.192:
	v_add_f32_e64 v17, |v87|, |v87|
	s_delay_alu instid0(VALU_DEP_1) | instskip(SKIP_1) | instid1(VALU_DEP_2)
	v_mul_f32_e32 v90, 0x3fb8aa3b, v17
	v_cmp_ngt_f32_e32 vcc_lo, 0xc2ce8ed0, v17
	v_rndne_f32_e32 v91, v90
	v_fma_f32 v92, 0x3fb8aa3b, v17, -v90
	s_delay_alu instid0(VALU_DEP_2) | instskip(NEXT) | instid1(VALU_DEP_2)
	v_sub_f32_e32 v90, v90, v91
	v_fmamk_f32 v92, v17, 0x32a5705f, v92
	v_cvt_i32_f32_e32 v91, v91
	s_delay_alu instid0(VALU_DEP_2) | instskip(NEXT) | instid1(VALU_DEP_1)
	v_add_f32_e32 v90, v90, v92
	v_exp_f32_e32 v90, v90
	s_delay_alu instid0(TRANS32_DEP_1) | instskip(SKIP_1) | instid1(VALU_DEP_1)
	v_ldexp_f32 v90, v90, v91
	s_wait_alu 0xfffd
	v_cndmask_b32_e32 v90, 0, v90, vcc_lo
	v_cmp_nlt_f32_e32 vcc_lo, 0x42b17218, v17
	s_wait_alu 0xfffd
	s_delay_alu instid0(VALU_DEP_2) | instskip(NEXT) | instid1(VALU_DEP_1)
	v_cndmask_b32_e32 v17, 0x7f800000, v90, vcc_lo
	v_add_f32_e32 v17, 1.0, v17
	s_delay_alu instid0(VALU_DEP_1) | instskip(NEXT) | instid1(TRANS32_DEP_1)
	v_rcp_f32_e32 v17, v17
	v_fma_f32 v17, v17, -2.0, 1.0
.LBB86_193:
	s_wait_alu 0xfffe
	s_and_not1_saveexec_b32 s4, s4
	s_cbranch_execz .LBB86_195
; %bb.194:
	v_mul_f32_e32 v17, v87, v87
	s_mov_b32 s5, 0xbbbac73d
	s_wait_alu 0xfffe
	s_delay_alu instid0(VALU_DEP_1) | instskip(NEXT) | instid1(VALU_DEP_1)
	v_fmaak_f32 v90, s5, v17, 0x3ca908c9
	v_fmaak_f32 v90, v17, v90, 0xbd5c1c4e
	s_delay_alu instid0(VALU_DEP_1) | instskip(NEXT) | instid1(VALU_DEP_1)
	v_fmaak_f32 v90, v17, v90, 0x3e088382
	v_fmaak_f32 v90, v17, v90, 0xbeaaaa99
	s_delay_alu instid0(VALU_DEP_1) | instskip(NEXT) | instid1(VALU_DEP_1)
	v_mul_f32_e64 v90, |v87|, v90
	v_fma_f32 v17, v17, v90, |v87|
.LBB86_195:
	s_wait_alu 0xfffe
	s_or_b32 exec_lo, exec_lo, s4
	v_mul_hi_u32 v90, s24, v58
	s_delay_alu instid0(VALU_DEP_2) | instskip(NEXT) | instid1(VALU_DEP_2)
	v_bfi_b32 v87, 0x7fffffff, v17, v87
	v_dual_max_num_f32 v11, v11, v11 :: v_dual_add_nc_u32 v90, v58, v90
	s_delay_alu instid0(VALU_DEP_1) | instskip(NEXT) | instid1(VALU_DEP_1)
	v_lshrrev_b32_e32 v90, s25, v90
	v_mul_lo_u32 v90, v90, s26
	s_delay_alu instid0(VALU_DEP_1) | instskip(SKIP_2) | instid1(VALU_DEP_2)
	v_sub_nc_u32_e32 v58, v58, v90
	s_wait_dscnt 0x0
	v_max_num_f32_e32 v90, v16, v16
	v_mad_co_u64_u32 v[16:17], null, v58, s14, s[38:39]
	s_delay_alu instid0(VALU_DEP_2)
	v_dual_max_num_f32 v11, v11, v90 :: v_dual_mul_f32 v58, s15, v87
	s_and_saveexec_b32 s4, s2
	s_cbranch_execz .LBB86_200
; %bb.196:
	v_cmp_ne_u32_e32 vcc_lo, 1, v97
	s_cbranch_vccnz .LBB86_198
; %bb.197:
	s_delay_alu instid0(VALU_DEP_3) | instskip(NEXT) | instid1(VALU_DEP_1)
	v_add_nc_u32_e32 v90, v16, v40
	v_ashrrev_i32_e32 v91, 31, v90
	s_delay_alu instid0(VALU_DEP_1) | instskip(NEXT) | instid1(VALU_DEP_1)
	v_lshlrev_b64_e32 v[90:91], 1, v[90:91]
	v_add_co_u32 v90, vcc_lo, s40, v90
	s_wait_alu 0xfffd
	s_delay_alu instid0(VALU_DEP_2) | instskip(SKIP_3) | instid1(VALU_DEP_1)
	v_add_co_ci_u32_e64 v91, null, s41, v91, vcc_lo
	global_load_u16 v17, v[90:91], off
	s_wait_loadcnt 0x0
	v_cvt_f32_f16_e32 v17, v17
	v_mul_f32_e32 v17, v51, v17
	s_branch .LBB86_199
.LBB86_198:
	v_mov_b32_e32 v17, 0
.LBB86_199:
	s_delay_alu instid0(VALU_DEP_1) | instskip(NEXT) | instid1(VALU_DEP_1)
	v_add_f32_e32 v58, v58, v17
	v_dual_max_num_f32 v12, v12, v12 :: v_dual_add_f32 v17, 0x40051340, v58
	s_delay_alu instid0(VALU_DEP_1)
	v_max_num_f32_e32 v12, v12, v17
.LBB86_200:
	s_wait_alu 0xfffe
	s_or_b32 exec_lo, exec_lo, s4
	v_cmp_ngt_f32_e64 s4, 0x3f200000, |v88|
                                        ; implicit-def: $vgpr17
	s_and_saveexec_b32 s5, s4
	s_wait_alu 0xfffe
	s_xor_b32 s4, exec_lo, s5
	s_cbranch_execz .LBB86_202
; %bb.201:
	v_add_f32_e64 v17, |v88|, |v88|
	s_delay_alu instid0(VALU_DEP_1) | instskip(SKIP_1) | instid1(VALU_DEP_2)
	v_mul_f32_e32 v87, 0x3fb8aa3b, v17
	v_cmp_ngt_f32_e32 vcc_lo, 0xc2ce8ed0, v17
	v_rndne_f32_e32 v90, v87
	v_fma_f32 v91, 0x3fb8aa3b, v17, -v87
	s_delay_alu instid0(VALU_DEP_2) | instskip(NEXT) | instid1(VALU_DEP_2)
	v_sub_f32_e32 v87, v87, v90
	v_fmamk_f32 v91, v17, 0x32a5705f, v91
	v_cvt_i32_f32_e32 v90, v90
	s_delay_alu instid0(VALU_DEP_2) | instskip(NEXT) | instid1(VALU_DEP_1)
	v_add_f32_e32 v87, v87, v91
	v_exp_f32_e32 v87, v87
	s_delay_alu instid0(TRANS32_DEP_1) | instskip(SKIP_1) | instid1(VALU_DEP_1)
	v_ldexp_f32 v87, v87, v90
	s_wait_alu 0xfffd
	v_cndmask_b32_e32 v87, 0, v87, vcc_lo
	v_cmp_nlt_f32_e32 vcc_lo, 0x42b17218, v17
	s_wait_alu 0xfffd
	s_delay_alu instid0(VALU_DEP_2) | instskip(NEXT) | instid1(VALU_DEP_1)
	v_cndmask_b32_e32 v17, 0x7f800000, v87, vcc_lo
	v_add_f32_e32 v17, 1.0, v17
	s_delay_alu instid0(VALU_DEP_1) | instskip(NEXT) | instid1(TRANS32_DEP_1)
	v_rcp_f32_e32 v17, v17
	v_fma_f32 v17, v17, -2.0, 1.0
.LBB86_202:
	s_wait_alu 0xfffe
	s_and_not1_saveexec_b32 s4, s4
	s_cbranch_execz .LBB86_204
; %bb.203:
	v_mul_f32_e32 v17, v88, v88
	s_mov_b32 s5, 0xbbbac73d
	s_wait_alu 0xfffe
	s_delay_alu instid0(VALU_DEP_1) | instskip(NEXT) | instid1(VALU_DEP_1)
	v_fmaak_f32 v87, s5, v17, 0x3ca908c9
	v_fmaak_f32 v87, v17, v87, 0xbd5c1c4e
	s_delay_alu instid0(VALU_DEP_1) | instskip(NEXT) | instid1(VALU_DEP_1)
	v_fmaak_f32 v87, v17, v87, 0x3e088382
	v_fmaak_f32 v87, v17, v87, 0xbeaaaa99
	s_delay_alu instid0(VALU_DEP_1) | instskip(NEXT) | instid1(VALU_DEP_1)
	v_mul_f32_e64 v87, |v88|, v87
	v_fma_f32 v17, v17, v87, |v88|
.LBB86_204:
	s_wait_alu 0xfffe
	s_or_b32 exec_lo, exec_lo, s4
	s_delay_alu instid0(VALU_DEP_1) | instskip(NEXT) | instid1(VALU_DEP_1)
	v_bfi_b32 v17, 0x7fffffff, v17, v88
	v_mul_f32_e32 v90, s15, v17
	s_and_saveexec_b32 s4, s3
	s_cbranch_execz .LBB86_209
; %bb.205:
	v_cmp_ne_u32_e32 vcc_lo, 1, v97
	s_cbranch_vccnz .LBB86_207
; %bb.206:
	v_ashrrev_i32_e32 v17, 31, v16
	v_add_co_u32 v16, vcc_lo, v16, v40
	s_wait_alu 0xfffd
	s_delay_alu instid0(VALU_DEP_2) | instskip(NEXT) | instid1(VALU_DEP_1)
	v_add_co_ci_u32_e64 v17, null, 0, v17, vcc_lo
	v_lshlrev_b64_e32 v[16:17], 1, v[16:17]
	s_delay_alu instid0(VALU_DEP_1) | instskip(SKIP_1) | instid1(VALU_DEP_2)
	v_add_co_u32 v16, vcc_lo, s40, v16
	s_wait_alu 0xfffd
	v_add_co_ci_u32_e64 v17, null, s41, v17, vcc_lo
	global_load_u16 v16, v[16:17], off offset:64
	s_wait_loadcnt 0x0
	v_cvt_f32_f16_e32 v16, v16
	s_delay_alu instid0(VALU_DEP_1)
	v_mul_f32_e32 v16, v51, v16
	s_branch .LBB86_208
.LBB86_207:
	v_mov_b32_e32 v16, 0
.LBB86_208:
	s_delay_alu instid0(VALU_DEP_1) | instskip(SKIP_1) | instid1(VALU_DEP_2)
	v_add_f32_e32 v90, v90, v16
	v_max_num_f32_e32 v12, v12, v12
	v_add_f32_e32 v16, 0x40051340, v90
	s_delay_alu instid0(VALU_DEP_1)
	v_max_num_f32_e32 v12, v12, v16
.LBB86_209:
	s_wait_alu 0xfffe
	s_or_b32 exec_lo, exec_lo, s4
	ds_bpermute_b32 v16, v98, v12
	v_max_num_f32_e32 v12, v12, v12
	v_cmp_ngt_f32_e64 s4, 0x3f200000, |v85|
                                        ; implicit-def: $vgpr17
	s_wait_dscnt 0x0
	v_max_num_f32_e32 v16, v16, v16
	s_delay_alu instid0(VALU_DEP_1) | instskip(SKIP_3) | instid1(VALU_DEP_1)
	v_max_num_f32_e32 v12, v12, v16
	ds_bpermute_b32 v16, v99, v12
	s_wait_dscnt 0x0
	v_max_num_f32_e32 v16, v16, v16
	v_max_num_f32_e32 v12, v12, v16
	ds_bpermute_b32 v16, v100, v12
	s_wait_dscnt 0x0
	v_max_num_f32_e32 v16, v16, v16
	s_delay_alu instid0(VALU_DEP_1) | instskip(SKIP_3) | instid1(VALU_DEP_1)
	v_max_num_f32_e32 v12, v12, v16
	ds_bpermute_b32 v16, v101, v12
	s_wait_dscnt 0x0
	v_max_num_f32_e32 v16, v16, v16
	v_max_num_f32_e32 v12, v12, v16
	ds_bpermute_b32 v16, v102, v12
	s_and_saveexec_b32 s5, s4
	s_wait_alu 0xfffe
	s_xor_b32 s4, exec_lo, s5
	s_cbranch_execz .LBB86_211
; %bb.210:
	v_add_f32_e64 v17, |v85|, |v85|
	s_delay_alu instid0(VALU_DEP_1) | instskip(SKIP_1) | instid1(VALU_DEP_2)
	v_mul_f32_e32 v87, 0x3fb8aa3b, v17
	v_cmp_ngt_f32_e32 vcc_lo, 0xc2ce8ed0, v17
	v_rndne_f32_e32 v88, v87
	v_fma_f32 v91, 0x3fb8aa3b, v17, -v87
	s_delay_alu instid0(VALU_DEP_2) | instskip(NEXT) | instid1(VALU_DEP_2)
	v_sub_f32_e32 v87, v87, v88
	v_fmamk_f32 v91, v17, 0x32a5705f, v91
	v_cvt_i32_f32_e32 v88, v88
	s_delay_alu instid0(VALU_DEP_2) | instskip(NEXT) | instid1(VALU_DEP_1)
	v_add_f32_e32 v87, v87, v91
	v_exp_f32_e32 v87, v87
	s_delay_alu instid0(TRANS32_DEP_1) | instskip(SKIP_1) | instid1(VALU_DEP_1)
	v_ldexp_f32 v87, v87, v88
	s_wait_alu 0xfffd
	v_cndmask_b32_e32 v87, 0, v87, vcc_lo
	v_cmp_nlt_f32_e32 vcc_lo, 0x42b17218, v17
	s_wait_alu 0xfffd
	s_delay_alu instid0(VALU_DEP_2) | instskip(NEXT) | instid1(VALU_DEP_1)
	v_cndmask_b32_e32 v17, 0x7f800000, v87, vcc_lo
	v_add_f32_e32 v17, 1.0, v17
	s_delay_alu instid0(VALU_DEP_1) | instskip(NEXT) | instid1(TRANS32_DEP_1)
	v_rcp_f32_e32 v17, v17
	v_fma_f32 v17, v17, -2.0, 1.0
.LBB86_211:
	s_wait_alu 0xfffe
	s_and_not1_saveexec_b32 s4, s4
	s_cbranch_execz .LBB86_213
; %bb.212:
	v_mul_f32_e32 v17, v85, v85
	s_mov_b32 s5, 0xbbbac73d
	s_wait_alu 0xfffe
	s_delay_alu instid0(VALU_DEP_1) | instskip(NEXT) | instid1(VALU_DEP_1)
	v_fmaak_f32 v87, s5, v17, 0x3ca908c9
	v_fmaak_f32 v87, v17, v87, 0xbd5c1c4e
	s_delay_alu instid0(VALU_DEP_1) | instskip(NEXT) | instid1(VALU_DEP_1)
	v_fmaak_f32 v87, v17, v87, 0x3e088382
	v_fmaak_f32 v87, v17, v87, 0xbeaaaa99
	s_delay_alu instid0(VALU_DEP_1) | instskip(NEXT) | instid1(VALU_DEP_1)
	v_mul_f32_e64 v87, |v85|, v87
	v_fma_f32 v17, v17, v87, |v85|
.LBB86_213:
	s_wait_alu 0xfffe
	s_or_b32 exec_lo, exec_lo, s4
	v_mul_hi_u32 v87, s24, v54
	s_delay_alu instid0(VALU_DEP_2) | instskip(NEXT) | instid1(VALU_DEP_2)
	v_bfi_b32 v85, 0x7fffffff, v17, v85
	v_dual_max_num_f32 v12, v12, v12 :: v_dual_add_nc_u32 v87, v54, v87
	s_delay_alu instid0(VALU_DEP_1) | instskip(NEXT) | instid1(VALU_DEP_1)
	v_lshrrev_b32_e32 v87, s25, v87
	v_mul_lo_u32 v87, v87, s26
	s_delay_alu instid0(VALU_DEP_1) | instskip(SKIP_2) | instid1(VALU_DEP_2)
	v_sub_nc_u32_e32 v54, v54, v87
	s_wait_dscnt 0x0
	v_max_num_f32_e32 v87, v16, v16
	v_mad_co_u64_u32 v[16:17], null, v54, s14, s[38:39]
	v_mul_f32_e32 v54, s15, v85
	s_delay_alu instid0(VALU_DEP_3)
	v_max_num_f32_e32 v12, v12, v87
	s_and_saveexec_b32 s4, s2
	s_cbranch_execz .LBB86_218
; %bb.214:
	v_cmp_ne_u32_e32 vcc_lo, 1, v97
	s_cbranch_vccnz .LBB86_216
; %bb.215:
	s_delay_alu instid0(VALU_DEP_4) | instskip(NEXT) | instid1(VALU_DEP_1)
	v_add_nc_u32_e32 v87, v16, v40
	v_ashrrev_i32_e32 v88, 31, v87
	s_delay_alu instid0(VALU_DEP_1) | instskip(NEXT) | instid1(VALU_DEP_1)
	v_lshlrev_b64_e32 v[87:88], 1, v[87:88]
	v_add_co_u32 v87, vcc_lo, s40, v87
	s_wait_alu 0xfffd
	s_delay_alu instid0(VALU_DEP_2) | instskip(SKIP_3) | instid1(VALU_DEP_1)
	v_add_co_ci_u32_e64 v88, null, s41, v88, vcc_lo
	global_load_u16 v17, v[87:88], off
	s_wait_loadcnt 0x0
	v_cvt_f32_f16_e32 v17, v17
	v_mul_f32_e32 v17, v51, v17
	s_branch .LBB86_217
.LBB86_216:
	v_mov_b32_e32 v17, 0
.LBB86_217:
	s_delay_alu instid0(VALU_DEP_1) | instskip(SKIP_1) | instid1(VALU_DEP_2)
	v_add_f32_e32 v54, v54, v17
	v_max_num_f32_e32 v13, v13, v13
	v_add_f32_e32 v17, 0x40051340, v54
	s_delay_alu instid0(VALU_DEP_1)
	v_max_num_f32_e32 v13, v13, v17
.LBB86_218:
	s_wait_alu 0xfffe
	s_or_b32 exec_lo, exec_lo, s4
	v_cmp_ngt_f32_e64 s4, 0x3f200000, |v86|
                                        ; implicit-def: $vgpr17
	s_and_saveexec_b32 s5, s4
	s_wait_alu 0xfffe
	s_xor_b32 s4, exec_lo, s5
	s_cbranch_execz .LBB86_220
; %bb.219:
	v_add_f32_e64 v17, |v86|, |v86|
	s_delay_alu instid0(VALU_DEP_1) | instskip(SKIP_1) | instid1(VALU_DEP_2)
	v_mul_f32_e32 v85, 0x3fb8aa3b, v17
	v_cmp_ngt_f32_e32 vcc_lo, 0xc2ce8ed0, v17
	v_rndne_f32_e32 v87, v85
	v_fma_f32 v88, 0x3fb8aa3b, v17, -v85
	s_delay_alu instid0(VALU_DEP_2) | instskip(NEXT) | instid1(VALU_DEP_2)
	v_sub_f32_e32 v85, v85, v87
	v_fmamk_f32 v88, v17, 0x32a5705f, v88
	v_cvt_i32_f32_e32 v87, v87
	s_delay_alu instid0(VALU_DEP_2) | instskip(NEXT) | instid1(VALU_DEP_1)
	v_add_f32_e32 v85, v85, v88
	v_exp_f32_e32 v85, v85
	s_delay_alu instid0(TRANS32_DEP_1) | instskip(SKIP_1) | instid1(VALU_DEP_1)
	v_ldexp_f32 v85, v85, v87
	s_wait_alu 0xfffd
	v_cndmask_b32_e32 v85, 0, v85, vcc_lo
	v_cmp_nlt_f32_e32 vcc_lo, 0x42b17218, v17
	s_wait_alu 0xfffd
	s_delay_alu instid0(VALU_DEP_2) | instskip(NEXT) | instid1(VALU_DEP_1)
	v_cndmask_b32_e32 v17, 0x7f800000, v85, vcc_lo
	v_add_f32_e32 v17, 1.0, v17
	s_delay_alu instid0(VALU_DEP_1) | instskip(NEXT) | instid1(TRANS32_DEP_1)
	v_rcp_f32_e32 v17, v17
	v_fma_f32 v17, v17, -2.0, 1.0
.LBB86_220:
	s_wait_alu 0xfffe
	s_and_not1_saveexec_b32 s4, s4
	s_cbranch_execz .LBB86_222
; %bb.221:
	v_mul_f32_e32 v17, v86, v86
	s_mov_b32 s5, 0xbbbac73d
	s_wait_alu 0xfffe
	s_delay_alu instid0(VALU_DEP_1) | instskip(NEXT) | instid1(VALU_DEP_1)
	v_fmaak_f32 v85, s5, v17, 0x3ca908c9
	v_fmaak_f32 v85, v17, v85, 0xbd5c1c4e
	s_delay_alu instid0(VALU_DEP_1) | instskip(NEXT) | instid1(VALU_DEP_1)
	v_fmaak_f32 v85, v17, v85, 0x3e088382
	v_fmaak_f32 v85, v17, v85, 0xbeaaaa99
	s_delay_alu instid0(VALU_DEP_1) | instskip(NEXT) | instid1(VALU_DEP_1)
	v_mul_f32_e64 v85, |v86|, v85
	v_fma_f32 v17, v17, v85, |v86|
.LBB86_222:
	s_wait_alu 0xfffe
	s_or_b32 exec_lo, exec_lo, s4
	s_delay_alu instid0(VALU_DEP_1) | instskip(NEXT) | instid1(VALU_DEP_1)
	v_bfi_b32 v17, 0x7fffffff, v17, v86
	v_mul_f32_e32 v91, s15, v17
	s_and_saveexec_b32 s4, s3
	s_cbranch_execz .LBB86_227
; %bb.223:
	v_cmp_ne_u32_e32 vcc_lo, 1, v97
	s_cbranch_vccnz .LBB86_225
; %bb.224:
	v_ashrrev_i32_e32 v17, 31, v16
	v_add_co_u32 v16, vcc_lo, v16, v40
	s_wait_alu 0xfffd
	s_delay_alu instid0(VALU_DEP_2) | instskip(NEXT) | instid1(VALU_DEP_1)
	v_add_co_ci_u32_e64 v17, null, 0, v17, vcc_lo
	v_lshlrev_b64_e32 v[16:17], 1, v[16:17]
	s_delay_alu instid0(VALU_DEP_1) | instskip(SKIP_1) | instid1(VALU_DEP_2)
	v_add_co_u32 v16, vcc_lo, s40, v16
	s_wait_alu 0xfffd
	v_add_co_ci_u32_e64 v17, null, s41, v17, vcc_lo
	global_load_u16 v16, v[16:17], off offset:64
	s_wait_loadcnt 0x0
	v_cvt_f32_f16_e32 v16, v16
	s_delay_alu instid0(VALU_DEP_1)
	v_mul_f32_e32 v16, v51, v16
	s_branch .LBB86_226
.LBB86_225:
	v_mov_b32_e32 v16, 0
.LBB86_226:
	s_delay_alu instid0(VALU_DEP_1) | instskip(NEXT) | instid1(VALU_DEP_1)
	v_add_f32_e32 v91, v91, v16
	v_dual_max_num_f32 v13, v13, v13 :: v_dual_add_f32 v16, 0x40051340, v91
	s_delay_alu instid0(VALU_DEP_1)
	v_max_num_f32_e32 v13, v13, v16
.LBB86_227:
	s_wait_alu 0xfffe
	s_or_b32 exec_lo, exec_lo, s4
	ds_bpermute_b32 v16, v98, v13
	v_cmp_ngt_f32_e64 s4, 0x3f200000, |v84|
                                        ; implicit-def: $vgpr17
	s_wait_dscnt 0x0
	v_dual_max_num_f32 v13, v13, v13 :: v_dual_max_num_f32 v16, v16, v16
	s_delay_alu instid0(VALU_DEP_1) | instskip(SKIP_3) | instid1(VALU_DEP_1)
	v_max_num_f32_e32 v13, v13, v16
	ds_bpermute_b32 v16, v99, v13
	s_wait_dscnt 0x0
	v_max_num_f32_e32 v16, v16, v16
	v_max_num_f32_e32 v13, v13, v16
	ds_bpermute_b32 v16, v100, v13
	s_wait_dscnt 0x0
	v_max_num_f32_e32 v16, v16, v16
	s_delay_alu instid0(VALU_DEP_1) | instskip(SKIP_3) | instid1(VALU_DEP_1)
	v_max_num_f32_e32 v13, v13, v16
	ds_bpermute_b32 v16, v101, v13
	s_wait_dscnt 0x0
	v_max_num_f32_e32 v16, v16, v16
	v_max_num_f32_e32 v13, v13, v16
	ds_bpermute_b32 v16, v102, v13
	s_and_saveexec_b32 s5, s4
	s_wait_alu 0xfffe
	s_xor_b32 s4, exec_lo, s5
	s_cbranch_execz .LBB86_229
; %bb.228:
	v_add_f32_e64 v17, |v84|, |v84|
	s_delay_alu instid0(VALU_DEP_1) | instskip(SKIP_1) | instid1(VALU_DEP_2)
	v_mul_f32_e32 v85, 0x3fb8aa3b, v17
	v_cmp_ngt_f32_e32 vcc_lo, 0xc2ce8ed0, v17
	v_rndne_f32_e32 v86, v85
	v_fma_f32 v87, 0x3fb8aa3b, v17, -v85
	s_delay_alu instid0(VALU_DEP_2) | instskip(NEXT) | instid1(VALU_DEP_2)
	v_sub_f32_e32 v85, v85, v86
	v_fmamk_f32 v87, v17, 0x32a5705f, v87
	v_cvt_i32_f32_e32 v86, v86
	s_delay_alu instid0(VALU_DEP_2) | instskip(NEXT) | instid1(VALU_DEP_1)
	v_add_f32_e32 v85, v85, v87
	v_exp_f32_e32 v85, v85
	s_delay_alu instid0(TRANS32_DEP_1) | instskip(SKIP_1) | instid1(VALU_DEP_1)
	v_ldexp_f32 v85, v85, v86
	s_wait_alu 0xfffd
	v_cndmask_b32_e32 v85, 0, v85, vcc_lo
	v_cmp_nlt_f32_e32 vcc_lo, 0x42b17218, v17
	s_wait_alu 0xfffd
	s_delay_alu instid0(VALU_DEP_2) | instskip(NEXT) | instid1(VALU_DEP_1)
	v_cndmask_b32_e32 v17, 0x7f800000, v85, vcc_lo
	v_add_f32_e32 v17, 1.0, v17
	s_delay_alu instid0(VALU_DEP_1) | instskip(NEXT) | instid1(TRANS32_DEP_1)
	v_rcp_f32_e32 v17, v17
	v_fma_f32 v17, v17, -2.0, 1.0
.LBB86_229:
	s_wait_alu 0xfffe
	s_and_not1_saveexec_b32 s4, s4
	s_cbranch_execz .LBB86_231
; %bb.230:
	v_mul_f32_e32 v17, v84, v84
	s_mov_b32 s5, 0xbbbac73d
	s_wait_alu 0xfffe
	s_delay_alu instid0(VALU_DEP_1) | instskip(NEXT) | instid1(VALU_DEP_1)
	v_fmaak_f32 v85, s5, v17, 0x3ca908c9
	v_fmaak_f32 v85, v17, v85, 0xbd5c1c4e
	s_delay_alu instid0(VALU_DEP_1) | instskip(NEXT) | instid1(VALU_DEP_1)
	v_fmaak_f32 v85, v17, v85, 0x3e088382
	v_fmaak_f32 v85, v17, v85, 0xbeaaaa99
	s_delay_alu instid0(VALU_DEP_1) | instskip(NEXT) | instid1(VALU_DEP_1)
	v_mul_f32_e64 v85, |v84|, v85
	v_fma_f32 v17, v17, v85, |v84|
.LBB86_231:
	s_wait_alu 0xfffe
	s_or_b32 exec_lo, exec_lo, s4
	v_mul_hi_u32 v85, s24, v53
	s_delay_alu instid0(VALU_DEP_2) | instskip(NEXT) | instid1(VALU_DEP_1)
	v_bfi_b32 v84, 0x7fffffff, v17, v84
	v_dual_max_num_f32 v13, v13, v13 :: v_dual_mul_f32 v84, s15, v84
	s_delay_alu instid0(VALU_DEP_3) | instskip(NEXT) | instid1(VALU_DEP_1)
	v_add_nc_u32_e32 v85, v53, v85
	v_lshrrev_b32_e32 v85, s25, v85
	s_delay_alu instid0(VALU_DEP_1) | instskip(NEXT) | instid1(VALU_DEP_1)
	v_mul_lo_u32 v85, v85, s26
	v_sub_nc_u32_e32 v53, v53, v85
	s_wait_dscnt 0x0
	v_max_num_f32_e32 v85, v16, v16
	s_delay_alu instid0(VALU_DEP_2) | instskip(NEXT) | instid1(VALU_DEP_2)
	v_mad_co_u64_u32 v[16:17], null, v53, s14, s[38:39]
	v_max_num_f32_e32 v13, v13, v85
	s_and_saveexec_b32 s4, s2
	s_cbranch_execz .LBB86_236
; %bb.232:
	v_cmp_ne_u32_e32 vcc_lo, 1, v97
	s_cbranch_vccnz .LBB86_234
; %bb.233:
	s_delay_alu instid0(VALU_DEP_3) | instskip(NEXT) | instid1(VALU_DEP_1)
	v_add_nc_u32_e32 v85, v16, v40
	v_ashrrev_i32_e32 v86, 31, v85
	s_delay_alu instid0(VALU_DEP_1) | instskip(NEXT) | instid1(VALU_DEP_1)
	v_lshlrev_b64_e32 v[85:86], 1, v[85:86]
	v_add_co_u32 v85, vcc_lo, s40, v85
	s_wait_alu 0xfffd
	s_delay_alu instid0(VALU_DEP_2) | instskip(SKIP_3) | instid1(VALU_DEP_1)
	v_add_co_ci_u32_e64 v86, null, s41, v86, vcc_lo
	global_load_u16 v17, v[85:86], off
	s_wait_loadcnt 0x0
	v_cvt_f32_f16_e32 v17, v17
	v_mul_f32_e32 v17, v51, v17
	s_branch .LBB86_235
.LBB86_234:
	v_mov_b32_e32 v17, 0
.LBB86_235:
	s_delay_alu instid0(VALU_DEP_1) | instskip(NEXT) | instid1(VALU_DEP_1)
	v_add_f32_e32 v84, v84, v17
	v_dual_max_num_f32 v14, v14, v14 :: v_dual_add_f32 v17, 0x40051340, v84
	s_delay_alu instid0(VALU_DEP_1)
	v_max_num_f32_e32 v14, v14, v17
.LBB86_236:
	s_wait_alu 0xfffe
	s_or_b32 exec_lo, exec_lo, s4
	v_cmp_ngt_f32_e64 s4, 0x3f200000, |v83|
                                        ; implicit-def: $vgpr17
	s_and_saveexec_b32 s5, s4
	s_wait_alu 0xfffe
	s_xor_b32 s4, exec_lo, s5
	s_cbranch_execz .LBB86_238
; %bb.237:
	v_add_f32_e64 v17, |v83|, |v83|
	s_delay_alu instid0(VALU_DEP_1) | instskip(SKIP_1) | instid1(VALU_DEP_2)
	v_mul_f32_e32 v53, 0x3fb8aa3b, v17
	v_cmp_ngt_f32_e32 vcc_lo, 0xc2ce8ed0, v17
	v_rndne_f32_e32 v85, v53
	v_fma_f32 v86, 0x3fb8aa3b, v17, -v53
	s_delay_alu instid0(VALU_DEP_2) | instskip(NEXT) | instid1(VALU_DEP_2)
	v_sub_f32_e32 v53, v53, v85
	v_fmamk_f32 v86, v17, 0x32a5705f, v86
	v_cvt_i32_f32_e32 v85, v85
	s_delay_alu instid0(VALU_DEP_2) | instskip(NEXT) | instid1(VALU_DEP_1)
	v_add_f32_e32 v53, v53, v86
	v_exp_f32_e32 v53, v53
	s_delay_alu instid0(TRANS32_DEP_1) | instskip(SKIP_1) | instid1(VALU_DEP_1)
	v_ldexp_f32 v53, v53, v85
	s_wait_alu 0xfffd
	v_cndmask_b32_e32 v53, 0, v53, vcc_lo
	v_cmp_nlt_f32_e32 vcc_lo, 0x42b17218, v17
	s_wait_alu 0xfffd
	s_delay_alu instid0(VALU_DEP_2) | instskip(NEXT) | instid1(VALU_DEP_1)
	v_cndmask_b32_e32 v17, 0x7f800000, v53, vcc_lo
	v_add_f32_e32 v17, 1.0, v17
	s_delay_alu instid0(VALU_DEP_1) | instskip(NEXT) | instid1(TRANS32_DEP_1)
	v_rcp_f32_e32 v17, v17
	v_fma_f32 v17, v17, -2.0, 1.0
.LBB86_238:
	s_wait_alu 0xfffe
	s_and_not1_saveexec_b32 s4, s4
	s_cbranch_execz .LBB86_240
; %bb.239:
	v_mul_f32_e32 v17, v83, v83
	s_mov_b32 s5, 0xbbbac73d
	s_wait_alu 0xfffe
	s_delay_alu instid0(VALU_DEP_1) | instskip(NEXT) | instid1(VALU_DEP_1)
	v_fmaak_f32 v53, s5, v17, 0x3ca908c9
	v_fmaak_f32 v53, v17, v53, 0xbd5c1c4e
	s_delay_alu instid0(VALU_DEP_1) | instskip(NEXT) | instid1(VALU_DEP_1)
	v_fmaak_f32 v53, v17, v53, 0x3e088382
	v_fmaak_f32 v53, v17, v53, 0xbeaaaa99
	s_delay_alu instid0(VALU_DEP_1) | instskip(NEXT) | instid1(VALU_DEP_1)
	v_mul_f32_e64 v53, |v83|, v53
	v_fma_f32 v17, v17, v53, |v83|
.LBB86_240:
	s_wait_alu 0xfffe
	s_or_b32 exec_lo, exec_lo, s4
	s_delay_alu instid0(VALU_DEP_1) | instskip(NEXT) | instid1(VALU_DEP_1)
	v_bfi_b32 v17, 0x7fffffff, v17, v83
	v_mul_f32_e32 v83, s15, v17
	s_and_saveexec_b32 s4, s3
	s_cbranch_execz .LBB86_245
; %bb.241:
	v_cmp_ne_u32_e32 vcc_lo, 1, v97
	s_cbranch_vccnz .LBB86_243
; %bb.242:
	v_ashrrev_i32_e32 v17, 31, v16
	v_add_co_u32 v16, vcc_lo, v16, v40
	s_wait_alu 0xfffd
	s_delay_alu instid0(VALU_DEP_2) | instskip(NEXT) | instid1(VALU_DEP_1)
	v_add_co_ci_u32_e64 v17, null, 0, v17, vcc_lo
	v_lshlrev_b64_e32 v[16:17], 1, v[16:17]
	s_delay_alu instid0(VALU_DEP_1) | instskip(SKIP_1) | instid1(VALU_DEP_2)
	v_add_co_u32 v16, vcc_lo, s40, v16
	s_wait_alu 0xfffd
	v_add_co_ci_u32_e64 v17, null, s41, v17, vcc_lo
	global_load_u16 v16, v[16:17], off offset:64
	s_wait_loadcnt 0x0
	v_cvt_f32_f16_e32 v16, v16
	s_delay_alu instid0(VALU_DEP_1)
	v_mul_f32_e32 v16, v51, v16
	s_branch .LBB86_244
.LBB86_243:
	v_mov_b32_e32 v16, 0
.LBB86_244:
	s_delay_alu instid0(VALU_DEP_1) | instskip(NEXT) | instid1(VALU_DEP_1)
	v_dual_add_f32 v83, v83, v16 :: v_dual_max_num_f32 v14, v14, v14
	v_add_f32_e32 v16, 0x40051340, v83
	s_delay_alu instid0(VALU_DEP_1)
	v_max_num_f32_e32 v14, v14, v16
.LBB86_245:
	s_wait_alu 0xfffe
	s_or_b32 exec_lo, exec_lo, s4
	ds_bpermute_b32 v16, v98, v14
	v_max_num_f32_e32 v14, v14, v14
	v_cmp_ngt_f32_e64 s4, 0x3f200000, |v78|
                                        ; implicit-def: $vgpr17
	s_wait_dscnt 0x0
	v_max_num_f32_e32 v16, v16, v16
	s_delay_alu instid0(VALU_DEP_1) | instskip(SKIP_3) | instid1(VALU_DEP_1)
	v_max_num_f32_e32 v14, v14, v16
	ds_bpermute_b32 v16, v99, v14
	s_wait_dscnt 0x0
	v_max_num_f32_e32 v16, v16, v16
	v_max_num_f32_e32 v14, v14, v16
	ds_bpermute_b32 v16, v100, v14
	s_wait_dscnt 0x0
	v_max_num_f32_e32 v16, v16, v16
	s_delay_alu instid0(VALU_DEP_1) | instskip(SKIP_3) | instid1(VALU_DEP_1)
	v_max_num_f32_e32 v14, v14, v16
	ds_bpermute_b32 v16, v101, v14
	s_wait_dscnt 0x0
	v_max_num_f32_e32 v16, v16, v16
	v_max_num_f32_e32 v14, v14, v16
	ds_bpermute_b32 v16, v102, v14
	s_and_saveexec_b32 s5, s4
	s_wait_alu 0xfffe
	s_xor_b32 s4, exec_lo, s5
	s_cbranch_execz .LBB86_247
; %bb.246:
	v_add_f32_e64 v17, |v78|, |v78|
	s_delay_alu instid0(VALU_DEP_1) | instskip(SKIP_1) | instid1(VALU_DEP_2)
	v_mul_f32_e32 v53, 0x3fb8aa3b, v17
	v_cmp_ngt_f32_e32 vcc_lo, 0xc2ce8ed0, v17
	v_rndne_f32_e32 v85, v53
	v_fma_f32 v86, 0x3fb8aa3b, v17, -v53
	s_delay_alu instid0(VALU_DEP_2) | instskip(NEXT) | instid1(VALU_DEP_2)
	v_sub_f32_e32 v53, v53, v85
	v_fmamk_f32 v86, v17, 0x32a5705f, v86
	v_cvt_i32_f32_e32 v85, v85
	s_delay_alu instid0(VALU_DEP_2) | instskip(NEXT) | instid1(VALU_DEP_1)
	v_add_f32_e32 v53, v53, v86
	v_exp_f32_e32 v53, v53
	s_delay_alu instid0(TRANS32_DEP_1) | instskip(SKIP_1) | instid1(VALU_DEP_1)
	v_ldexp_f32 v53, v53, v85
	s_wait_alu 0xfffd
	v_cndmask_b32_e32 v53, 0, v53, vcc_lo
	v_cmp_nlt_f32_e32 vcc_lo, 0x42b17218, v17
	s_wait_alu 0xfffd
	s_delay_alu instid0(VALU_DEP_2) | instskip(NEXT) | instid1(VALU_DEP_1)
	v_cndmask_b32_e32 v17, 0x7f800000, v53, vcc_lo
	v_add_f32_e32 v17, 1.0, v17
	s_delay_alu instid0(VALU_DEP_1) | instskip(NEXT) | instid1(TRANS32_DEP_1)
	v_rcp_f32_e32 v17, v17
	v_fma_f32 v17, v17, -2.0, 1.0
.LBB86_247:
	s_wait_alu 0xfffe
	s_and_not1_saveexec_b32 s4, s4
	s_cbranch_execz .LBB86_249
; %bb.248:
	v_mul_f32_e32 v17, v78, v78
	s_mov_b32 s5, 0xbbbac73d
	s_wait_alu 0xfffe
	s_delay_alu instid0(VALU_DEP_1) | instskip(NEXT) | instid1(VALU_DEP_1)
	v_fmaak_f32 v53, s5, v17, 0x3ca908c9
	v_fmaak_f32 v53, v17, v53, 0xbd5c1c4e
	s_delay_alu instid0(VALU_DEP_1) | instskip(NEXT) | instid1(VALU_DEP_1)
	v_fmaak_f32 v53, v17, v53, 0x3e088382
	v_fmaak_f32 v53, v17, v53, 0xbeaaaa99
	s_delay_alu instid0(VALU_DEP_1) | instskip(NEXT) | instid1(VALU_DEP_1)
	v_mul_f32_e64 v53, |v78|, v53
	v_fma_f32 v17, v17, v53, |v78|
.LBB86_249:
	s_wait_alu 0xfffe
	s_or_b32 exec_lo, exec_lo, s4
	v_mul_hi_u32 v53, s24, v52
	s_delay_alu instid0(VALU_DEP_2) | instskip(SKIP_1) | instid1(VALU_DEP_2)
	v_bfi_b32 v78, 0x7fffffff, v17, v78
	v_max_num_f32_e32 v14, v14, v14
	v_dual_mul_f32 v78, s15, v78 :: v_dual_add_nc_u32 v53, v52, v53
	s_delay_alu instid0(VALU_DEP_1) | instskip(NEXT) | instid1(VALU_DEP_1)
	v_lshrrev_b32_e32 v53, s25, v53
	v_mul_lo_u32 v53, v53, s26
	s_delay_alu instid0(VALU_DEP_1) | instskip(SKIP_2) | instid1(VALU_DEP_2)
	v_sub_nc_u32_e32 v52, v52, v53
	s_wait_dscnt 0x0
	v_max_num_f32_e32 v53, v16, v16
	v_mad_co_u64_u32 v[16:17], null, v52, s14, s[38:39]
	s_delay_alu instid0(VALU_DEP_2)
	v_max_num_f32_e32 v14, v14, v53
	s_and_saveexec_b32 s4, s2
	s_cbranch_execz .LBB86_254
; %bb.250:
	v_cmp_ne_u32_e32 vcc_lo, 1, v97
	s_cbranch_vccnz .LBB86_252
; %bb.251:
	s_delay_alu instid0(VALU_DEP_3) | instskip(NEXT) | instid1(VALU_DEP_1)
	v_add_nc_u32_e32 v52, v16, v40
	v_ashrrev_i32_e32 v53, 31, v52
	s_delay_alu instid0(VALU_DEP_1) | instskip(NEXT) | instid1(VALU_DEP_1)
	v_lshlrev_b64_e32 v[52:53], 1, v[52:53]
	v_add_co_u32 v52, vcc_lo, s40, v52
	s_wait_alu 0xfffd
	s_delay_alu instid0(VALU_DEP_2) | instskip(SKIP_3) | instid1(VALU_DEP_1)
	v_add_co_ci_u32_e64 v53, null, s41, v53, vcc_lo
	global_load_u16 v17, v[52:53], off
	s_wait_loadcnt 0x0
	v_cvt_f32_f16_e32 v17, v17
	v_mul_f32_e32 v17, v51, v17
	s_branch .LBB86_253
.LBB86_252:
	v_mov_b32_e32 v17, 0
.LBB86_253:
	s_delay_alu instid0(VALU_DEP_1) | instskip(NEXT) | instid1(VALU_DEP_1)
	v_dual_add_f32 v78, v78, v17 :: v_dual_max_num_f32 v15, v15, v15
	v_add_f32_e32 v17, 0x40051340, v78
	s_delay_alu instid0(VALU_DEP_1)
	v_max_num_f32_e32 v15, v15, v17
.LBB86_254:
	s_wait_alu 0xfffe
	s_or_b32 exec_lo, exec_lo, s4
	v_cmp_ngt_f32_e64 s2, 0x3f200000, |v77|
                                        ; implicit-def: $vgpr17
	s_and_saveexec_b32 s4, s2
	s_wait_alu 0xfffe
	s_xor_b32 s2, exec_lo, s4
	s_cbranch_execz .LBB86_256
; %bb.255:
	v_add_f32_e64 v17, |v77|, |v77|
	s_delay_alu instid0(VALU_DEP_1) | instskip(SKIP_1) | instid1(VALU_DEP_2)
	v_mul_f32_e32 v52, 0x3fb8aa3b, v17
	v_cmp_ngt_f32_e32 vcc_lo, 0xc2ce8ed0, v17
	v_rndne_f32_e32 v53, v52
	v_fma_f32 v85, 0x3fb8aa3b, v17, -v52
	s_delay_alu instid0(VALU_DEP_1) | instskip(SKIP_1) | instid1(VALU_DEP_2)
	v_dual_sub_f32 v52, v52, v53 :: v_dual_fmamk_f32 v85, v17, 0x32a5705f, v85
	v_cvt_i32_f32_e32 v53, v53
	v_add_f32_e32 v52, v52, v85
	s_delay_alu instid0(VALU_DEP_1) | instskip(NEXT) | instid1(TRANS32_DEP_1)
	v_exp_f32_e32 v52, v52
	v_ldexp_f32 v52, v52, v53
	s_wait_alu 0xfffd
	s_delay_alu instid0(VALU_DEP_1) | instskip(SKIP_2) | instid1(VALU_DEP_2)
	v_cndmask_b32_e32 v52, 0, v52, vcc_lo
	v_cmp_nlt_f32_e32 vcc_lo, 0x42b17218, v17
	s_wait_alu 0xfffd
	v_cndmask_b32_e32 v17, 0x7f800000, v52, vcc_lo
	s_delay_alu instid0(VALU_DEP_1) | instskip(NEXT) | instid1(VALU_DEP_1)
	v_add_f32_e32 v17, 1.0, v17
	v_rcp_f32_e32 v17, v17
	s_delay_alu instid0(TRANS32_DEP_1)
	v_fma_f32 v17, v17, -2.0, 1.0
.LBB86_256:
	s_wait_alu 0xfffe
	s_and_not1_saveexec_b32 s2, s2
	s_cbranch_execz .LBB86_258
; %bb.257:
	v_mul_f32_e32 v17, v77, v77
	s_mov_b32 s4, 0xbbbac73d
	s_wait_alu 0xfffe
	s_delay_alu instid0(VALU_DEP_1) | instskip(NEXT) | instid1(VALU_DEP_1)
	v_fmaak_f32 v52, s4, v17, 0x3ca908c9
	v_fmaak_f32 v52, v17, v52, 0xbd5c1c4e
	s_delay_alu instid0(VALU_DEP_1) | instskip(NEXT) | instid1(VALU_DEP_1)
	v_fmaak_f32 v52, v17, v52, 0x3e088382
	v_fmaak_f32 v52, v17, v52, 0xbeaaaa99
	s_delay_alu instid0(VALU_DEP_1) | instskip(NEXT) | instid1(VALU_DEP_1)
	v_mul_f32_e64 v52, |v77|, v52
	v_fma_f32 v17, v17, v52, |v77|
.LBB86_258:
	s_wait_alu 0xfffe
	s_or_b32 exec_lo, exec_lo, s2
	s_delay_alu instid0(VALU_DEP_1) | instskip(NEXT) | instid1(VALU_DEP_1)
	v_bfi_b32 v17, 0x7fffffff, v17, v77
	v_mul_f32_e32 v77, s15, v17
	s_and_saveexec_b32 s2, s3
	s_cbranch_execz .LBB86_263
; %bb.259:
	v_cmp_ne_u32_e32 vcc_lo, 1, v97
	s_cbranch_vccnz .LBB86_261
; %bb.260:
	v_ashrrev_i32_e32 v17, 31, v16
	v_add_co_u32 v16, vcc_lo, v16, v40
	s_wait_alu 0xfffd
	s_delay_alu instid0(VALU_DEP_2) | instskip(NEXT) | instid1(VALU_DEP_1)
	v_add_co_ci_u32_e64 v17, null, 0, v17, vcc_lo
	v_lshlrev_b64_e32 v[16:17], 1, v[16:17]
	s_delay_alu instid0(VALU_DEP_1) | instskip(SKIP_1) | instid1(VALU_DEP_2)
	v_add_co_u32 v16, vcc_lo, s40, v16
	s_wait_alu 0xfffd
	v_add_co_ci_u32_e64 v17, null, s41, v17, vcc_lo
	global_load_u16 v16, v[16:17], off offset:64
	s_wait_loadcnt 0x0
	v_cvt_f32_f16_e32 v16, v16
	s_delay_alu instid0(VALU_DEP_1)
	v_mul_f32_e32 v16, v51, v16
	s_branch .LBB86_262
.LBB86_261:
	v_mov_b32_e32 v16, 0
.LBB86_262:
	s_delay_alu instid0(VALU_DEP_1) | instskip(NEXT) | instid1(VALU_DEP_1)
	v_add_f32_e32 v77, v77, v16
	v_dual_max_num_f32 v15, v15, v15 :: v_dual_add_f32 v16, 0x40051340, v77
	s_delay_alu instid0(VALU_DEP_1)
	v_max_num_f32_e32 v15, v15, v16
.LBB86_263:
	s_wait_alu 0xfffe
	s_or_b32 exec_lo, exec_lo, s2
	ds_bpermute_b32 v16, v98, v15
	v_max_num_f32_e32 v15, v15, v15
	v_dual_sub_f32 v85, v0, v8 :: v_dual_sub_f32 v88, v3, v11
	v_sub_f32_e32 v97, v4, v12
	s_wait_loadcnt_dscnt 0x0
	s_barrier_signal -1
	s_barrier_wait -1
	global_inv scope:SCOPE_SE
	v_lshl_add_u32 v94, v48, 1, v50
	s_ashr_i32 s29, s28, 31
	s_mov_b64 s[14:15], src_private_base
	v_dual_sub_f32 v86, v1, v9 :: v_dual_sub_f32 v87, v2, v10
	v_sub_f32_e32 v0, v65, v10
	s_delay_alu instid0(VALU_DEP_1) | instskip(SKIP_3) | instid1(VALU_DEP_4)
	v_dual_mov_b32 v92, 0 :: v_dual_mul_f32 v1, 0x3fb8aa3b, v0
	v_max_num_f32_e32 v16, v16, v16
	v_cmp_ngt_f32_e32 vcc_lo, 0xc2ce8ed0, v0
	v_cmp_nlt_f32_e64 s2, 0x42b17218, v0
	v_fma_f32 v2, 0x3fb8aa3b, v0, -v1
	s_delay_alu instid0(VALU_DEP_4) | instskip(NEXT) | instid1(VALU_DEP_2)
	v_max_num_f32_e32 v15, v15, v16
	v_fmac_f32_e32 v2, 0x32a5705f, v0
	ds_bpermute_b32 v16, v99, v15
	v_dual_sub_f32 v99, v5, v13 :: v_dual_sub_f32 v0, v62, v11
	v_mul_f32_e32 v50, 0x3fb8aa3b, v86
	s_delay_alu instid0(VALU_DEP_2) | instskip(NEXT) | instid1(VALU_DEP_3)
	v_cmp_ngt_f32_e64 s11, 0xc2ce8ed0, v99
	v_mul_f32_e32 v3, 0x3fb8aa3b, v0
	v_cmp_ngt_f32_e64 s3, 0xc2ce8ed0, v0
	v_cmp_nlt_f32_e64 s4, 0x42b17218, v0
	v_cmp_nlt_f32_e64 s12, 0x42b17218, v99
	s_delay_alu instid0(VALU_DEP_4) | instskip(NEXT) | instid1(VALU_DEP_1)
	v_fma_f32 v4, 0x3fb8aa3b, v0, -v3
	v_fmac_f32_e32 v4, 0x32a5705f, v0
	v_sub_f32_e32 v0, v58, v12
	s_wait_dscnt 0x0
	v_max_num_f32_e32 v16, v16, v16
	s_delay_alu instid0(VALU_DEP_2) | instskip(SKIP_1) | instid1(VALU_DEP_3)
	v_mul_f32_e32 v5, 0x3fb8aa3b, v0
	v_cmp_ngt_f32_e64 s5, 0xc2ce8ed0, v0
	v_max_num_f32_e32 v15, v15, v16
	v_cmp_nlt_f32_e64 s6, 0x42b17218, v0
	ds_bpermute_b32 v16, v100, v15
	v_sub_f32_e32 v100, v6, v14
	v_fma_f32 v6, 0x3fb8aa3b, v0, -v5
	s_delay_alu instid0(VALU_DEP_2) | instskip(NEXT) | instid1(VALU_DEP_2)
	v_cmp_ngt_f32_e64 s13, 0xc2ce8ed0, v100
	v_fmac_f32_e32 v6, 0x32a5705f, v0
	v_rndne_f32_e32 v0, v1
	v_cmp_nlt_f32_e64 s14, 0x42b17218, v100
	s_delay_alu instid0(VALU_DEP_2) | instskip(SKIP_1) | instid1(VALU_DEP_2)
	v_sub_f32_e32 v1, v1, v0
	v_cvt_i32_f32_e32 v0, v0
	v_add_f32_e32 v1, v1, v2
	v_rndne_f32_e32 v2, v3
	s_wait_dscnt 0x0
	v_max_num_f32_e32 v16, v16, v16
	s_delay_alu instid0(VALU_DEP_3) | instskip(NEXT) | instid1(VALU_DEP_2)
	v_exp_f32_e32 v1, v1
	v_sub_f32_e32 v3, v3, v2
	s_delay_alu instid0(VALU_DEP_2) | instskip(SKIP_1) | instid1(VALU_DEP_3)
	v_max_num_f32_e32 v15, v15, v16
	v_cvt_i32_f32_e32 v2, v2
	v_add_f32_e32 v3, v3, v4
	ds_bpermute_b32 v16, v101, v15
	v_rndne_f32_e32 v4, v5
	v_ldexp_f32 v0, v1, v0
	v_exp_f32_e32 v1, v3
	s_delay_alu instid0(VALU_DEP_2) | instskip(SKIP_1) | instid1(VALU_DEP_2)
	v_sub_f32_e32 v5, v5, v4
	v_cvt_i32_f32_e32 v3, v4
	v_dual_add_f32 v5, v5, v6 :: v_dual_sub_f32 v6, v54, v13
	s_delay_alu instid0(TRANS32_DEP_1) | instskip(NEXT) | instid1(VALU_DEP_2)
	v_ldexp_f32 v1, v1, v2
	v_exp_f32_e32 v2, v5
	s_delay_alu instid0(VALU_DEP_2)
	v_cmp_ngt_f32_e64 s7, 0xc2ce8ed0, v6
	v_cmp_nlt_f32_e64 s8, 0x42b17218, v6
	s_wait_alu 0xf1ff
	v_cndmask_b32_e64 v1, 0, v1, s3
	s_wait_dscnt 0x0
	v_max_num_f32_e32 v16, v16, v16
	s_delay_alu instid0(VALU_DEP_2) | instskip(NEXT) | instid1(VALU_DEP_2)
	v_cndmask_b32_e64 v1, 0x7f800000, v1, s4
	v_max_num_f32_e32 v15, v15, v16
	s_delay_alu instid0(TRANS32_DEP_1)
	v_ldexp_f32 v2, v2, v3
	s_wait_alu 0xfffd
	v_cndmask_b32_e32 v0, 0, v0, vcc_lo
	v_cmp_gt_u32_e32 vcc_lo, s19, v40
	ds_bpermute_b32 v16, v102, v15
	v_cndmask_b32_e64 v2, 0, v2, s5
	s_delay_alu instid0(VALU_DEP_1) | instskip(SKIP_2) | instid1(VALU_DEP_1)
	v_cndmask_b32_e64 v2, 0x7f800000, v2, s6
	s_wait_dscnt 0x0
	v_max_num_f32_e32 v16, v16, v16
	v_max_num_f32_e32 v15, v15, v16
	s_delay_alu instid0(VALU_DEP_1) | instskip(SKIP_1) | instid1(VALU_DEP_2)
	v_dual_sub_f32 v98, v7, v15 :: v_dual_mul_f32 v7, 0x3fb8aa3b, v6
	v_cmp_nlt_f32_e64 s10, 0x42b17218, v97
	v_fma_f32 v16, 0x3fb8aa3b, v6, -v7
	v_rndne_f32_e32 v17, v7
	s_delay_alu instid0(VALU_DEP_1) | instskip(SKIP_3) | instid1(VALU_DEP_3)
	v_dual_fmac_f32 v16, 0x32a5705f, v6 :: v_dual_sub_f32 v7, v7, v17
	v_cvt_i32_f32_e32 v4, v17
	s_wait_alu 0xfffd
	v_cndmask_b32_e32 v17, 0, v2, vcc_lo
	v_add_f32_e32 v7, v7, v16
	s_delay_alu instid0(VALU_DEP_1) | instskip(SKIP_3) | instid1(VALU_DEP_2)
	v_exp_f32_e32 v3, v7
	v_cndmask_b32_e32 v7, 0, v1, vcc_lo
	v_cndmask_b32_e64 v0, 0x7f800000, v0, s2
	v_cvt_f16_f32_e32 v1, v17
	v_cndmask_b32_e32 v51, 0, v0, vcc_lo
	s_delay_alu instid0(TRANS32_DEP_1) | instskip(NEXT) | instid1(VALU_DEP_2)
	v_ldexp_f32 v3, v3, v4
	v_cvt_f16_f32_e32 v0, v51
	s_delay_alu instid0(VALU_DEP_2) | instskip(NEXT) | instid1(VALU_DEP_1)
	v_cndmask_b32_e64 v3, 0, v3, s7
	v_cndmask_b32_e64 v3, 0x7f800000, v3, s8
	s_delay_alu instid0(VALU_DEP_1) | instskip(SKIP_1) | instid1(VALU_DEP_2)
	v_cndmask_b32_e32 v16, 0, v3, vcc_lo
	v_cvt_f16_f32_e32 v3, v7
	v_cvt_f16_f32_e32 v2, v16
	s_delay_alu instid0(VALU_DEP_1) | instskip(NEXT) | instid1(VALU_DEP_3)
	v_pack_b32_f16 v2, v1, v2
	v_pack_b32_f16 v1, v0, v3
	v_sub_f32_e32 v0, v70, v8
	s_delay_alu instid0(VALU_DEP_1) | instskip(SKIP_2) | instid1(VALU_DEP_3)
	v_mul_f32_e32 v3, 0x3fb8aa3b, v0
	v_cmp_ngt_f32_e64 s2, 0xc2ce8ed0, v0
	v_cmp_nlt_f32_e64 s3, 0x42b17218, v0
	v_fma_f32 v4, 0x3fb8aa3b, v0, -v3
	s_delay_alu instid0(VALU_DEP_1) | instskip(SKIP_1) | instid1(VALU_DEP_1)
	v_fmac_f32_e32 v4, 0x32a5705f, v0
	v_rndne_f32_e32 v0, v3
	v_sub_f32_e32 v3, v3, v0
	v_cvt_i32_f32_e32 v0, v0
	s_delay_alu instid0(VALU_DEP_2) | instskip(SKIP_1) | instid1(VALU_DEP_2)
	v_add_f32_e32 v3, v3, v4
	v_sub_f32_e32 v4, v71, v9
	v_exp_f32_e32 v3, v3
	s_delay_alu instid0(VALU_DEP_1) | instskip(SKIP_2) | instid1(VALU_DEP_3)
	v_mul_f32_e32 v5, 0x3fb8aa3b, v4
	v_cmp_ngt_f32_e64 s4, 0xc2ce8ed0, v4
	v_cmp_nlt_f32_e64 s5, 0x42b17218, v4
	v_fma_f32 v6, 0x3fb8aa3b, v4, -v5
	v_rndne_f32_e32 v52, v5
	s_delay_alu instid0(TRANS32_DEP_1) | instskip(NEXT) | instid1(VALU_DEP_3)
	v_ldexp_f32 v0, v3, v0
	v_fmac_f32_e32 v6, 0x32a5705f, v4
	s_delay_alu instid0(VALU_DEP_3) | instskip(SKIP_1) | instid1(VALU_DEP_3)
	v_sub_f32_e32 v5, v5, v52
	s_wait_alu 0xf1ff
	v_cndmask_b32_e64 v0, 0, v0, s2
	s_delay_alu instid0(VALU_DEP_2) | instskip(NEXT) | instid1(VALU_DEP_2)
	v_add_f32_e32 v5, v5, v6
	v_cndmask_b32_e64 v0, 0x7f800000, v0, s3
	s_delay_alu instid0(VALU_DEP_2) | instskip(SKIP_1) | instid1(VALU_DEP_2)
	v_exp_f32_e32 v3, v5
	v_cvt_i32_f32_e32 v5, v52
	v_cndmask_b32_e32 v53, 0, v0, vcc_lo
	s_delay_alu instid0(VALU_DEP_1)
	v_cvt_f16_f32_e32 v0, v53
	s_delay_alu instid0(TRANS32_DEP_1) | instid1(VALU_DEP_3)
	v_ldexp_f32 v3, v3, v5
	s_delay_alu instid0(VALU_DEP_1) | instskip(NEXT) | instid1(VALU_DEP_1)
	v_cndmask_b32_e64 v3, 0, v3, s4
	v_cndmask_b32_e64 v3, 0x7f800000, v3, s5
	s_delay_alu instid0(VALU_DEP_1) | instskip(NEXT) | instid1(VALU_DEP_1)
	v_cndmask_b32_e32 v52, 0, v3, vcc_lo
	v_cvt_f16_f32_e32 v3, v52
	s_delay_alu instid0(VALU_DEP_1) | instskip(SKIP_1) | instid1(VALU_DEP_1)
	v_pack_b32_f16 v0, v0, v3
	v_sub_f32_e32 v3, v84, v14
	v_mul_f32_e32 v4, 0x3fb8aa3b, v3
	v_cmp_ngt_f32_e64 s2, 0xc2ce8ed0, v3
	v_cmp_nlt_f32_e64 s3, 0x42b17218, v3
	s_delay_alu instid0(VALU_DEP_3) | instskip(NEXT) | instid1(VALU_DEP_1)
	v_fma_f32 v5, 0x3fb8aa3b, v3, -v4
	v_fmac_f32_e32 v5, 0x32a5705f, v3
	v_rndne_f32_e32 v3, v4
	s_delay_alu instid0(VALU_DEP_1) | instskip(SKIP_1) | instid1(VALU_DEP_2)
	v_sub_f32_e32 v4, v4, v3
	v_cvt_i32_f32_e32 v3, v3
	v_dual_add_f32 v4, v4, v5 :: v_dual_sub_f32 v5, v78, v15
	v_lshlrev_b32_e32 v78, 10, v48
	s_delay_alu instid0(VALU_DEP_2) | instskip(NEXT) | instid1(VALU_DEP_2)
	v_exp_f32_e32 v4, v4
	v_mul_f32_e32 v6, 0x3fb8aa3b, v5
	v_cmp_ngt_f32_e64 s4, 0xc2ce8ed0, v5
	v_cmp_nlt_f32_e64 s5, 0x42b17218, v5
	s_delay_alu instid0(VALU_DEP_3) | instskip(SKIP_1) | instid1(TRANS32_DEP_1)
	v_fma_f32 v54, 0x3fb8aa3b, v5, -v6
	v_rndne_f32_e32 v58, v6
	v_ldexp_f32 v3, v4, v3
	s_delay_alu instid0(VALU_DEP_3) | instskip(NEXT) | instid1(VALU_DEP_3)
	v_fmac_f32_e32 v54, 0x32a5705f, v5
	v_sub_f32_e32 v6, v6, v58
	s_wait_alu 0xf1ff
	s_delay_alu instid0(VALU_DEP_3) | instskip(NEXT) | instid1(VALU_DEP_2)
	v_cndmask_b32_e64 v3, 0, v3, s2
	v_add_f32_e32 v6, v6, v54
	s_delay_alu instid0(VALU_DEP_2) | instskip(NEXT) | instid1(VALU_DEP_2)
	v_cndmask_b32_e64 v3, 0x7f800000, v3, s3
	v_exp_f32_e32 v4, v6
	v_cvt_i32_f32_e32 v6, v58
	s_delay_alu instid0(VALU_DEP_2) | instskip(NEXT) | instid1(VALU_DEP_1)
	v_cndmask_b32_e32 v58, 0, v3, vcc_lo
	v_cvt_f16_f32_e32 v3, v58
	s_delay_alu instid0(TRANS32_DEP_1) | instid1(VALU_DEP_3)
	v_ldexp_f32 v4, v4, v6
	s_delay_alu instid0(VALU_DEP_1) | instskip(NEXT) | instid1(VALU_DEP_1)
	v_cndmask_b32_e64 v4, 0, v4, s4
	v_cndmask_b32_e64 v4, 0x7f800000, v4, s5
	s_delay_alu instid0(VALU_DEP_1) | instskip(NEXT) | instid1(VALU_DEP_1)
	v_cndmask_b32_e32 v54, 0, v4, vcc_lo
	v_cvt_f16_f32_e32 v4, v54
	s_delay_alu instid0(VALU_DEP_1) | instskip(SKIP_1) | instid1(VALU_DEP_1)
	v_pack_b32_f16 v3, v3, v4
	v_add_nc_u32_e32 v4, 0x6400, v78
	v_lshl_add_u32 v5, v40, 4, v4
	v_lshl_add_u32 v4, v95, 4, v4
	ds_store_b128 v5, v[0:3]
	v_sub_f32_e32 v0, v90, v12
	s_delay_alu instid0(VALU_DEP_1) | instskip(SKIP_2) | instid1(VALU_DEP_3)
	v_mul_f32_e32 v1, 0x3fb8aa3b, v0
	v_cmp_ngt_f32_e32 vcc_lo, 0xc2ce8ed0, v0
	v_cmp_nlt_f32_e64 s2, 0x42b17218, v0
	v_fma_f32 v2, 0x3fb8aa3b, v0, -v1
	s_delay_alu instid0(VALU_DEP_1) | instskip(SKIP_2) | instid1(VALU_DEP_2)
	v_fmac_f32_e32 v2, 0x32a5705f, v0
	v_sub_f32_e32 v0, v91, v13
	v_lshlrev_b32_e32 v91, 2, v49
	v_mul_f32_e32 v3, 0x3fb8aa3b, v0
	v_cmp_ngt_f32_e64 s3, 0xc2ce8ed0, v0
	v_cmp_nlt_f32_e64 s4, 0x42b17218, v0
	s_delay_alu instid0(VALU_DEP_3) | instskip(NEXT) | instid1(VALU_DEP_1)
	v_fma_f32 v5, 0x3fb8aa3b, v0, -v3
	v_dual_fmac_f32 v5, 0x32a5705f, v0 :: v_dual_sub_f32 v0, v83, v14
	s_delay_alu instid0(VALU_DEP_1) | instskip(SKIP_2) | instid1(VALU_DEP_3)
	v_mul_f32_e32 v6, 0x3fb8aa3b, v0
	v_cmp_ngt_f32_e64 s5, 0xc2ce8ed0, v0
	v_cmp_nlt_f32_e64 s6, 0x42b17218, v0
	v_fma_f32 v62, 0x3fb8aa3b, v0, -v6
	s_delay_alu instid0(VALU_DEP_1) | instskip(SKIP_1) | instid1(VALU_DEP_1)
	v_fmac_f32_e32 v62, 0x32a5705f, v0
	v_rndne_f32_e32 v0, v1
	v_sub_f32_e32 v1, v1, v0
	v_cvt_i32_f32_e32 v0, v0
	s_delay_alu instid0(VALU_DEP_2) | instskip(SKIP_1) | instid1(VALU_DEP_2)
	v_add_f32_e32 v1, v1, v2
	v_rndne_f32_e32 v2, v3
	v_exp_f32_e32 v1, v1
	s_delay_alu instid0(VALU_DEP_1) | instskip(SKIP_1) | instid1(VALU_DEP_2)
	v_sub_f32_e32 v3, v3, v2
	v_cvt_i32_f32_e32 v2, v2
	v_add_f32_e32 v3, v3, v5
	s_delay_alu instid0(TRANS32_DEP_1) | instskip(NEXT) | instid1(VALU_DEP_2)
	v_ldexp_f32 v0, v1, v0
	v_exp_f32_e32 v1, v3
	s_delay_alu instid0(TRANS32_DEP_1) | instskip(SKIP_2) | instid1(VALU_DEP_2)
	v_ldexp_f32 v1, v1, v2
	v_sub_f32_e32 v2, v77, v15
	s_wait_alu 0xf1ff
	v_cndmask_b32_e64 v1, 0, v1, s3
	s_delay_alu instid0(VALU_DEP_2) | instskip(SKIP_1) | instid1(VALU_DEP_3)
	v_mul_f32_e32 v3, 0x3fb8aa3b, v2
	v_rndne_f32_e32 v5, v6
	v_cndmask_b32_e64 v1, 0x7f800000, v1, s4
	s_delay_alu instid0(VALU_DEP_3) | instskip(NEXT) | instid1(VALU_DEP_3)
	v_rndne_f32_e32 v65, v3
	v_sub_f32_e32 v6, v6, v5
	v_cvt_i32_f32_e32 v5, v5
	s_delay_alu instid0(VALU_DEP_2) | instskip(SKIP_2) | instid1(VALU_DEP_3)
	v_add_f32_e32 v6, v6, v62
	v_fma_f32 v62, 0x3fb8aa3b, v2, -v3
	v_sub_f32_e32 v3, v3, v65
	v_exp_f32_e32 v6, v6
	s_delay_alu instid0(VALU_DEP_2) | instskip(NEXT) | instid1(VALU_DEP_1)
	v_fmac_f32_e32 v62, 0x32a5705f, v2
	v_add_f32_e32 v3, v3, v62
	v_cmp_ngt_f32_e64 s7, 0xc2ce8ed0, v2
	v_cmp_nlt_f32_e64 s8, 0x42b17218, v2
	s_delay_alu instid0(TRANS32_DEP_1) | instskip(NEXT) | instid1(VALU_DEP_4)
	v_ldexp_f32 v5, v6, v5
	v_exp_f32_e32 v3, v3
	v_cvt_i32_f32_e32 v6, v65
	s_delay_alu instid0(VALU_DEP_2) | instskip(NEXT) | instid1(VALU_DEP_1)
	v_cndmask_b32_e64 v2, 0, v5, s5
	v_cndmask_b32_e64 v2, 0x7f800000, v2, s6
	s_delay_alu instid0(TRANS32_DEP_1) | instid1(VALU_DEP_3)
	v_ldexp_f32 v3, v3, v6
	s_wait_alu 0xfffd
	v_cndmask_b32_e32 v0, 0, v0, vcc_lo
	v_cmp_gt_u32_e32 vcc_lo, s19, v95
	v_lshl_or_b32 v95, v94, 8, v91
	s_wait_alu 0xf1ff
	v_cndmask_b32_e64 v3, 0, v3, s7
	v_cmp_ngt_f32_e64 s7, 0xc2ce8ed0, v88
	s_wait_alu 0xfffd
	v_cndmask_b32_e32 v65, 0, v2, vcc_lo
	v_cndmask_b32_e64 v0, 0x7f800000, v0, s2
	v_cndmask_b32_e32 v71, 0, v1, vcc_lo
	v_cndmask_b32_e64 v3, 0x7f800000, v3, s8
	s_delay_alu instid0(VALU_DEP_4) | instskip(NEXT) | instid1(VALU_DEP_4)
	v_cvt_f16_f32_e32 v1, v65
	v_cndmask_b32_e32 v70, 0, v0, vcc_lo
	s_delay_alu instid0(VALU_DEP_4) | instskip(NEXT) | instid1(VALU_DEP_4)
	v_cvt_f16_f32_e32 v5, v71
	v_cndmask_b32_e32 v62, 0, v3, vcc_lo
	s_delay_alu instid0(VALU_DEP_3) | instskip(NEXT) | instid1(VALU_DEP_2)
	v_cvt_f16_f32_e32 v0, v70
	v_cvt_f16_f32_e32 v2, v62
	s_delay_alu instid0(VALU_DEP_1) | instskip(NEXT) | instid1(VALU_DEP_3)
	v_pack_b32_f16 v3, v1, v2
	v_pack_b32_f16 v2, v0, v5
	v_sub_f32_e32 v0, v76, v10
	s_delay_alu instid0(VALU_DEP_1) | instskip(NEXT) | instid1(VALU_DEP_1)
	v_mul_f32_e32 v1, 0x3fb8aa3b, v0
	v_fma_f32 v5, 0x3fb8aa3b, v0, -v1
	v_rndne_f32_e32 v6, v1
	s_delay_alu instid0(VALU_DEP_2) | instskip(NEXT) | instid1(VALU_DEP_2)
	v_fmac_f32_e32 v5, 0x32a5705f, v0
	v_sub_f32_e32 v1, v1, v6
	v_cvt_i32_f32_e32 v6, v6
	s_delay_alu instid0(VALU_DEP_2) | instskip(SKIP_3) | instid1(VALU_DEP_4)
	v_add_f32_e32 v1, v1, v5
	v_sub_f32_e32 v5, v89, v11
	v_cmp_ngt_f32_e64 s2, 0xc2ce8ed0, v0
	v_cmp_nlt_f32_e64 s3, 0x42b17218, v0
	v_exp_f32_e32 v1, v1
	s_delay_alu instid0(VALU_DEP_3) | instskip(NEXT) | instid1(VALU_DEP_1)
	v_mul_f32_e32 v76, 0x3fb8aa3b, v5
	v_fma_f32 v77, 0x3fb8aa3b, v5, -v76
	v_rndne_f32_e32 v83, v76
	s_delay_alu instid0(TRANS32_DEP_1) | instskip(NEXT) | instid1(VALU_DEP_2)
	v_ldexp_f32 v1, v1, v6
	v_dual_fmac_f32 v77, 0x32a5705f, v5 :: v_dual_sub_f32 v76, v76, v83
	v_cvt_i32_f32_e32 v6, v83
	s_wait_alu 0xf1ff
	s_delay_alu instid0(VALU_DEP_3) | instskip(NEXT) | instid1(VALU_DEP_3)
	v_cndmask_b32_e64 v1, 0, v1, s2
	v_add_f32_e32 v76, v76, v77
	v_cmp_ngt_f32_e64 s4, 0xc2ce8ed0, v5
	v_cmp_nlt_f32_e64 s5, 0x42b17218, v5
	s_delay_alu instid0(VALU_DEP_4) | instskip(NEXT) | instid1(VALU_DEP_4)
	v_cndmask_b32_e64 v1, 0x7f800000, v1, s3
	v_exp_f32_e32 v0, v76
	s_delay_alu instid0(VALU_DEP_1) | instskip(NEXT) | instid1(TRANS32_DEP_1)
	v_cndmask_b32_e32 v77, 0, v1, vcc_lo
	v_ldexp_f32 v0, v0, v6
	s_wait_alu 0xf1ff
	s_delay_alu instid0(VALU_DEP_1) | instskip(NEXT) | instid1(VALU_DEP_1)
	v_cndmask_b32_e64 v0, 0, v0, s4
	v_cndmask_b32_e64 v0, 0x7f800000, v0, s5
	s_delay_alu instid0(VALU_DEP_1) | instskip(SKIP_1) | instid1(VALU_DEP_2)
	v_cndmask_b32_e32 v76, 0, v0, vcc_lo
	v_cvt_f16_f32_e32 v0, v77
	v_cvt_f16_f32_e32 v1, v76
	v_add_f32_e32 v7, v7, v76
	s_delay_alu instid0(VALU_DEP_2) | instskip(SKIP_1) | instid1(VALU_DEP_1)
	v_pack_b32_f16 v1, v0, v1
	v_sub_f32_e32 v0, v96, v8
	v_mul_f32_e32 v5, 0x3fb8aa3b, v0
	v_cmp_ngt_f32_e64 s2, 0xc2ce8ed0, v0
	v_cmp_nlt_f32_e64 s3, 0x42b17218, v0
	s_delay_alu instid0(VALU_DEP_3) | instskip(SKIP_1) | instid1(VALU_DEP_1)
	v_fma_f32 v6, 0x3fb8aa3b, v0, -v5
	v_rndne_f32_e32 v83, v5
	v_dual_fmac_f32 v6, 0x32a5705f, v0 :: v_dual_sub_f32 v5, v5, v83
	v_cvt_i32_f32_e32 v83, v83
	s_delay_alu instid0(VALU_DEP_2) | instskip(SKIP_1) | instid1(VALU_DEP_1)
	v_add_f32_e32 v5, v5, v6
	v_dual_sub_f32 v6, v93, v9 :: v_dual_add_nc_u32 v93, 16, v94
	v_mul_f32_e32 v84, 0x3fb8aa3b, v6
	v_cmp_ngt_f32_e64 s4, 0xc2ce8ed0, v6
	v_cmp_nlt_f32_e64 s5, 0x42b17218, v6
	s_delay_alu instid0(VALU_DEP_3) | instskip(SKIP_1) | instid1(VALU_DEP_2)
	v_fma_f32 v89, 0x3fb8aa3b, v6, -v84
	v_rndne_f32_e32 v90, v84
	v_fmac_f32_e32 v89, 0x32a5705f, v6
	s_delay_alu instid0(VALU_DEP_2) | instskip(NEXT) | instid1(VALU_DEP_1)
	v_sub_f32_e32 v84, v84, v90
	v_add_f32_e32 v84, v84, v89
	v_exp_f32_e32 v5, v5
	s_delay_alu instid0(VALU_DEP_1) | instskip(NEXT) | instid1(TRANS32_DEP_2)
	v_exp_f32_e32 v0, v84
	v_ldexp_f32 v5, v5, v83
	v_cvt_i32_f32_e32 v83, v90
	v_lshl_or_b32 v90, v93, 8, v91
	s_wait_alu 0xf1ff
	s_delay_alu instid0(VALU_DEP_3)
	v_cndmask_b32_e64 v5, 0, v5, s2
	s_delay_alu instid0(TRANS32_DEP_1) | instid1(VALU_DEP_3)
	v_ldexp_f32 v0, v0, v83
	s_delay_alu instid0(VALU_DEP_2) | instskip(NEXT) | instid1(VALU_DEP_2)
	v_cndmask_b32_e64 v5, 0x7f800000, v5, s3
	v_cndmask_b32_e64 v0, 0, v0, s4
	s_wait_alu 0xfffe
	s_mul_u64 s[2:3], s[38:39], s[28:29]
	s_mov_b32 s4, 0
	s_wait_alu 0xfffe
	s_lshl_b64 s[2:3], s[2:3], 2
	v_cndmask_b32_e32 v84, 0, v5, vcc_lo
	v_cndmask_b32_e64 v0, 0x7f800000, v0, s5
	s_wait_alu 0xfffe
	s_add_nc_u64 s[8:9], s[30:31], s[2:3]
	s_mov_b32 s5, s4
	s_mov_b32 s6, s4
	v_cndmask_b32_e32 v83, 0, v0, vcc_lo
	v_cvt_f16_f32_e32 v0, v84
	v_cmp_gt_i32_e32 vcc_lo, s19, v94
	s_delay_alu instid0(VALU_DEP_3) | instskip(NEXT) | instid1(VALU_DEP_1)
	v_cvt_f16_f32_e32 v5, v83
	v_pack_b32_f16 v0, v0, v5
	ds_store_b128 v4, v[0:3]
	v_mul_lo_u32 v3, s28, v94
	s_delay_alu instid0(VALU_DEP_1) | instskip(NEXT) | instid1(VALU_DEP_1)
	v_ashrrev_i32_e32 v4, 31, v3
	v_lshlrev_b64_e32 v[5:6], 2, v[3:4]
	v_lshl_add_u32 v3, s28, 4, v3
	s_wait_alu 0xfffe
	s_delay_alu instid0(VALU_DEP_2) | instskip(SKIP_1) | instid1(VALU_DEP_3)
	v_add_co_u32 v0, s2, s8, v5
	s_wait_alu 0xf1ff
	v_add_co_ci_u32_e64 v1, null, s9, v6, s2
	v_ashrrev_i32_e32 v4, 31, v3
	s_delay_alu instid0(VALU_DEP_3) | instskip(SKIP_1) | instid1(VALU_DEP_3)
	v_add_co_u32 v0, s3, v0, v91
	s_wait_alu 0xf1ff
	v_add_co_ci_u32_e64 v1, null, 0, v1, s3
	s_delay_alu instid0(VALU_DEP_3) | instskip(SKIP_2) | instid1(VALU_DEP_3)
	v_lshlrev_b64_e32 v[3:4], 2, v[3:4]
	s_wait_alu 0xfffd
	v_cndmask_b32_e32 v48, 0, v0, vcc_lo
	v_cndmask_b32_e32 v49, s15, v1, vcc_lo
	v_dual_mov_b32 v0, s4 :: v_dual_mov_b32 v1, s5
	v_mov_b32_e32 v2, s6
	scratch_store_b32 off, v92, off
	v_cmp_gt_i32_e32 vcc_lo, s19, v93
	v_cmp_nlt_f32_e64 s4, 0x42b17218, v86
	v_cmp_ngt_f32_e64 s5, 0xc2ce8ed0, v87
	scratch_store_b96 off, v[0:2], off offset:4
	flat_load_b128 v[101:104], v[48:49]
	v_add_co_u32 v48, s2, s8, v3
	s_wait_alu 0xf1ff
	v_add_co_ci_u32_e64 v49, null, s9, v4, s2
	v_cmp_nlt_f32_e64 s2, 0x42b17218, v85
	s_delay_alu instid0(VALU_DEP_3) | instskip(SKIP_1) | instid1(VALU_DEP_3)
	v_add_co_u32 v48, s3, v48, v91
	s_wait_alu 0xf1ff
	v_add_co_ci_u32_e64 v49, null, 0, v49, s3
	v_cmp_ngt_f32_e64 s3, 0xc2ce8ed0, v86
	s_wait_alu 0xfffd
	v_cndmask_b32_e32 v48, 0, v48, vcc_lo
	v_cmp_nlt_f32_e64 s6, 0x42b17218, v87
	v_cndmask_b32_e32 v49, s15, v49, vcc_lo
	v_cmp_ngt_f32_e32 vcc_lo, 0xc2ce8ed0, v85
	v_cmp_nlt_f32_e64 s8, 0x42b17218, v88
	v_cmp_ngt_f32_e64 s9, 0xc2ce8ed0, v97
	s_wait_loadcnt_dscnt 0x0
	ds_store_b128 v95, v[101:104] offset:16384
	s_clause 0x1
	scratch_store_b32 off, v92, off
	scratch_store_b96 off, v[0:2], off offset:4
	flat_load_b128 v[101:104], v[48:49]
	v_mul_f32_e32 v48, 0x3fb8aa3b, v85
	s_delay_alu instid0(VALU_DEP_1) | instskip(NEXT) | instid1(VALU_DEP_1)
	v_fma_f32 v49, 0x3fb8aa3b, v85, -v48
	v_fmac_f32_e32 v49, 0x32a5705f, v85
	v_fma_f32 v85, 0x3fb8aa3b, v86, -v50
	s_delay_alu instid0(VALU_DEP_1) | instskip(SKIP_1) | instid1(VALU_DEP_1)
	v_fmac_f32_e32 v85, 0x32a5705f, v86
	v_mul_f32_e32 v86, 0x3fb8aa3b, v87
	v_fma_f32 v89, 0x3fb8aa3b, v87, -v86
	s_delay_alu instid0(VALU_DEP_1) | instskip(SKIP_1) | instid1(VALU_DEP_1)
	v_fmac_f32_e32 v89, 0x32a5705f, v87
	v_mul_f32_e32 v87, 0x3fb8aa3b, v88
	;; [unrolled: 4-line block ×5, first 2 shown]
	v_fma_f32 v119, 0x3fb8aa3b, v100, -v99
	s_delay_alu instid0(VALU_DEP_1) | instskip(SKIP_1) | instid1(VALU_DEP_1)
	v_fmac_f32_e32 v119, 0x32a5705f, v100
	v_rndne_f32_e32 v100, v48
	v_sub_f32_e32 v48, v48, v100
	v_cvt_i32_f32_e32 v100, v100
	s_delay_alu instid0(VALU_DEP_2) | instskip(SKIP_1) | instid1(VALU_DEP_2)
	v_add_f32_e32 v48, v48, v49
	v_rndne_f32_e32 v49, v50
	v_exp_f32_e32 v48, v48
	s_delay_alu instid0(VALU_DEP_1) | instskip(SKIP_1) | instid1(VALU_DEP_2)
	v_sub_f32_e32 v50, v50, v49
	v_cvt_i32_f32_e32 v49, v49
	v_add_f32_e32 v50, v50, v85
	v_rndne_f32_e32 v85, v86
	s_delay_alu instid0(TRANS32_DEP_1) | instskip(NEXT) | instid1(VALU_DEP_3)
	v_ldexp_f32 v48, v48, v100
	v_exp_f32_e32 v50, v50
	s_delay_alu instid0(VALU_DEP_2)
	v_sub_f32_e32 v86, v86, v85
	v_cvt_i32_f32_e32 v85, v85
	s_wait_alu 0xfffd
	v_cndmask_b32_e32 v48, 0, v48, vcc_lo
	v_cmp_ngt_f32_e32 vcc_lo, 0xc2ce8ed0, v98
	v_add_f32_e32 v86, v86, v89
	v_rndne_f32_e32 v89, v87
	s_delay_alu instid0(VALU_DEP_4) | instskip(NEXT) | instid1(TRANS32_DEP_1)
	v_cndmask_b32_e64 v48, 0x7f800000, v48, s2
	v_ldexp_f32 v49, v50, v49
	s_delay_alu instid0(VALU_DEP_4) | instskip(NEXT) | instid1(VALU_DEP_3)
	v_exp_f32_e32 v50, v86
	v_sub_f32_e32 v87, v87, v89
	v_cvt_i32_f32_e32 v86, v89
	v_cmp_nlt_f32_e64 s2, 0x42b17218, v98
	s_wait_alu 0xf1ff
	v_cndmask_b32_e64 v49, 0, v49, s3
	v_add_f32_e32 v87, v87, v116
	v_rndne_f32_e32 v116, v88
	s_delay_alu instid0(VALU_DEP_3) | instskip(NEXT) | instid1(TRANS32_DEP_1)
	v_cndmask_b32_e64 v49, 0x7f800000, v49, s4
	v_ldexp_f32 v50, v50, v85
	s_delay_alu instid0(VALU_DEP_4) | instskip(NEXT) | instid1(VALU_DEP_3)
	v_exp_f32_e32 v85, v87
	v_sub_f32_e32 v88, v88, v116
	v_cvt_i32_f32_e32 v87, v116
	s_delay_alu instid0(VALU_DEP_3) | instskip(NEXT) | instid1(VALU_DEP_3)
	v_cndmask_b32_e64 v50, 0, v50, s5
	v_add_f32_e32 v88, v88, v117
	v_rndne_f32_e32 v117, v97
	s_delay_alu instid0(TRANS32_DEP_1) | instskip(NEXT) | instid1(VALU_DEP_3)
	v_ldexp_f32 v86, v85, v86
	v_exp_f32_e32 v85, v88
	s_delay_alu instid0(VALU_DEP_2) | instskip(SKIP_1) | instid1(VALU_DEP_2)
	v_sub_f32_e32 v97, v97, v117
	v_cvt_i32_f32_e32 v88, v117
	v_add_f32_e32 v97, v97, v118
	v_rndne_f32_e32 v118, v99
	s_delay_alu instid0(TRANS32_DEP_1) | instskip(NEXT) | instid1(VALU_DEP_3)
	v_ldexp_f32 v87, v85, v87
	v_exp_f32_e32 v85, v97
	s_delay_alu instid0(VALU_DEP_2) | instskip(SKIP_1) | instid1(VALU_DEP_2)
	v_sub_f32_e32 v99, v99, v118
	v_cvt_i32_f32_e32 v89, v118
	v_add_f32_e32 v99, v99, v119
	s_delay_alu instid0(TRANS32_DEP_1) | instskip(NEXT) | instid1(VALU_DEP_2)
	v_ldexp_f32 v88, v85, v88
	v_exp_f32_e32 v85, v99
	s_delay_alu instid0(TRANS32_DEP_1) | instskip(SKIP_1) | instid1(VALU_DEP_1)
	v_ldexp_f32 v89, v85, v89
	v_cvt_f16_f32_e32 v85, v48
	v_and_b32_e32 v85, 0xffff, v85
	s_delay_alu instid0(VALU_DEP_1) | instskip(NEXT) | instid1(VALU_DEP_1)
	v_mul_u32_u24_e32 v85, 0x10001, v85
	v_pk_mul_f16 v74, v74, v85
	v_pk_mul_f16 v75, v75, v85
	v_cvt_f16_f32_e32 v85, v49
	s_delay_alu instid0(VALU_DEP_1) | instskip(NEXT) | instid1(VALU_DEP_1)
	v_and_b32_e32 v85, 0xffff, v85
	v_mul_u32_u24_e32 v85, 0x10001, v85
	s_delay_alu instid0(VALU_DEP_1) | instskip(SKIP_2) | instid1(VALU_DEP_1)
	v_pk_mul_f16 v72, v72, v85
	v_pk_mul_f16 v73, v73, v85
	v_cndmask_b32_e64 v85, 0x7f800000, v50, s6
	v_cvt_f16_f32_e32 v50, v85
	s_delay_alu instid0(VALU_DEP_1) | instskip(NEXT) | instid1(VALU_DEP_1)
	v_and_b32_e32 v50, 0xffff, v50
	v_mul_u32_u24_e32 v50, 0x10001, v50
	s_delay_alu instid0(VALU_DEP_1) | instskip(SKIP_2) | instid1(VALU_DEP_1)
	v_pk_mul_f16 v97, v69, v50
	v_pk_mul_f16 v99, v68, v50
	v_cndmask_b32_e64 v50, 0, v86, s7
	v_cndmask_b32_e64 v50, 0x7f800000, v50, s8
	s_delay_alu instid0(VALU_DEP_1) | instskip(NEXT) | instid1(VALU_DEP_1)
	v_cvt_f16_f32_e32 v68, v50
	v_dual_fmac_f32 v7, v44, v50 :: v_dual_and_b32 v68, 0xffff, v68
	s_delay_alu instid0(VALU_DEP_1) | instskip(NEXT) | instid1(VALU_DEP_2)
	v_mov_b32_e32 v44, v7
	v_mul_u32_u24_e32 v68, 0x10001, v68
	s_delay_alu instid0(VALU_DEP_1) | instskip(SKIP_2) | instid1(VALU_DEP_2)
	v_pk_mul_f16 v100, v66, v68
	v_cndmask_b32_e64 v66, 0, v87, s9
	v_pk_mul_f16 v116, v67, v68
	v_cndmask_b32_e64 v86, 0x7f800000, v66, s10
	s_delay_alu instid0(VALU_DEP_1) | instskip(NEXT) | instid1(VALU_DEP_1)
	v_cvt_f16_f32_e32 v66, v86
	v_and_b32_e32 v66, 0xffff, v66
	s_delay_alu instid0(VALU_DEP_1) | instskip(NEXT) | instid1(VALU_DEP_1)
	v_mul_u32_u24_e32 v66, 0x10001, v66
	v_pk_mul_f16 v63, v63, v66
	v_pk_mul_f16 v64, v64, v66
	v_cndmask_b32_e64 v66, 0, v88, s11
	s_delay_alu instid0(VALU_DEP_1) | instskip(NEXT) | instid1(VALU_DEP_1)
	v_cndmask_b32_e64 v87, 0x7f800000, v66, s12
	v_cvt_f16_f32_e32 v66, v87
	s_delay_alu instid0(VALU_DEP_1) | instskip(NEXT) | instid1(VALU_DEP_1)
	v_and_b32_e32 v66, 0xffff, v66
	v_mul_u32_u24_e32 v66, 0x10001, v66
	s_delay_alu instid0(VALU_DEP_1) | instskip(SKIP_2) | instid1(VALU_DEP_1)
	v_pk_mul_f16 v60, v60, v66
	v_pk_mul_f16 v61, v61, v66
	v_mul_f32_e32 v66, 0x3fb8aa3b, v98
	v_fma_f32 v67, 0x3fb8aa3b, v98, -v66
	v_rndne_f32_e32 v68, v66
	s_delay_alu instid0(VALU_DEP_1) | instskip(NEXT) | instid1(VALU_DEP_1)
	v_dual_fmac_f32 v67, 0x32a5705f, v98 :: v_dual_sub_f32 v66, v66, v68
	v_add_f32_e32 v66, v66, v67
	v_cndmask_b32_e64 v67, 0, v89, s13
	s_wait_loadcnt_dscnt 0x0
	ds_store_b128 v90, v[101:104] offset:16384
	s_wait_storecnt_dscnt 0x0
	s_barrier_signal -1
	s_barrier_wait -1
	global_inv scope:SCOPE_SE
	ds_load_b128 v[101:104], v78 offset:25600
	v_cndmask_b32_e64 v88, 0x7f800000, v67, s14
	s_delay_alu instid0(VALU_DEP_1) | instskip(NEXT) | instid1(VALU_DEP_1)
	v_cvt_f16_f32_e32 v67, v88
	v_and_b32_e32 v67, 0xffff, v67
	s_delay_alu instid0(VALU_DEP_1)
	v_mul_u32_u24_e32 v67, 0x10001, v67
	s_wait_dscnt 0x0
	v_and_b32_e32 v111, 0xffff, v104
	v_lshrrev_b32_e32 v96, 16, v101
	v_lshrrev_b32_e32 v105, 16, v102
	;; [unrolled: 1-line block ×4, first 2 shown]
	v_and_b32_e32 v108, 0xffff, v101
	v_and_b32_e32 v109, 0xffff, v102
	;; [unrolled: 1-line block ×3, first 2 shown]
	ds_load_b128 v[101:104], v78 offset:25616
	v_pk_mul_f16 v117, v57, v67
	v_exp_f32_e32 v57, v66
	v_cvt_i32_f32_e32 v66, v68
	v_pk_mul_f16 v59, v59, v67
	v_mul_u32_u24_e32 v98, 0x10001, v108
	v_mul_u32_u24_e32 v96, 0x10001, v96
	s_delay_alu instid0(TRANS32_DEP_1) | instid1(VALU_DEP_4)
	v_ldexp_f32 v57, v57, v66
	s_wait_alu 0xfffd
	s_delay_alu instid0(VALU_DEP_1)
	v_cndmask_b32_e32 v57, 0, v57, vcc_lo
	s_wait_dscnt 0x0
	v_lshrrev_b32_e32 v114, 16, v103
	v_and_b32_e32 v103, 0xffff, v103
	v_lshrrev_b32_e32 v113, 16, v102
	v_and_b32_e32 v102, 0xffff, v102
	;; [unrolled: 2-line block ×3, first 2 shown]
	v_cndmask_b32_e64 v89, 0x7f800000, v57, s2
	v_lshrrev_b32_e32 v112, 16, v101
	v_and_b32_e32 v101, 0xffff, v101
	s_or_b32 s2, s38, 32
	s_delay_alu instid0(VALU_DEP_3)
	v_cvt_f16_f32_e32 v57, v89
	s_wait_alu 0xfffe
	s_ashr_i32 s3, s2, 31
	s_wait_alu 0xfffe
	s_mul_u64 s[2:3], s[2:3], s[28:29]
	v_and_b32_e32 v57, 0xffff, v57
	s_wait_alu 0xfffe
	s_lshl_b64 s[2:3], s[2:3], 2
	s_wait_alu 0xfffe
	s_add_nc_u64 s[4:5], s[30:31], s[2:3]
	s_sub_co_i32 s3, s19, 32
	v_mul_u32_u24_e32 v57, 0x10001, v57
	s_wait_alu 0xfffe
	v_add_co_u32 v5, vcc_lo, s4, v5
	s_wait_alu 0xfffd
	v_add_co_ci_u32_e64 v6, null, s5, v6, vcc_lo
	v_pk_mul_f16 v56, v56, v57
	v_pk_mul_f16 v55, v55, v57
	v_add_nc_u32_e32 v57, 0x4000, v21
	v_add_co_u32 v5, s2, v5, v91
	v_cmp_gt_i32_e32 vcc_lo, s3, v94
	s_wait_alu 0xf1ff
	v_add_co_ci_u32_e64 v6, null, 0, v6, s2
	ds_load_2addr_b64 v[66:69], v57 offset1:32
	s_wait_alu 0xfffd
	v_cndmask_b32_e32 v5, 0, v5, vcc_lo
	v_cndmask_b32_e32 v6, s15, v6, vcc_lo
	s_wait_dscnt 0x0
	v_pk_fma_f16 v74, v66, v98, v74
	v_pk_fma_f16 v75, v67, v98, v75
	;; [unrolled: 1-line block ×4, first 2 shown]
	v_mul_u32_u24_e32 v96, 0x10001, v109
	v_mul_u32_u24_e32 v98, 0x10001, v105
	s_delay_alu instid0(VALU_DEP_2) | instskip(SKIP_1) | instid1(VALU_DEP_3)
	v_pk_fma_f16 v97, v66, v96, v97
	v_pk_fma_f16 v96, v67, v96, v99
	;; [unrolled: 1-line block ×3, first 2 shown]
	v_mul_u32_u24_e32 v100, 0x10001, v110
	v_pk_fma_f16 v98, v67, v98, v116
	s_delay_alu instid0(VALU_DEP_2) | instskip(SKIP_2) | instid1(VALU_DEP_1)
	v_pk_fma_f16 v63, v66, v100, v63
	v_pk_fma_f16 v64, v67, v100, v64
	v_mul_u32_u24_e32 v100, 0x10001, v106
	v_pk_fma_f16 v60, v66, v100, v60
	v_pk_fma_f16 v61, v67, v100, v61
	v_mul_u32_u24_e32 v100, 0x10001, v111
	s_delay_alu instid0(VALU_DEP_1) | instskip(SKIP_2) | instid1(VALU_DEP_1)
	v_pk_fma_f16 v105, v66, v100, v117
	v_pk_fma_f16 v59, v67, v100, v59
	v_mul_u32_u24_e32 v100, 0x10001, v107
	v_pk_fma_f16 v56, v66, v100, v56
	v_mul_u32_u24_e32 v66, 0x10001, v101
	v_pk_fma_f16 v55, v67, v100, v55
	s_delay_alu instid0(VALU_DEP_2) | instskip(SKIP_2) | instid1(VALU_DEP_1)
	v_pk_fma_f16 v74, v68, v66, v74
	v_pk_fma_f16 v75, v69, v66, v75
	v_mul_u32_u24_e32 v66, 0x10001, v112
	v_pk_fma_f16 v72, v68, v66, v72
	v_pk_fma_f16 v73, v69, v66, v73
	v_mul_u32_u24_e32 v66, 0x10001, v102
	s_delay_alu instid0(VALU_DEP_1) | instskip(SKIP_2) | instid1(VALU_DEP_1)
	v_pk_fma_f16 v97, v68, v66, v97
	v_pk_fma_f16 v96, v69, v66, v96
	v_mul_u32_u24_e32 v66, 0x10001, v113
	v_pk_fma_f16 v99, v68, v66, v99
	v_pk_fma_f16 v98, v69, v66, v98
	v_mul_u32_u24_e32 v66, 0x10001, v103
	s_delay_alu instid0(VALU_DEP_1) | instskip(SKIP_2) | instid1(VALU_DEP_1)
	;; [unrolled: 7-line block ×3, first 2 shown]
	v_pk_fma_f16 v100, v68, v66, v105
	v_pk_fma_f16 v59, v69, v66, v59
	v_mul_u32_u24_e32 v66, 0x10001, v115
	v_pk_fma_f16 v56, v68, v66, v56
	v_pk_fma_f16 v55, v69, v66, v55
	ds_load_b128 v[66:69], v78 offset:25632
	s_wait_dscnt 0x0
	v_lshrrev_b32_e32 v101, 16, v66
	v_lshrrev_b32_e32 v102, 16, v67
	;; [unrolled: 1-line block ×4, first 2 shown]
	v_and_b32_e32 v105, 0xffff, v66
	v_and_b32_e32 v106, 0xffff, v67
	v_and_b32_e32 v107, 0xffff, v68
	v_and_b32_e32 v108, 0xffff, v69
	ds_load_b128 v[66:69], v78 offset:25648
	v_mul_u32_u24_e32 v101, 0x10001, v101
	v_mul_u32_u24_e32 v105, 0x10001, v105
	s_wait_dscnt 0x0
	v_lshrrev_b32_e32 v109, 16, v66
	v_lshrrev_b32_e32 v110, 16, v67
	;; [unrolled: 1-line block ×4, first 2 shown]
	v_and_b32_e32 v113, 0xffff, v66
	v_and_b32_e32 v114, 0xffff, v67
	;; [unrolled: 1-line block ×4, first 2 shown]
	ds_load_2addr_b64 v[66:69], v57 offset0:64 offset1:96
	s_wait_dscnt 0x0
	v_pk_fma_f16 v72, v66, v101, v72
	v_pk_fma_f16 v73, v67, v101, v73
	v_mul_u32_u24_e32 v101, 0x10001, v106
	v_pk_fma_f16 v74, v66, v105, v74
	v_pk_fma_f16 v75, v67, v105, v75
	s_delay_alu instid0(VALU_DEP_3) | instskip(SKIP_2) | instid1(VALU_DEP_1)
	v_pk_fma_f16 v97, v66, v101, v97
	v_pk_fma_f16 v96, v67, v101, v96
	v_mul_u32_u24_e32 v101, 0x10001, v102
	v_pk_fma_f16 v99, v66, v101, v99
	v_pk_fma_f16 v98, v67, v101, v98
	v_mul_u32_u24_e32 v101, 0x10001, v107
	s_delay_alu instid0(VALU_DEP_1) | instskip(SKIP_2) | instid1(VALU_DEP_1)
	v_pk_fma_f16 v63, v66, v101, v63
	v_pk_fma_f16 v64, v67, v101, v64
	v_mul_u32_u24_e32 v101, 0x10001, v103
	v_pk_fma_f16 v60, v66, v101, v60
	v_pk_fma_f16 v61, v67, v101, v61
	v_mul_u32_u24_e32 v101, 0x10001, v108
	s_delay_alu instid0(VALU_DEP_1) | instskip(SKIP_2) | instid1(VALU_DEP_1)
	v_pk_fma_f16 v100, v66, v101, v100
	v_pk_fma_f16 v59, v67, v101, v59
	v_mul_u32_u24_e32 v101, 0x10001, v104
	v_pk_fma_f16 v56, v66, v101, v56
	v_mul_u32_u24_e32 v66, 0x10001, v113
	v_pk_fma_f16 v55, v67, v101, v55
	s_delay_alu instid0(VALU_DEP_2) | instskip(SKIP_2) | instid1(VALU_DEP_1)
	v_pk_fma_f16 v74, v68, v66, v74
	v_pk_fma_f16 v75, v69, v66, v75
	v_mul_u32_u24_e32 v66, 0x10001, v109
	v_pk_fma_f16 v72, v68, v66, v72
	v_pk_fma_f16 v73, v69, v66, v73
	v_mul_u32_u24_e32 v66, 0x10001, v114
	s_delay_alu instid0(VALU_DEP_1) | instskip(SKIP_2) | instid1(VALU_DEP_1)
	v_pk_fma_f16 v97, v68, v66, v97
	v_pk_fma_f16 v96, v69, v66, v96
	v_mul_u32_u24_e32 v66, 0x10001, v110
	v_pk_fma_f16 v99, v68, v66, v99
	v_pk_fma_f16 v98, v69, v66, v98
	v_mul_u32_u24_e32 v66, 0x10001, v115
	s_delay_alu instid0(VALU_DEP_1) | instskip(SKIP_2) | instid1(VALU_DEP_1)
	;; [unrolled: 7-line block ×3, first 2 shown]
	v_pk_fma_f16 v100, v68, v66, v100
	v_pk_fma_f16 v59, v69, v66, v59
	v_mul_u32_u24_e32 v66, 0x10001, v112
	v_pk_fma_f16 v56, v68, v66, v56
	v_pk_fma_f16 v55, v69, v66, v55
	ds_load_b128 v[66:69], v78 offset:25664
	s_wait_dscnt 0x0
	v_lshrrev_b32_e32 v101, 16, v66
	v_lshrrev_b32_e32 v102, 16, v67
	;; [unrolled: 1-line block ×4, first 2 shown]
	v_and_b32_e32 v105, 0xffff, v66
	v_and_b32_e32 v106, 0xffff, v67
	;; [unrolled: 1-line block ×4, first 2 shown]
	ds_load_b128 v[66:69], v78 offset:25680
	v_mul_u32_u24_e32 v101, 0x10001, v101
	v_mul_u32_u24_e32 v105, 0x10001, v105
	s_wait_dscnt 0x0
	v_lshrrev_b32_e32 v109, 16, v66
	v_lshrrev_b32_e32 v110, 16, v67
	;; [unrolled: 1-line block ×4, first 2 shown]
	v_and_b32_e32 v113, 0xffff, v66
	v_and_b32_e32 v114, 0xffff, v67
	;; [unrolled: 1-line block ×4, first 2 shown]
	ds_load_2addr_b64 v[66:69], v57 offset0:128 offset1:160
	s_wait_dscnt 0x0
	v_pk_fma_f16 v72, v66, v101, v72
	v_pk_fma_f16 v73, v67, v101, v73
	v_mul_u32_u24_e32 v101, 0x10001, v106
	v_pk_fma_f16 v74, v66, v105, v74
	v_pk_fma_f16 v75, v67, v105, v75
	s_delay_alu instid0(VALU_DEP_3) | instskip(SKIP_2) | instid1(VALU_DEP_1)
	v_pk_fma_f16 v97, v66, v101, v97
	v_pk_fma_f16 v96, v67, v101, v96
	v_mul_u32_u24_e32 v101, 0x10001, v102
	v_pk_fma_f16 v99, v66, v101, v99
	v_pk_fma_f16 v98, v67, v101, v98
	v_mul_u32_u24_e32 v101, 0x10001, v107
	s_delay_alu instid0(VALU_DEP_1) | instskip(SKIP_2) | instid1(VALU_DEP_1)
	v_pk_fma_f16 v63, v66, v101, v63
	v_pk_fma_f16 v64, v67, v101, v64
	v_mul_u32_u24_e32 v101, 0x10001, v103
	v_pk_fma_f16 v60, v66, v101, v60
	v_pk_fma_f16 v61, v67, v101, v61
	v_mul_u32_u24_e32 v101, 0x10001, v108
	s_delay_alu instid0(VALU_DEP_1) | instskip(SKIP_2) | instid1(VALU_DEP_1)
	v_pk_fma_f16 v100, v66, v101, v100
	v_pk_fma_f16 v59, v67, v101, v59
	v_mul_u32_u24_e32 v101, 0x10001, v104
	v_pk_fma_f16 v56, v66, v101, v56
	v_mul_u32_u24_e32 v66, 0x10001, v113
	v_pk_fma_f16 v55, v67, v101, v55
	s_delay_alu instid0(VALU_DEP_2) | instskip(SKIP_2) | instid1(VALU_DEP_1)
	v_pk_fma_f16 v74, v68, v66, v74
	v_pk_fma_f16 v75, v69, v66, v75
	v_mul_u32_u24_e32 v66, 0x10001, v109
	v_pk_fma_f16 v72, v68, v66, v72
	v_pk_fma_f16 v73, v69, v66, v73
	v_mul_u32_u24_e32 v66, 0x10001, v114
	s_delay_alu instid0(VALU_DEP_1) | instskip(SKIP_2) | instid1(VALU_DEP_1)
	v_pk_fma_f16 v97, v68, v66, v97
	v_pk_fma_f16 v96, v69, v66, v96
	v_mul_u32_u24_e32 v66, 0x10001, v110
	v_pk_fma_f16 v99, v68, v66, v99
	v_pk_fma_f16 v98, v69, v66, v98
	v_mul_u32_u24_e32 v66, 0x10001, v115
	s_delay_alu instid0(VALU_DEP_1) | instskip(SKIP_2) | instid1(VALU_DEP_1)
	;; [unrolled: 7-line block ×3, first 2 shown]
	v_pk_fma_f16 v100, v68, v66, v100
	v_pk_fma_f16 v59, v69, v66, v59
	v_mul_u32_u24_e32 v66, 0x10001, v112
	v_pk_fma_f16 v56, v68, v66, v56
	v_pk_fma_f16 v55, v69, v66, v55
	ds_load_b128 v[66:69], v78 offset:25696
	s_wait_dscnt 0x0
	v_lshrrev_b32_e32 v101, 16, v66
	v_lshrrev_b32_e32 v102, 16, v67
	;; [unrolled: 1-line block ×4, first 2 shown]
	v_and_b32_e32 v105, 0xffff, v66
	v_and_b32_e32 v106, 0xffff, v67
	;; [unrolled: 1-line block ×4, first 2 shown]
	ds_load_b128 v[66:69], v78 offset:25712
	v_mul_u32_u24_e32 v101, 0x10001, v101
	v_mul_u32_u24_e32 v105, 0x10001, v105
	s_wait_dscnt 0x0
	v_lshrrev_b32_e32 v109, 16, v66
	v_lshrrev_b32_e32 v110, 16, v67
	;; [unrolled: 1-line block ×4, first 2 shown]
	v_and_b32_e32 v113, 0xffff, v66
	v_and_b32_e32 v114, 0xffff, v67
	;; [unrolled: 1-line block ×4, first 2 shown]
	ds_load_2addr_b64 v[66:69], v57 offset0:192 offset1:224
	s_wait_dscnt 0x0
	v_pk_fma_f16 v72, v66, v101, v72
	v_pk_fma_f16 v73, v67, v101, v73
	v_mul_u32_u24_e32 v101, 0x10001, v106
	v_pk_fma_f16 v74, v66, v105, v74
	v_pk_fma_f16 v75, v67, v105, v75
	s_delay_alu instid0(VALU_DEP_3) | instskip(SKIP_2) | instid1(VALU_DEP_1)
	v_pk_fma_f16 v97, v66, v101, v97
	v_pk_fma_f16 v96, v67, v101, v96
	v_mul_u32_u24_e32 v101, 0x10001, v102
	v_pk_fma_f16 v99, v66, v101, v99
	v_pk_fma_f16 v98, v67, v101, v98
	v_mul_u32_u24_e32 v101, 0x10001, v107
	s_delay_alu instid0(VALU_DEP_1) | instskip(SKIP_2) | instid1(VALU_DEP_1)
	v_pk_fma_f16 v63, v66, v101, v63
	v_pk_fma_f16 v64, v67, v101, v64
	v_mul_u32_u24_e32 v101, 0x10001, v103
	v_pk_fma_f16 v60, v66, v101, v60
	v_pk_fma_f16 v61, v67, v101, v61
	v_mul_u32_u24_e32 v101, 0x10001, v108
	s_delay_alu instid0(VALU_DEP_1) | instskip(SKIP_2) | instid1(VALU_DEP_1)
	v_pk_fma_f16 v100, v66, v101, v100
	v_pk_fma_f16 v59, v67, v101, v59
	v_mul_u32_u24_e32 v101, 0x10001, v104
	v_pk_fma_f16 v56, v66, v101, v56
	v_mul_u32_u24_e32 v66, 0x10001, v113
	v_pk_fma_f16 v55, v67, v101, v55
	s_delay_alu instid0(VALU_DEP_2) | instskip(SKIP_2) | instid1(VALU_DEP_1)
	v_pk_fma_f16 v74, v68, v66, v74
	v_pk_fma_f16 v75, v69, v66, v75
	v_mul_u32_u24_e32 v66, 0x10001, v109
	v_pk_fma_f16 v72, v68, v66, v72
	v_pk_fma_f16 v73, v69, v66, v73
	v_mul_u32_u24_e32 v66, 0x10001, v114
	s_delay_alu instid0(VALU_DEP_1) | instskip(SKIP_2) | instid1(VALU_DEP_1)
	v_pk_fma_f16 v97, v68, v66, v97
	v_pk_fma_f16 v96, v69, v66, v96
	v_mul_u32_u24_e32 v66, 0x10001, v110
	v_pk_fma_f16 v99, v68, v66, v99
	v_pk_fma_f16 v98, v69, v66, v98
	v_mul_u32_u24_e32 v66, 0x10001, v115
	s_delay_alu instid0(VALU_DEP_1) | instskip(SKIP_2) | instid1(VALU_DEP_1)
	;; [unrolled: 7-line block ×3, first 2 shown]
	v_pk_fma_f16 v100, v68, v66, v100
	v_pk_fma_f16 v59, v69, v66, v59
	v_mul_u32_u24_e32 v66, 0x10001, v112
	v_pk_fma_f16 v101, v68, v66, v56
	v_pk_fma_f16 v55, v69, v66, v55
	ds_load_b128 v[66:69], v78 offset:25728
	s_wait_dscnt 0x0
	v_lshrrev_b32_e32 v102, 16, v66
	v_lshrrev_b32_e32 v103, 16, v67
	;; [unrolled: 1-line block ×4, first 2 shown]
	v_and_b32_e32 v56, 0xffff, v66
	v_and_b32_e32 v106, 0xffff, v67
	;; [unrolled: 1-line block ×4, first 2 shown]
	ds_load_b128 v[66:69], v78 offset:25744
	v_mul_u32_u24_e32 v117, 0x10001, v56
	v_add_nc_u32_e32 v56, 0x4800, v21
	v_mul_u32_u24_e32 v102, 0x10001, v102
	s_wait_dscnt 0x0
	v_lshrrev_b32_e32 v109, 16, v66
	v_lshrrev_b32_e32 v110, 16, v67
	;; [unrolled: 1-line block ×4, first 2 shown]
	v_and_b32_e32 v113, 0xffff, v66
	v_and_b32_e32 v114, 0xffff, v67
	;; [unrolled: 1-line block ×4, first 2 shown]
	ds_load_2addr_b64 v[66:69], v56 offset1:32
	s_wait_dscnt 0x0
	v_pk_fma_f16 v72, v66, v102, v72
	v_pk_fma_f16 v73, v67, v102, v73
	v_mul_u32_u24_e32 v102, 0x10001, v106
	v_pk_fma_f16 v74, v66, v117, v74
	v_pk_fma_f16 v75, v67, v117, v75
	s_delay_alu instid0(VALU_DEP_3) | instskip(SKIP_2) | instid1(VALU_DEP_1)
	v_pk_fma_f16 v97, v66, v102, v97
	v_pk_fma_f16 v96, v67, v102, v96
	v_mul_u32_u24_e32 v102, 0x10001, v103
	v_pk_fma_f16 v99, v66, v102, v99
	v_pk_fma_f16 v98, v67, v102, v98
	v_mul_u32_u24_e32 v102, 0x10001, v107
	s_delay_alu instid0(VALU_DEP_1) | instskip(SKIP_2) | instid1(VALU_DEP_1)
	v_pk_fma_f16 v63, v66, v102, v63
	v_pk_fma_f16 v64, v67, v102, v64
	v_mul_u32_u24_e32 v102, 0x10001, v104
	v_pk_fma_f16 v60, v66, v102, v60
	v_pk_fma_f16 v61, v67, v102, v61
	v_mul_u32_u24_e32 v102, 0x10001, v108
	s_delay_alu instid0(VALU_DEP_1) | instskip(SKIP_2) | instid1(VALU_DEP_1)
	v_pk_fma_f16 v100, v66, v102, v100
	v_pk_fma_f16 v59, v67, v102, v59
	v_mul_u32_u24_e32 v102, 0x10001, v105
	v_pk_fma_f16 v55, v67, v102, v55
	v_mul_u32_u24_e32 v67, 0x10001, v113
	v_pk_fma_f16 v66, v66, v102, v101
	s_delay_alu instid0(VALU_DEP_2) | instskip(SKIP_2) | instid1(VALU_DEP_1)
	v_pk_fma_f16 v74, v68, v67, v74
	v_pk_fma_f16 v75, v69, v67, v75
	v_mul_u32_u24_e32 v67, 0x10001, v109
	v_pk_fma_f16 v72, v68, v67, v72
	v_pk_fma_f16 v73, v69, v67, v73
	v_mul_u32_u24_e32 v67, 0x10001, v114
	s_delay_alu instid0(VALU_DEP_1) | instskip(SKIP_2) | instid1(VALU_DEP_1)
	v_pk_fma_f16 v97, v68, v67, v97
	v_pk_fma_f16 v96, v69, v67, v96
	v_mul_u32_u24_e32 v67, 0x10001, v110
	v_pk_fma_f16 v99, v68, v67, v99
	v_pk_fma_f16 v98, v69, v67, v98
	v_mul_u32_u24_e32 v67, 0x10001, v115
	s_delay_alu instid0(VALU_DEP_1) | instskip(SKIP_2) | instid1(VALU_DEP_1)
	;; [unrolled: 7-line block ×3, first 2 shown]
	v_pk_fma_f16 v100, v68, v67, v100
	v_pk_fma_f16 v59, v69, v67, v59
	v_mul_u32_u24_e32 v67, 0x10001, v112
	v_pk_fma_f16 v101, v68, v67, v66
	v_pk_fma_f16 v55, v69, v67, v55
	ds_load_b128 v[66:69], v78 offset:25760
	s_wait_dscnt 0x0
	v_lshrrev_b32_e32 v102, 16, v66
	v_lshrrev_b32_e32 v103, 16, v67
	;; [unrolled: 1-line block ×4, first 2 shown]
	v_and_b32_e32 v106, 0xffff, v66
	v_and_b32_e32 v107, 0xffff, v67
	;; [unrolled: 1-line block ×4, first 2 shown]
	ds_load_b128 v[66:69], v78 offset:25776
	v_mul_u32_u24_e32 v102, 0x10001, v102
	v_mul_u32_u24_e32 v106, 0x10001, v106
	s_wait_dscnt 0x0
	v_lshrrev_b32_e32 v110, 16, v66
	v_lshrrev_b32_e32 v111, 16, v67
	;; [unrolled: 1-line block ×4, first 2 shown]
	v_and_b32_e32 v114, 0xffff, v66
	v_and_b32_e32 v115, 0xffff, v67
	;; [unrolled: 1-line block ×4, first 2 shown]
	ds_load_2addr_b64 v[66:69], v56 offset0:64 offset1:96
	s_wait_dscnt 0x0
	v_pk_fma_f16 v72, v66, v102, v72
	v_pk_fma_f16 v73, v67, v102, v73
	v_mul_u32_u24_e32 v102, 0x10001, v107
	v_pk_fma_f16 v74, v66, v106, v74
	v_pk_fma_f16 v75, v67, v106, v75
	s_delay_alu instid0(VALU_DEP_3) | instskip(SKIP_2) | instid1(VALU_DEP_1)
	v_pk_fma_f16 v97, v66, v102, v97
	v_pk_fma_f16 v96, v67, v102, v96
	v_mul_u32_u24_e32 v102, 0x10001, v103
	v_pk_fma_f16 v99, v66, v102, v99
	v_pk_fma_f16 v98, v67, v102, v98
	v_mul_u32_u24_e32 v102, 0x10001, v108
	s_delay_alu instid0(VALU_DEP_1) | instskip(SKIP_2) | instid1(VALU_DEP_1)
	v_pk_fma_f16 v63, v66, v102, v63
	v_pk_fma_f16 v64, v67, v102, v64
	v_mul_u32_u24_e32 v102, 0x10001, v104
	v_pk_fma_f16 v60, v66, v102, v60
	v_pk_fma_f16 v61, v67, v102, v61
	v_mul_u32_u24_e32 v102, 0x10001, v109
	s_delay_alu instid0(VALU_DEP_1) | instskip(SKIP_2) | instid1(VALU_DEP_1)
	v_pk_fma_f16 v100, v66, v102, v100
	v_pk_fma_f16 v59, v67, v102, v59
	v_mul_u32_u24_e32 v102, 0x10001, v105
	v_pk_fma_f16 v55, v67, v102, v55
	v_mul_u32_u24_e32 v67, 0x10001, v114
	v_pk_fma_f16 v66, v66, v102, v101
	s_delay_alu instid0(VALU_DEP_2) | instskip(SKIP_2) | instid1(VALU_DEP_1)
	v_pk_fma_f16 v74, v68, v67, v74
	v_pk_fma_f16 v75, v69, v67, v75
	v_mul_u32_u24_e32 v67, 0x10001, v110
	v_pk_fma_f16 v72, v68, v67, v72
	v_pk_fma_f16 v73, v69, v67, v73
	v_mul_u32_u24_e32 v67, 0x10001, v115
	s_delay_alu instid0(VALU_DEP_1) | instskip(SKIP_2) | instid1(VALU_DEP_1)
	v_pk_fma_f16 v97, v68, v67, v97
	v_pk_fma_f16 v96, v69, v67, v96
	v_mul_u32_u24_e32 v67, 0x10001, v111
	v_pk_fma_f16 v99, v68, v67, v99
	v_pk_fma_f16 v98, v69, v67, v98
	v_mul_u32_u24_e32 v67, 0x10001, v116
	s_delay_alu instid0(VALU_DEP_1) | instskip(SKIP_2) | instid1(VALU_DEP_1)
	;; [unrolled: 7-line block ×3, first 2 shown]
	v_pk_fma_f16 v100, v68, v67, v100
	v_pk_fma_f16 v59, v69, v67, v59
	v_mul_u32_u24_e32 v67, 0x10001, v113
	v_pk_fma_f16 v101, v68, v67, v66
	v_pk_fma_f16 v55, v69, v67, v55
	ds_load_b128 v[66:69], v78 offset:25792
	s_wait_dscnt 0x0
	v_lshrrev_b32_e32 v102, 16, v66
	v_lshrrev_b32_e32 v103, 16, v67
	;; [unrolled: 1-line block ×4, first 2 shown]
	v_and_b32_e32 v106, 0xffff, v66
	v_and_b32_e32 v107, 0xffff, v67
	;; [unrolled: 1-line block ×4, first 2 shown]
	ds_load_b128 v[66:69], v78 offset:25808
	v_mul_u32_u24_e32 v102, 0x10001, v102
	v_mul_u32_u24_e32 v106, 0x10001, v106
	s_wait_dscnt 0x0
	v_lshrrev_b32_e32 v110, 16, v66
	v_lshrrev_b32_e32 v111, 16, v67
	;; [unrolled: 1-line block ×4, first 2 shown]
	v_and_b32_e32 v114, 0xffff, v66
	v_and_b32_e32 v115, 0xffff, v67
	;; [unrolled: 1-line block ×4, first 2 shown]
	ds_load_2addr_b64 v[66:69], v56 offset0:128 offset1:160
	s_wait_dscnt 0x0
	v_pk_fma_f16 v72, v66, v102, v72
	v_pk_fma_f16 v73, v67, v102, v73
	v_mul_u32_u24_e32 v102, 0x10001, v107
	v_pk_fma_f16 v74, v66, v106, v74
	v_pk_fma_f16 v75, v67, v106, v75
	s_delay_alu instid0(VALU_DEP_3) | instskip(SKIP_2) | instid1(VALU_DEP_1)
	v_pk_fma_f16 v97, v66, v102, v97
	v_pk_fma_f16 v96, v67, v102, v96
	v_mul_u32_u24_e32 v102, 0x10001, v103
	v_pk_fma_f16 v99, v66, v102, v99
	v_pk_fma_f16 v98, v67, v102, v98
	v_mul_u32_u24_e32 v102, 0x10001, v108
	s_delay_alu instid0(VALU_DEP_1) | instskip(SKIP_2) | instid1(VALU_DEP_1)
	v_pk_fma_f16 v63, v66, v102, v63
	v_pk_fma_f16 v64, v67, v102, v64
	v_mul_u32_u24_e32 v102, 0x10001, v104
	v_pk_fma_f16 v60, v66, v102, v60
	v_pk_fma_f16 v61, v67, v102, v61
	v_mul_u32_u24_e32 v102, 0x10001, v109
	s_delay_alu instid0(VALU_DEP_1) | instskip(SKIP_2) | instid1(VALU_DEP_1)
	v_pk_fma_f16 v100, v66, v102, v100
	v_pk_fma_f16 v59, v67, v102, v59
	v_mul_u32_u24_e32 v102, 0x10001, v105
	v_pk_fma_f16 v55, v67, v102, v55
	v_mul_u32_u24_e32 v67, 0x10001, v114
	v_pk_fma_f16 v66, v66, v102, v101
	s_delay_alu instid0(VALU_DEP_2) | instskip(SKIP_2) | instid1(VALU_DEP_1)
	v_pk_fma_f16 v74, v68, v67, v74
	v_pk_fma_f16 v75, v69, v67, v75
	v_mul_u32_u24_e32 v67, 0x10001, v110
	v_pk_fma_f16 v72, v68, v67, v72
	v_pk_fma_f16 v73, v69, v67, v73
	v_mul_u32_u24_e32 v67, 0x10001, v115
	s_delay_alu instid0(VALU_DEP_1) | instskip(SKIP_2) | instid1(VALU_DEP_1)
	v_pk_fma_f16 v97, v68, v67, v97
	v_pk_fma_f16 v96, v69, v67, v96
	v_mul_u32_u24_e32 v67, 0x10001, v111
	v_pk_fma_f16 v99, v68, v67, v99
	v_pk_fma_f16 v98, v69, v67, v98
	v_mul_u32_u24_e32 v67, 0x10001, v116
	s_delay_alu instid0(VALU_DEP_1) | instskip(SKIP_2) | instid1(VALU_DEP_1)
	;; [unrolled: 7-line block ×3, first 2 shown]
	v_pk_fma_f16 v100, v68, v67, v100
	v_pk_fma_f16 v59, v69, v67, v59
	v_mul_u32_u24_e32 v67, 0x10001, v113
	v_pk_fma_f16 v101, v68, v67, v66
	v_pk_fma_f16 v55, v69, v67, v55
	ds_load_b128 v[66:69], v78 offset:25824
	s_wait_dscnt 0x0
	v_lshrrev_b32_e32 v102, 16, v66
	v_lshrrev_b32_e32 v103, 16, v67
	;; [unrolled: 1-line block ×4, first 2 shown]
	v_and_b32_e32 v106, 0xffff, v66
	v_and_b32_e32 v107, 0xffff, v67
	;; [unrolled: 1-line block ×4, first 2 shown]
	ds_load_b128 v[66:69], v78 offset:25840
	v_mul_u32_u24_e32 v102, 0x10001, v102
	v_mul_u32_u24_e32 v106, 0x10001, v106
	s_wait_dscnt 0x0
	v_lshrrev_b32_e32 v110, 16, v66
	v_lshrrev_b32_e32 v111, 16, v67
	;; [unrolled: 1-line block ×4, first 2 shown]
	v_and_b32_e32 v114, 0xffff, v66
	v_and_b32_e32 v115, 0xffff, v67
	;; [unrolled: 1-line block ×4, first 2 shown]
	ds_load_2addr_b64 v[66:69], v56 offset0:192 offset1:224
	s_wait_dscnt 0x0
	v_pk_fma_f16 v72, v66, v102, v72
	v_pk_fma_f16 v73, v67, v102, v73
	v_mul_u32_u24_e32 v102, 0x10001, v107
	v_pk_fma_f16 v74, v66, v106, v74
	v_pk_fma_f16 v75, v67, v106, v75
	s_delay_alu instid0(VALU_DEP_3) | instskip(SKIP_2) | instid1(VALU_DEP_1)
	v_pk_fma_f16 v97, v66, v102, v97
	v_pk_fma_f16 v96, v67, v102, v96
	v_mul_u32_u24_e32 v102, 0x10001, v103
	v_pk_fma_f16 v99, v66, v102, v99
	v_pk_fma_f16 v98, v67, v102, v98
	v_mul_u32_u24_e32 v102, 0x10001, v108
	s_delay_alu instid0(VALU_DEP_1) | instskip(SKIP_2) | instid1(VALU_DEP_1)
	v_pk_fma_f16 v63, v66, v102, v63
	v_pk_fma_f16 v64, v67, v102, v64
	v_mul_u32_u24_e32 v102, 0x10001, v104
	v_pk_fma_f16 v60, v66, v102, v60
	v_pk_fma_f16 v61, v67, v102, v61
	v_mul_u32_u24_e32 v102, 0x10001, v109
	s_delay_alu instid0(VALU_DEP_1) | instskip(SKIP_2) | instid1(VALU_DEP_1)
	v_pk_fma_f16 v100, v66, v102, v100
	v_pk_fma_f16 v59, v67, v102, v59
	v_mul_u32_u24_e32 v102, 0x10001, v105
	v_pk_fma_f16 v55, v67, v102, v55
	v_mul_u32_u24_e32 v67, 0x10001, v114
	v_pk_fma_f16 v66, v66, v102, v101
	s_delay_alu instid0(VALU_DEP_2) | instskip(SKIP_2) | instid1(VALU_DEP_1)
	v_pk_fma_f16 v74, v68, v67, v74
	v_pk_fma_f16 v75, v69, v67, v75
	v_mul_u32_u24_e32 v67, 0x10001, v110
	v_pk_fma_f16 v72, v68, v67, v72
	v_pk_fma_f16 v73, v69, v67, v73
	v_mul_u32_u24_e32 v67, 0x10001, v115
	s_delay_alu instid0(VALU_DEP_1) | instskip(SKIP_2) | instid1(VALU_DEP_1)
	v_pk_fma_f16 v97, v68, v67, v97
	v_pk_fma_f16 v96, v69, v67, v96
	v_mul_u32_u24_e32 v67, 0x10001, v111
	v_pk_fma_f16 v99, v68, v67, v99
	v_pk_fma_f16 v98, v69, v67, v98
	v_mul_u32_u24_e32 v67, 0x10001, v116
	s_delay_alu instid0(VALU_DEP_1) | instskip(SKIP_2) | instid1(VALU_DEP_1)
	;; [unrolled: 7-line block ×3, first 2 shown]
	v_pk_fma_f16 v100, v68, v67, v100
	v_pk_fma_f16 v59, v69, v67, v59
	v_mul_u32_u24_e32 v67, 0x10001, v113
	v_pk_fma_f16 v101, v68, v67, v66
	v_pk_fma_f16 v102, v69, v67, v55
	ds_load_b128 v[66:69], v78 offset:25856
	s_wait_dscnt 0x0
	v_lshrrev_b32_e32 v103, 16, v66
	v_lshrrev_b32_e32 v104, 16, v67
	;; [unrolled: 1-line block ×4, first 2 shown]
	v_and_b32_e32 v55, 0xffff, v66
	v_and_b32_e32 v107, 0xffff, v67
	;; [unrolled: 1-line block ×4, first 2 shown]
	ds_load_b128 v[66:69], v78 offset:25872
	v_mul_u32_u24_e32 v118, 0x10001, v55
	v_add_nc_u32_e32 v55, 0x5000, v21
	v_mul_u32_u24_e32 v103, 0x10001, v103
	v_add_nc_u32_e32 v21, 0x5800, v21
	s_wait_dscnt 0x0
	v_lshrrev_b32_e32 v110, 16, v66
	v_lshrrev_b32_e32 v111, 16, v67
	;; [unrolled: 1-line block ×4, first 2 shown]
	v_and_b32_e32 v114, 0xffff, v66
	v_and_b32_e32 v115, 0xffff, v67
	;; [unrolled: 1-line block ×4, first 2 shown]
	ds_load_2addr_b64 v[66:69], v55 offset1:32
	s_wait_dscnt 0x0
	v_pk_fma_f16 v72, v66, v103, v72
	v_pk_fma_f16 v73, v67, v103, v73
	v_mul_u32_u24_e32 v103, 0x10001, v107
	v_pk_fma_f16 v74, v66, v118, v74
	v_pk_fma_f16 v75, v67, v118, v75
	s_delay_alu instid0(VALU_DEP_3) | instskip(SKIP_2) | instid1(VALU_DEP_1)
	v_pk_fma_f16 v97, v66, v103, v97
	v_pk_fma_f16 v96, v67, v103, v96
	v_mul_u32_u24_e32 v103, 0x10001, v104
	v_pk_fma_f16 v99, v66, v103, v99
	v_pk_fma_f16 v98, v67, v103, v98
	v_mul_u32_u24_e32 v103, 0x10001, v108
	s_delay_alu instid0(VALU_DEP_1) | instskip(SKIP_2) | instid1(VALU_DEP_1)
	v_pk_fma_f16 v63, v66, v103, v63
	v_pk_fma_f16 v64, v67, v103, v64
	v_mul_u32_u24_e32 v103, 0x10001, v105
	v_pk_fma_f16 v60, v66, v103, v60
	v_pk_fma_f16 v61, v67, v103, v61
	v_mul_u32_u24_e32 v103, 0x10001, v109
	s_delay_alu instid0(VALU_DEP_1) | instskip(SKIP_2) | instid1(VALU_DEP_1)
	v_pk_fma_f16 v100, v66, v103, v100
	v_pk_fma_f16 v59, v67, v103, v59
	v_mul_u32_u24_e32 v103, 0x10001, v106
	v_pk_fma_f16 v66, v66, v103, v101
	v_mul_u32_u24_e32 v101, 0x10001, v114
	v_pk_fma_f16 v67, v67, v103, v102
	s_delay_alu instid0(VALU_DEP_2) | instskip(SKIP_2) | instid1(VALU_DEP_1)
	v_pk_fma_f16 v74, v68, v101, v74
	v_pk_fma_f16 v75, v69, v101, v75
	v_mul_u32_u24_e32 v101, 0x10001, v110
	v_pk_fma_f16 v72, v68, v101, v72
	v_pk_fma_f16 v73, v69, v101, v73
	v_mul_u32_u24_e32 v101, 0x10001, v115
	s_delay_alu instid0(VALU_DEP_1) | instskip(SKIP_2) | instid1(VALU_DEP_1)
	v_pk_fma_f16 v97, v68, v101, v97
	v_pk_fma_f16 v96, v69, v101, v96
	v_mul_u32_u24_e32 v101, 0x10001, v111
	v_pk_fma_f16 v99, v68, v101, v99
	v_pk_fma_f16 v98, v69, v101, v98
	v_mul_u32_u24_e32 v101, 0x10001, v116
	s_delay_alu instid0(VALU_DEP_1) | instskip(SKIP_2) | instid1(VALU_DEP_1)
	;; [unrolled: 7-line block ×3, first 2 shown]
	v_pk_fma_f16 v100, v68, v101, v100
	v_pk_fma_f16 v59, v69, v101, v59
	v_mul_u32_u24_e32 v101, 0x10001, v113
	v_pk_fma_f16 v102, v68, v101, v66
	v_pk_fma_f16 v101, v69, v101, v67
	ds_load_b128 v[66:69], v78 offset:25888
	s_wait_dscnt 0x0
	v_lshrrev_b32_e32 v103, 16, v66
	v_lshrrev_b32_e32 v104, 16, v67
	;; [unrolled: 1-line block ×4, first 2 shown]
	v_and_b32_e32 v107, 0xffff, v66
	v_and_b32_e32 v108, 0xffff, v67
	;; [unrolled: 1-line block ×4, first 2 shown]
	ds_load_b128 v[66:69], v78 offset:25904
	v_mul_u32_u24_e32 v103, 0x10001, v103
	v_mul_u32_u24_e32 v107, 0x10001, v107
	s_wait_dscnt 0x0
	v_lshrrev_b32_e32 v111, 16, v66
	v_lshrrev_b32_e32 v112, 16, v67
	;; [unrolled: 1-line block ×4, first 2 shown]
	v_and_b32_e32 v115, 0xffff, v66
	v_and_b32_e32 v116, 0xffff, v67
	;; [unrolled: 1-line block ×4, first 2 shown]
	ds_load_2addr_b64 v[66:69], v55 offset0:64 offset1:96
	s_wait_dscnt 0x0
	v_pk_fma_f16 v72, v66, v103, v72
	v_pk_fma_f16 v73, v67, v103, v73
	v_mul_u32_u24_e32 v103, 0x10001, v108
	v_pk_fma_f16 v74, v66, v107, v74
	v_pk_fma_f16 v75, v67, v107, v75
	s_delay_alu instid0(VALU_DEP_3) | instskip(SKIP_2) | instid1(VALU_DEP_1)
	v_pk_fma_f16 v97, v66, v103, v97
	v_pk_fma_f16 v96, v67, v103, v96
	v_mul_u32_u24_e32 v103, 0x10001, v104
	v_pk_fma_f16 v99, v66, v103, v99
	v_pk_fma_f16 v98, v67, v103, v98
	v_mul_u32_u24_e32 v103, 0x10001, v109
	s_delay_alu instid0(VALU_DEP_1) | instskip(SKIP_2) | instid1(VALU_DEP_1)
	v_pk_fma_f16 v63, v66, v103, v63
	v_pk_fma_f16 v64, v67, v103, v64
	v_mul_u32_u24_e32 v103, 0x10001, v105
	v_pk_fma_f16 v60, v66, v103, v60
	v_pk_fma_f16 v61, v67, v103, v61
	v_mul_u32_u24_e32 v103, 0x10001, v110
	s_delay_alu instid0(VALU_DEP_1) | instskip(SKIP_2) | instid1(VALU_DEP_1)
	v_pk_fma_f16 v100, v66, v103, v100
	v_pk_fma_f16 v59, v67, v103, v59
	v_mul_u32_u24_e32 v103, 0x10001, v106
	v_pk_fma_f16 v67, v67, v103, v101
	v_mul_u32_u24_e32 v101, 0x10001, v115
	v_pk_fma_f16 v66, v66, v103, v102
	s_delay_alu instid0(VALU_DEP_2) | instskip(SKIP_2) | instid1(VALU_DEP_1)
	v_pk_fma_f16 v74, v68, v101, v74
	v_pk_fma_f16 v75, v69, v101, v75
	v_mul_u32_u24_e32 v101, 0x10001, v111
	v_pk_fma_f16 v72, v68, v101, v72
	v_pk_fma_f16 v73, v69, v101, v73
	v_mul_u32_u24_e32 v101, 0x10001, v116
	s_delay_alu instid0(VALU_DEP_1) | instskip(SKIP_2) | instid1(VALU_DEP_1)
	v_pk_fma_f16 v97, v68, v101, v97
	v_pk_fma_f16 v96, v69, v101, v96
	v_mul_u32_u24_e32 v101, 0x10001, v112
	v_pk_fma_f16 v99, v68, v101, v99
	v_pk_fma_f16 v98, v69, v101, v98
	v_mul_u32_u24_e32 v101, 0x10001, v117
	s_delay_alu instid0(VALU_DEP_1) | instskip(SKIP_2) | instid1(VALU_DEP_1)
	;; [unrolled: 7-line block ×3, first 2 shown]
	v_pk_fma_f16 v100, v68, v101, v100
	v_pk_fma_f16 v59, v69, v101, v59
	v_mul_u32_u24_e32 v101, 0x10001, v114
	v_pk_fma_f16 v102, v68, v101, v66
	v_pk_fma_f16 v101, v69, v101, v67
	ds_load_b128 v[66:69], v78 offset:25920
	s_wait_dscnt 0x0
	v_lshrrev_b32_e32 v103, 16, v66
	v_lshrrev_b32_e32 v104, 16, v67
	;; [unrolled: 1-line block ×4, first 2 shown]
	v_and_b32_e32 v107, 0xffff, v66
	v_and_b32_e32 v108, 0xffff, v67
	;; [unrolled: 1-line block ×4, first 2 shown]
	ds_load_b128 v[66:69], v78 offset:25936
	v_mul_u32_u24_e32 v103, 0x10001, v103
	v_mul_u32_u24_e32 v107, 0x10001, v107
	s_wait_dscnt 0x0
	v_lshrrev_b32_e32 v111, 16, v66
	v_lshrrev_b32_e32 v112, 16, v67
	;; [unrolled: 1-line block ×4, first 2 shown]
	v_and_b32_e32 v115, 0xffff, v66
	v_and_b32_e32 v116, 0xffff, v67
	;; [unrolled: 1-line block ×4, first 2 shown]
	ds_load_2addr_b64 v[66:69], v55 offset0:128 offset1:160
	s_wait_dscnt 0x0
	v_pk_fma_f16 v72, v66, v103, v72
	v_pk_fma_f16 v73, v67, v103, v73
	v_mul_u32_u24_e32 v103, 0x10001, v108
	v_pk_fma_f16 v74, v66, v107, v74
	v_pk_fma_f16 v75, v67, v107, v75
	s_delay_alu instid0(VALU_DEP_3) | instskip(SKIP_2) | instid1(VALU_DEP_1)
	v_pk_fma_f16 v97, v66, v103, v97
	v_pk_fma_f16 v96, v67, v103, v96
	v_mul_u32_u24_e32 v103, 0x10001, v104
	v_pk_fma_f16 v99, v66, v103, v99
	v_pk_fma_f16 v98, v67, v103, v98
	v_mul_u32_u24_e32 v103, 0x10001, v109
	s_delay_alu instid0(VALU_DEP_1) | instskip(SKIP_2) | instid1(VALU_DEP_1)
	v_pk_fma_f16 v63, v66, v103, v63
	v_pk_fma_f16 v64, v67, v103, v64
	v_mul_u32_u24_e32 v103, 0x10001, v105
	v_pk_fma_f16 v60, v66, v103, v60
	v_pk_fma_f16 v61, v67, v103, v61
	v_mul_u32_u24_e32 v103, 0x10001, v110
	s_delay_alu instid0(VALU_DEP_1) | instskip(SKIP_2) | instid1(VALU_DEP_1)
	v_pk_fma_f16 v100, v66, v103, v100
	v_pk_fma_f16 v59, v67, v103, v59
	v_mul_u32_u24_e32 v103, 0x10001, v106
	v_pk_fma_f16 v67, v67, v103, v101
	v_mul_u32_u24_e32 v101, 0x10001, v115
	v_pk_fma_f16 v66, v66, v103, v102
	s_delay_alu instid0(VALU_DEP_2) | instskip(SKIP_2) | instid1(VALU_DEP_1)
	v_pk_fma_f16 v74, v68, v101, v74
	v_pk_fma_f16 v75, v69, v101, v75
	v_mul_u32_u24_e32 v101, 0x10001, v111
	v_pk_fma_f16 v72, v68, v101, v72
	v_pk_fma_f16 v73, v69, v101, v73
	v_mul_u32_u24_e32 v101, 0x10001, v116
	s_delay_alu instid0(VALU_DEP_1) | instskip(SKIP_2) | instid1(VALU_DEP_1)
	v_pk_fma_f16 v97, v68, v101, v97
	v_pk_fma_f16 v96, v69, v101, v96
	v_mul_u32_u24_e32 v101, 0x10001, v112
	v_pk_fma_f16 v99, v68, v101, v99
	v_pk_fma_f16 v98, v69, v101, v98
	v_mul_u32_u24_e32 v101, 0x10001, v117
	s_delay_alu instid0(VALU_DEP_1) | instskip(SKIP_2) | instid1(VALU_DEP_1)
	;; [unrolled: 7-line block ×3, first 2 shown]
	v_pk_fma_f16 v100, v68, v101, v100
	v_pk_fma_f16 v59, v69, v101, v59
	v_mul_u32_u24_e32 v101, 0x10001, v114
	v_pk_fma_f16 v102, v68, v101, v66
	v_pk_fma_f16 v101, v69, v101, v67
	ds_load_b128 v[66:69], v78 offset:25952
	s_wait_dscnt 0x0
	v_lshrrev_b32_e32 v103, 16, v66
	v_lshrrev_b32_e32 v104, 16, v67
	v_lshrrev_b32_e32 v105, 16, v68
	v_lshrrev_b32_e32 v106, 16, v69
	v_and_b32_e32 v107, 0xffff, v66
	v_and_b32_e32 v108, 0xffff, v67
	v_and_b32_e32 v109, 0xffff, v68
	v_and_b32_e32 v110, 0xffff, v69
	ds_load_b128 v[66:69], v78 offset:25968
	v_mul_u32_u24_e32 v103, 0x10001, v103
	v_mul_u32_u24_e32 v107, 0x10001, v107
	s_wait_dscnt 0x0
	v_lshrrev_b32_e32 v111, 16, v66
	v_lshrrev_b32_e32 v112, 16, v67
	v_lshrrev_b32_e32 v113, 16, v68
	v_lshrrev_b32_e32 v114, 16, v69
	v_and_b32_e32 v115, 0xffff, v66
	v_and_b32_e32 v116, 0xffff, v67
	;; [unrolled: 1-line block ×4, first 2 shown]
	ds_load_2addr_b64 v[66:69], v55 offset0:192 offset1:224
	s_wait_dscnt 0x0
	v_pk_fma_f16 v72, v66, v103, v72
	v_pk_fma_f16 v73, v67, v103, v73
	v_mul_u32_u24_e32 v103, 0x10001, v108
	v_pk_fma_f16 v74, v66, v107, v74
	v_pk_fma_f16 v75, v67, v107, v75
	s_delay_alu instid0(VALU_DEP_3) | instskip(SKIP_2) | instid1(VALU_DEP_1)
	v_pk_fma_f16 v97, v66, v103, v97
	v_pk_fma_f16 v96, v67, v103, v96
	v_mul_u32_u24_e32 v103, 0x10001, v104
	v_pk_fma_f16 v99, v66, v103, v99
	v_pk_fma_f16 v98, v67, v103, v98
	v_mul_u32_u24_e32 v103, 0x10001, v109
	s_delay_alu instid0(VALU_DEP_1) | instskip(SKIP_2) | instid1(VALU_DEP_1)
	v_pk_fma_f16 v63, v66, v103, v63
	v_pk_fma_f16 v64, v67, v103, v64
	v_mul_u32_u24_e32 v103, 0x10001, v105
	v_pk_fma_f16 v60, v66, v103, v60
	v_pk_fma_f16 v61, v67, v103, v61
	v_mul_u32_u24_e32 v103, 0x10001, v110
	s_delay_alu instid0(VALU_DEP_1) | instskip(SKIP_2) | instid1(VALU_DEP_1)
	v_pk_fma_f16 v100, v66, v103, v100
	v_pk_fma_f16 v59, v67, v103, v59
	v_mul_u32_u24_e32 v103, 0x10001, v106
	v_pk_fma_f16 v67, v67, v103, v101
	v_mul_u32_u24_e32 v101, 0x10001, v115
	v_pk_fma_f16 v66, v66, v103, v102
	s_delay_alu instid0(VALU_DEP_2) | instskip(SKIP_2) | instid1(VALU_DEP_1)
	v_pk_fma_f16 v74, v68, v101, v74
	v_pk_fma_f16 v75, v69, v101, v75
	v_mul_u32_u24_e32 v101, 0x10001, v111
	v_pk_fma_f16 v72, v68, v101, v72
	v_pk_fma_f16 v73, v69, v101, v73
	v_mul_u32_u24_e32 v101, 0x10001, v116
	s_delay_alu instid0(VALU_DEP_1) | instskip(SKIP_2) | instid1(VALU_DEP_1)
	v_pk_fma_f16 v97, v68, v101, v97
	v_pk_fma_f16 v96, v69, v101, v96
	v_mul_u32_u24_e32 v101, 0x10001, v112
	v_pk_fma_f16 v99, v68, v101, v99
	v_pk_fma_f16 v98, v69, v101, v98
	v_mul_u32_u24_e32 v101, 0x10001, v117
	s_delay_alu instid0(VALU_DEP_1) | instskip(SKIP_2) | instid1(VALU_DEP_1)
	;; [unrolled: 7-line block ×3, first 2 shown]
	v_pk_fma_f16 v100, v68, v101, v100
	v_pk_fma_f16 v59, v69, v101, v59
	v_mul_u32_u24_e32 v101, 0x10001, v114
	v_pk_fma_f16 v102, v68, v101, v66
	v_pk_fma_f16 v101, v69, v101, v67
	ds_load_b128 v[66:69], v78 offset:25984
	s_wait_dscnt 0x0
	v_lshrrev_b32_e32 v103, 16, v66
	v_lshrrev_b32_e32 v104, 16, v67
	;; [unrolled: 1-line block ×4, first 2 shown]
	v_and_b32_e32 v107, 0xffff, v66
	v_and_b32_e32 v108, 0xffff, v67
	;; [unrolled: 1-line block ×4, first 2 shown]
	ds_load_b128 v[66:69], v78 offset:26000
	v_mul_u32_u24_e32 v103, 0x10001, v103
	v_mul_u32_u24_e32 v107, 0x10001, v107
	s_wait_dscnt 0x0
	v_lshrrev_b32_e32 v111, 16, v66
	v_lshrrev_b32_e32 v112, 16, v67
	;; [unrolled: 1-line block ×4, first 2 shown]
	v_and_b32_e32 v115, 0xffff, v66
	v_and_b32_e32 v116, 0xffff, v67
	;; [unrolled: 1-line block ×4, first 2 shown]
	ds_load_2addr_b64 v[66:69], v21 offset1:32
	s_wait_dscnt 0x0
	v_pk_fma_f16 v72, v66, v103, v72
	v_pk_fma_f16 v73, v67, v103, v73
	v_mul_u32_u24_e32 v103, 0x10001, v108
	v_pk_fma_f16 v74, v66, v107, v74
	v_pk_fma_f16 v75, v67, v107, v75
	s_delay_alu instid0(VALU_DEP_3) | instskip(SKIP_2) | instid1(VALU_DEP_1)
	v_pk_fma_f16 v97, v66, v103, v97
	v_pk_fma_f16 v96, v67, v103, v96
	v_mul_u32_u24_e32 v103, 0x10001, v104
	v_pk_fma_f16 v99, v66, v103, v99
	v_pk_fma_f16 v98, v67, v103, v98
	v_mul_u32_u24_e32 v103, 0x10001, v109
	s_delay_alu instid0(VALU_DEP_1) | instskip(SKIP_2) | instid1(VALU_DEP_1)
	v_pk_fma_f16 v63, v66, v103, v63
	v_pk_fma_f16 v64, v67, v103, v64
	v_mul_u32_u24_e32 v103, 0x10001, v105
	v_pk_fma_f16 v60, v66, v103, v60
	v_pk_fma_f16 v61, v67, v103, v61
	v_mul_u32_u24_e32 v103, 0x10001, v110
	s_delay_alu instid0(VALU_DEP_1) | instskip(SKIP_2) | instid1(VALU_DEP_1)
	v_pk_fma_f16 v100, v66, v103, v100
	v_pk_fma_f16 v59, v67, v103, v59
	v_mul_u32_u24_e32 v103, 0x10001, v106
	v_pk_fma_f16 v67, v67, v103, v101
	v_mul_u32_u24_e32 v101, 0x10001, v115
	v_pk_fma_f16 v66, v66, v103, v102
	s_delay_alu instid0(VALU_DEP_2) | instskip(SKIP_2) | instid1(VALU_DEP_1)
	v_pk_fma_f16 v74, v68, v101, v74
	v_pk_fma_f16 v75, v69, v101, v75
	v_mul_u32_u24_e32 v101, 0x10001, v111
	v_pk_fma_f16 v72, v68, v101, v72
	v_pk_fma_f16 v73, v69, v101, v73
	v_mul_u32_u24_e32 v101, 0x10001, v116
	s_delay_alu instid0(VALU_DEP_1) | instskip(SKIP_2) | instid1(VALU_DEP_1)
	v_pk_fma_f16 v97, v68, v101, v97
	v_pk_fma_f16 v96, v69, v101, v96
	v_mul_u32_u24_e32 v101, 0x10001, v112
	v_pk_fma_f16 v99, v68, v101, v99
	v_pk_fma_f16 v98, v69, v101, v98
	v_mul_u32_u24_e32 v101, 0x10001, v117
	s_delay_alu instid0(VALU_DEP_1) | instskip(SKIP_2) | instid1(VALU_DEP_1)
	;; [unrolled: 7-line block ×3, first 2 shown]
	v_pk_fma_f16 v100, v68, v101, v100
	v_pk_fma_f16 v59, v69, v101, v59
	v_mul_u32_u24_e32 v101, 0x10001, v114
	v_pk_fma_f16 v102, v68, v101, v66
	v_pk_fma_f16 v101, v69, v101, v67
	ds_load_b128 v[66:69], v78 offset:26016
	s_wait_dscnt 0x0
	v_lshrrev_b32_e32 v103, 16, v66
	v_lshrrev_b32_e32 v104, 16, v67
	;; [unrolled: 1-line block ×4, first 2 shown]
	v_and_b32_e32 v107, 0xffff, v66
	v_and_b32_e32 v108, 0xffff, v67
	;; [unrolled: 1-line block ×4, first 2 shown]
	ds_load_b128 v[66:69], v78 offset:26032
	v_mul_u32_u24_e32 v103, 0x10001, v103
	v_mul_u32_u24_e32 v107, 0x10001, v107
	s_wait_dscnt 0x0
	v_lshrrev_b32_e32 v111, 16, v66
	v_lshrrev_b32_e32 v112, 16, v67
	v_lshrrev_b32_e32 v113, 16, v68
	v_lshrrev_b32_e32 v114, 16, v69
	v_and_b32_e32 v115, 0xffff, v66
	v_and_b32_e32 v116, 0xffff, v67
	;; [unrolled: 1-line block ×4, first 2 shown]
	ds_load_2addr_b64 v[66:69], v21 offset0:64 offset1:96
	s_wait_dscnt 0x0
	v_pk_fma_f16 v72, v66, v103, v72
	v_pk_fma_f16 v73, v67, v103, v73
	v_mul_u32_u24_e32 v103, 0x10001, v108
	v_pk_fma_f16 v74, v66, v107, v74
	v_pk_fma_f16 v75, v67, v107, v75
	s_delay_alu instid0(VALU_DEP_3) | instskip(SKIP_2) | instid1(VALU_DEP_1)
	v_pk_fma_f16 v97, v66, v103, v97
	v_pk_fma_f16 v96, v67, v103, v96
	v_mul_u32_u24_e32 v103, 0x10001, v104
	v_pk_fma_f16 v99, v66, v103, v99
	v_pk_fma_f16 v98, v67, v103, v98
	v_mul_u32_u24_e32 v103, 0x10001, v109
	s_delay_alu instid0(VALU_DEP_1) | instskip(SKIP_2) | instid1(VALU_DEP_1)
	v_pk_fma_f16 v63, v66, v103, v63
	v_pk_fma_f16 v64, v67, v103, v64
	v_mul_u32_u24_e32 v103, 0x10001, v105
	v_pk_fma_f16 v60, v66, v103, v60
	v_pk_fma_f16 v61, v67, v103, v61
	v_mul_u32_u24_e32 v103, 0x10001, v110
	s_delay_alu instid0(VALU_DEP_1) | instskip(SKIP_2) | instid1(VALU_DEP_1)
	v_pk_fma_f16 v100, v66, v103, v100
	v_pk_fma_f16 v59, v67, v103, v59
	v_mul_u32_u24_e32 v103, 0x10001, v106
	v_pk_fma_f16 v67, v67, v103, v101
	v_mul_u32_u24_e32 v101, 0x10001, v115
	v_pk_fma_f16 v66, v66, v103, v102
	s_delay_alu instid0(VALU_DEP_2) | instskip(SKIP_2) | instid1(VALU_DEP_1)
	v_pk_fma_f16 v74, v68, v101, v74
	v_pk_fma_f16 v75, v69, v101, v75
	v_mul_u32_u24_e32 v101, 0x10001, v111
	v_pk_fma_f16 v72, v68, v101, v72
	v_pk_fma_f16 v73, v69, v101, v73
	v_mul_u32_u24_e32 v101, 0x10001, v116
	s_delay_alu instid0(VALU_DEP_1) | instskip(SKIP_2) | instid1(VALU_DEP_1)
	v_pk_fma_f16 v97, v68, v101, v97
	v_pk_fma_f16 v96, v69, v101, v96
	v_mul_u32_u24_e32 v101, 0x10001, v112
	v_pk_fma_f16 v99, v68, v101, v99
	v_pk_fma_f16 v98, v69, v101, v98
	v_mul_u32_u24_e32 v101, 0x10001, v117
	s_delay_alu instid0(VALU_DEP_1) | instskip(SKIP_2) | instid1(VALU_DEP_1)
	;; [unrolled: 7-line block ×3, first 2 shown]
	v_pk_fma_f16 v100, v68, v101, v100
	v_pk_fma_f16 v59, v69, v101, v59
	v_mul_u32_u24_e32 v101, 0x10001, v114
	v_pk_fma_f16 v102, v68, v101, v66
	v_pk_fma_f16 v101, v69, v101, v67
	ds_load_b128 v[66:69], v78 offset:26048
	s_wait_dscnt 0x0
	v_lshrrev_b32_e32 v103, 16, v66
	v_lshrrev_b32_e32 v104, 16, v67
	;; [unrolled: 1-line block ×4, first 2 shown]
	v_and_b32_e32 v107, 0xffff, v66
	v_and_b32_e32 v108, 0xffff, v67
	v_and_b32_e32 v109, 0xffff, v68
	v_and_b32_e32 v110, 0xffff, v69
	ds_load_b128 v[66:69], v78 offset:26064
	v_mul_u32_u24_e32 v103, 0x10001, v103
	v_mul_u32_u24_e32 v107, 0x10001, v107
	s_wait_dscnt 0x0
	v_lshrrev_b32_e32 v111, 16, v66
	v_lshrrev_b32_e32 v112, 16, v67
	;; [unrolled: 1-line block ×4, first 2 shown]
	v_and_b32_e32 v115, 0xffff, v66
	v_and_b32_e32 v116, 0xffff, v67
	;; [unrolled: 1-line block ×4, first 2 shown]
	ds_load_2addr_b64 v[66:69], v21 offset0:128 offset1:160
	s_wait_dscnt 0x0
	v_pk_fma_f16 v72, v66, v103, v72
	v_pk_fma_f16 v73, v67, v103, v73
	v_mul_u32_u24_e32 v103, 0x10001, v108
	v_pk_fma_f16 v74, v66, v107, v74
	v_pk_fma_f16 v75, v67, v107, v75
	s_delay_alu instid0(VALU_DEP_3) | instskip(SKIP_2) | instid1(VALU_DEP_1)
	v_pk_fma_f16 v97, v66, v103, v97
	v_pk_fma_f16 v96, v67, v103, v96
	v_mul_u32_u24_e32 v103, 0x10001, v104
	v_pk_fma_f16 v99, v66, v103, v99
	v_pk_fma_f16 v98, v67, v103, v98
	v_mul_u32_u24_e32 v103, 0x10001, v109
	s_delay_alu instid0(VALU_DEP_1) | instskip(SKIP_2) | instid1(VALU_DEP_1)
	v_pk_fma_f16 v63, v66, v103, v63
	v_pk_fma_f16 v64, v67, v103, v64
	v_mul_u32_u24_e32 v103, 0x10001, v105
	v_pk_fma_f16 v60, v66, v103, v60
	v_pk_fma_f16 v61, v67, v103, v61
	v_mul_u32_u24_e32 v103, 0x10001, v110
	s_delay_alu instid0(VALU_DEP_1) | instskip(SKIP_2) | instid1(VALU_DEP_1)
	v_pk_fma_f16 v100, v66, v103, v100
	v_pk_fma_f16 v59, v67, v103, v59
	v_mul_u32_u24_e32 v103, 0x10001, v106
	v_pk_fma_f16 v67, v67, v103, v101
	v_mul_u32_u24_e32 v101, 0x10001, v115
	v_pk_fma_f16 v66, v66, v103, v102
	s_delay_alu instid0(VALU_DEP_2) | instskip(SKIP_2) | instid1(VALU_DEP_1)
	v_pk_fma_f16 v74, v68, v101, v74
	v_pk_fma_f16 v75, v69, v101, v75
	v_mul_u32_u24_e32 v101, 0x10001, v111
	v_pk_fma_f16 v72, v68, v101, v72
	v_pk_fma_f16 v73, v69, v101, v73
	v_mul_u32_u24_e32 v101, 0x10001, v116
	s_delay_alu instid0(VALU_DEP_1) | instskip(SKIP_2) | instid1(VALU_DEP_1)
	v_pk_fma_f16 v102, v68, v101, v97
	v_pk_fma_f16 v101, v69, v101, v96
	v_mul_u32_u24_e32 v96, 0x10001, v112
	v_pk_fma_f16 v103, v68, v96, v99
	v_pk_fma_f16 v104, v69, v96, v98
	v_mul_u32_u24_e32 v96, 0x10001, v117
	s_delay_alu instid0(VALU_DEP_1) | instskip(SKIP_2) | instid1(VALU_DEP_1)
	;; [unrolled: 7-line block ×3, first 2 shown]
	v_pk_fma_f16 v100, v68, v96, v100
	v_pk_fma_f16 v59, v69, v96, v59
	v_mul_u32_u24_e32 v96, 0x10001, v114
	v_pk_fma_f16 v105, v68, v96, v66
	v_pk_fma_f16 v106, v69, v96, v67
	ds_load_b128 v[66:69], v78 offset:26080
	s_wait_dscnt 0x0
	v_lshrrev_b32_e32 v107, 16, v66
	v_lshrrev_b32_e32 v108, 16, v67
	;; [unrolled: 1-line block ×4, first 2 shown]
	v_and_b32_e32 v96, 0xffff, v66
	v_and_b32_e32 v111, 0xffff, v67
	;; [unrolled: 1-line block ×4, first 2 shown]
	ds_load_b128 v[66:69], v78 offset:26096
	s_wait_dscnt 0x0
	v_lshrrev_b32_e32 v117, 16, v69
	v_and_b32_e32 v118, 0xffff, v69
	v_mul_u32_u24_e32 v69, 0x10001, v96
	ds_load_2addr_b64 v[96:99], v21 offset0:192 offset1:224
	v_lshrrev_b32_e32 v114, 16, v66
	v_lshrrev_b32_e32 v115, 16, v67
	;; [unrolled: 1-line block ×3, first 2 shown]
	v_and_b32_e32 v66, 0xffff, v66
	v_and_b32_e32 v67, 0xffff, v67
	;; [unrolled: 1-line block ×3, first 2 shown]
	s_wait_loadcnt_dscnt 0x0
	s_barrier_signal -1
	s_barrier_wait -1
	global_inv scope:SCOPE_SE
	s_clause 0x1
	scratch_store_b32 off, v92, off
	scratch_store_b96 off, v[0:2], off offset:4
	v_pk_fma_f16 v74, v96, v69, v74
	v_pk_fma_f16 v69, v97, v69, v75
	v_mul_u32_u24_e32 v75, 0x10001, v107
	s_delay_alu instid0(VALU_DEP_1) | instskip(SKIP_2) | instid1(VALU_DEP_1)
	v_pk_fma_f16 v72, v96, v75, v72
	v_pk_fma_f16 v73, v97, v75, v73
	v_mul_u32_u24_e32 v75, 0x10001, v111
	v_pk_fma_f16 v102, v96, v75, v102
	v_pk_fma_f16 v75, v97, v75, v101
	v_mul_u32_u24_e32 v101, 0x10001, v108
	s_delay_alu instid0(VALU_DEP_1) | instskip(SKIP_2) | instid1(VALU_DEP_1)
	v_pk_fma_f16 v103, v96, v101, v103
	v_pk_fma_f16 v101, v97, v101, v104
	v_mul_u32_u24_e32 v104, 0x10001, v112
	v_pk_fma_f16 v107, v96, v104, v63
	v_mul_u32_u24_e32 v63, 0x10001, v109
	;; [unrolled: 2-line block ×3, first 2 shown]
	s_delay_alu instid0(VALU_DEP_3)
	v_pk_fma_f16 v108, v96, v63, v60
	v_mul_u32_u24_e32 v60, 0x10001, v113
	v_pk_fma_f16 v109, v97, v63, v61
	v_mul_u32_u24_e32 v61, 0x10001, v114
	v_mul_u32_u24_e32 v63, 0x10001, v67
	v_mul_u32_u24_e32 v67, 0x10001, v116
	v_pk_fma_f16 v100, v96, v60, v100
	v_pk_fma_f16 v111, v97, v60, v59
	v_mul_u32_u24_e32 v59, 0x10001, v110
	v_mul_u32_u24_e32 v60, 0x10001, v66
	;; [unrolled: 1-line block ×4, first 2 shown]
	s_delay_alu instid0(VALU_DEP_4)
	v_pk_fma_f16 v105, v96, v59, v105
	v_pk_fma_f16 v106, v97, v59, v106
	;; [unrolled: 1-line block ×15, first 2 shown]
	v_mul_u32_u24_e32 v100, 0x10001, v117
	v_pk_fma_f16 v97, v99, v68, v111
	s_delay_alu instid0(VALU_DEP_2)
	v_pk_fma_f16 v68, v98, v100, v105
	v_pk_fma_f16 v98, v99, v100, v106
	flat_load_b128 v[99:102], v[5:6]
	s_clause 0x1
	scratch_store_b96 off, v[0:2], off offset:4
	scratch_store_b32 off, v92, off
	v_add_co_u32 v0, vcc_lo, s4, v3
	s_wait_alu 0xfffd
	v_add_co_ci_u32_e64 v1, null, s5, v4, vcc_lo
	v_cmp_gt_i32_e32 vcc_lo, s3, v93
	s_delay_alu instid0(VALU_DEP_3) | instskip(SKIP_1) | instid1(VALU_DEP_3)
	v_add_co_u32 v0, s2, v0, v91
	s_wait_alu 0xf1ff
	v_add_co_ci_u32_e64 v1, null, 0, v1, s2
	s_wait_alu 0xfffd
	s_delay_alu instid0(VALU_DEP_2) | instskip(NEXT) | instid1(VALU_DEP_2)
	v_cndmask_b32_e32 v0, 0, v0, vcc_lo
	v_cndmask_b32_e32 v1, s15, v1, vcc_lo
	s_wait_loadcnt_dscnt 0x0
	ds_store_b128 v95, v[99:102] offset:16384
	flat_load_b128 v[0:3], v[0:1]
	s_wait_loadcnt_dscnt 0x0
	ds_store_b128 v90, v[0:3] offset:16384
	s_wait_storecnt_dscnt 0x0
	s_barrier_signal -1
	s_barrier_wait -1
	global_inv scope:SCOPE_SE
	ds_load_b128 v[0:3], v78 offset:26112
	s_wait_dscnt 0x0
	v_lshrrev_b32_e32 v4, 16, v0
	v_lshrrev_b32_e32 v5, 16, v1
	;; [unrolled: 1-line block ×4, first 2 shown]
	v_and_b32_e32 v91, 0xffff, v0
	v_and_b32_e32 v92, 0xffff, v1
	;; [unrolled: 1-line block ×4, first 2 shown]
	ds_load_b128 v[0:3], v78 offset:26128
	v_mul_u32_u24_e32 v4, 0x10001, v4
	v_mul_u32_u24_e32 v5, 0x10001, v5
	;; [unrolled: 1-line block ×4, first 2 shown]
	s_wait_dscnt 0x0
	v_lshrrev_b32_e32 v95, 16, v0
	v_lshrrev_b32_e32 v99, 16, v1
	;; [unrolled: 1-line block ×4, first 2 shown]
	v_and_b32_e32 v102, 0xffff, v0
	v_and_b32_e32 v103, 0xffff, v1
	;; [unrolled: 1-line block ×4, first 2 shown]
	ds_load_2addr_b64 v[0:3], v57 offset1:32
	s_wait_dscnt 0x0
	v_pk_fma_f16 v60, v0, v4, v60
	v_pk_fma_f16 v4, v1, v4, v72
	v_mul_u32_u24_e32 v72, 0x10001, v92
	v_pk_fma_f16 v63, v0, v5, v63
	v_pk_fma_f16 v5, v1, v5, v74
	v_mul_u32_u24_e32 v74, 0x10001, v94
	v_pk_fma_f16 v59, v0, v91, v59
	v_pk_fma_f16 v61, v0, v72, v61
	;; [unrolled: 1-line block ×3, first 2 shown]
	v_mul_u32_u24_e32 v73, 0x10001, v93
	v_pk_fma_f16 v69, v1, v91, v69
	v_pk_fma_f16 v66, v0, v6, v66
	;; [unrolled: 1-line block ×6, first 2 shown]
	v_mul_u32_u24_e32 v75, 0x10001, v90
	v_pk_fma_f16 v74, v1, v74, v97
	s_delay_alu instid0(VALU_DEP_2) | instskip(SKIP_2) | instid1(VALU_DEP_2)
	v_pk_fma_f16 v0, v0, v75, v68
	v_mul_u32_u24_e32 v68, 0x10001, v102
	v_pk_fma_f16 v1, v1, v75, v98
	v_pk_fma_f16 v59, v2, v68, v59
	;; [unrolled: 1-line block ×3, first 2 shown]
	v_mul_u32_u24_e32 v69, 0x10001, v95
	s_delay_alu instid0(VALU_DEP_1) | instskip(SKIP_2) | instid1(VALU_DEP_1)
	v_pk_fma_f16 v60, v2, v69, v60
	v_pk_fma_f16 v4, v3, v69, v4
	v_mul_u32_u24_e32 v69, 0x10001, v103
	v_pk_fma_f16 v61, v2, v69, v61
	v_pk_fma_f16 v69, v3, v69, v72
	v_mul_u32_u24_e32 v72, 0x10001, v99
	s_delay_alu instid0(VALU_DEP_1) | instskip(SKIP_2) | instid1(VALU_DEP_1)
	v_pk_fma_f16 v63, v2, v72, v63
	v_pk_fma_f16 v5, v3, v72, v5
	v_mul_u32_u24_e32 v72, 0x10001, v104
	v_pk_fma_f16 v64, v2, v72, v64
	v_pk_fma_f16 v72, v3, v72, v73
	;; [unrolled: 7-line block ×3, first 2 shown]
	v_mul_u32_u24_e32 v74, 0x10001, v101
	s_delay_alu instid0(VALU_DEP_1)
	v_pk_fma_f16 v75, v2, v74, v0
	v_pk_fma_f16 v74, v3, v74, v1
	ds_load_b128 v[0:3], v78 offset:26144
	s_wait_dscnt 0x0
	v_lshrrev_b32_e32 v90, 16, v0
	v_lshrrev_b32_e32 v91, 16, v1
	;; [unrolled: 1-line block ×4, first 2 shown]
	v_and_b32_e32 v94, 0xffff, v0
	v_and_b32_e32 v95, 0xffff, v1
	;; [unrolled: 1-line block ×4, first 2 shown]
	ds_load_b128 v[0:3], v78 offset:26160
	v_mul_u32_u24_e32 v90, 0x10001, v90
	v_mul_u32_u24_e32 v94, 0x10001, v94
	s_wait_dscnt 0x0
	v_lshrrev_b32_e32 v98, 16, v0
	v_lshrrev_b32_e32 v99, 16, v1
	;; [unrolled: 1-line block ×4, first 2 shown]
	v_and_b32_e32 v102, 0xffff, v0
	v_and_b32_e32 v103, 0xffff, v1
	;; [unrolled: 1-line block ×4, first 2 shown]
	ds_load_2addr_b64 v[0:3], v57 offset0:64 offset1:96
	s_wait_dscnt 0x0
	v_pk_fma_f16 v60, v0, v90, v60
	v_pk_fma_f16 v4, v1, v90, v4
	v_mul_u32_u24_e32 v90, 0x10001, v95
	v_pk_fma_f16 v59, v0, v94, v59
	v_pk_fma_f16 v68, v1, v94, v68
	s_delay_alu instid0(VALU_DEP_3) | instskip(SKIP_2) | instid1(VALU_DEP_1)
	v_pk_fma_f16 v61, v0, v90, v61
	v_pk_fma_f16 v69, v1, v90, v69
	v_mul_u32_u24_e32 v90, 0x10001, v91
	v_pk_fma_f16 v63, v0, v90, v63
	v_pk_fma_f16 v5, v1, v90, v5
	v_mul_u32_u24_e32 v90, 0x10001, v96
	s_delay_alu instid0(VALU_DEP_1) | instskip(SKIP_2) | instid1(VALU_DEP_1)
	v_pk_fma_f16 v64, v0, v90, v64
	v_pk_fma_f16 v72, v1, v90, v72
	v_mul_u32_u24_e32 v90, 0x10001, v92
	v_pk_fma_f16 v66, v0, v90, v66
	v_pk_fma_f16 v6, v1, v90, v6
	v_mul_u32_u24_e32 v90, 0x10001, v97
	s_delay_alu instid0(VALU_DEP_1) | instskip(SKIP_2) | instid1(VALU_DEP_1)
	v_pk_fma_f16 v67, v0, v90, v67
	v_pk_fma_f16 v73, v1, v90, v73
	v_mul_u32_u24_e32 v90, 0x10001, v93
	v_pk_fma_f16 v1, v1, v90, v74
	v_mul_u32_u24_e32 v74, 0x10001, v102
	v_pk_fma_f16 v0, v0, v90, v75
	s_delay_alu instid0(VALU_DEP_2) | instskip(SKIP_2) | instid1(VALU_DEP_1)
	v_pk_fma_f16 v59, v2, v74, v59
	v_pk_fma_f16 v68, v3, v74, v68
	v_mul_u32_u24_e32 v74, 0x10001, v98
	v_pk_fma_f16 v60, v2, v74, v60
	v_pk_fma_f16 v4, v3, v74, v4
	v_mul_u32_u24_e32 v74, 0x10001, v103
	s_delay_alu instid0(VALU_DEP_1) | instskip(SKIP_2) | instid1(VALU_DEP_1)
	v_pk_fma_f16 v61, v2, v74, v61
	v_pk_fma_f16 v69, v3, v74, v69
	v_mul_u32_u24_e32 v74, 0x10001, v99
	v_pk_fma_f16 v63, v2, v74, v63
	v_pk_fma_f16 v5, v3, v74, v5
	v_mul_u32_u24_e32 v74, 0x10001, v104
	s_delay_alu instid0(VALU_DEP_1) | instskip(SKIP_2) | instid1(VALU_DEP_1)
	;; [unrolled: 7-line block ×3, first 2 shown]
	v_pk_fma_f16 v67, v2, v74, v67
	v_pk_fma_f16 v73, v3, v74, v73
	v_mul_u32_u24_e32 v74, 0x10001, v101
	v_pk_fma_f16 v75, v2, v74, v0
	v_pk_fma_f16 v74, v3, v74, v1
	ds_load_b128 v[0:3], v78 offset:26176
	s_wait_dscnt 0x0
	v_lshrrev_b32_e32 v90, 16, v0
	v_lshrrev_b32_e32 v91, 16, v1
	;; [unrolled: 1-line block ×4, first 2 shown]
	v_and_b32_e32 v94, 0xffff, v0
	v_and_b32_e32 v95, 0xffff, v1
	;; [unrolled: 1-line block ×4, first 2 shown]
	ds_load_b128 v[0:3], v78 offset:26192
	v_mul_u32_u24_e32 v90, 0x10001, v90
	v_mul_u32_u24_e32 v94, 0x10001, v94
	s_wait_dscnt 0x0
	v_lshrrev_b32_e32 v98, 16, v0
	v_lshrrev_b32_e32 v99, 16, v1
	;; [unrolled: 1-line block ×4, first 2 shown]
	v_and_b32_e32 v102, 0xffff, v0
	v_and_b32_e32 v103, 0xffff, v1
	;; [unrolled: 1-line block ×4, first 2 shown]
	ds_load_2addr_b64 v[0:3], v57 offset0:128 offset1:160
	s_wait_dscnt 0x0
	v_pk_fma_f16 v60, v0, v90, v60
	v_pk_fma_f16 v4, v1, v90, v4
	v_mul_u32_u24_e32 v90, 0x10001, v95
	v_pk_fma_f16 v59, v0, v94, v59
	v_pk_fma_f16 v68, v1, v94, v68
	s_delay_alu instid0(VALU_DEP_3) | instskip(SKIP_2) | instid1(VALU_DEP_1)
	v_pk_fma_f16 v61, v0, v90, v61
	v_pk_fma_f16 v69, v1, v90, v69
	v_mul_u32_u24_e32 v90, 0x10001, v91
	v_pk_fma_f16 v63, v0, v90, v63
	v_pk_fma_f16 v5, v1, v90, v5
	v_mul_u32_u24_e32 v90, 0x10001, v96
	s_delay_alu instid0(VALU_DEP_1) | instskip(SKIP_2) | instid1(VALU_DEP_1)
	v_pk_fma_f16 v64, v0, v90, v64
	v_pk_fma_f16 v72, v1, v90, v72
	v_mul_u32_u24_e32 v90, 0x10001, v92
	v_pk_fma_f16 v66, v0, v90, v66
	v_pk_fma_f16 v6, v1, v90, v6
	v_mul_u32_u24_e32 v90, 0x10001, v97
	s_delay_alu instid0(VALU_DEP_1) | instskip(SKIP_2) | instid1(VALU_DEP_1)
	v_pk_fma_f16 v67, v0, v90, v67
	v_pk_fma_f16 v73, v1, v90, v73
	v_mul_u32_u24_e32 v90, 0x10001, v93
	v_pk_fma_f16 v1, v1, v90, v74
	v_mul_u32_u24_e32 v74, 0x10001, v102
	v_pk_fma_f16 v0, v0, v90, v75
	s_delay_alu instid0(VALU_DEP_2) | instskip(SKIP_2) | instid1(VALU_DEP_1)
	v_pk_fma_f16 v59, v2, v74, v59
	v_pk_fma_f16 v68, v3, v74, v68
	v_mul_u32_u24_e32 v74, 0x10001, v98
	v_pk_fma_f16 v60, v2, v74, v60
	v_pk_fma_f16 v4, v3, v74, v4
	v_mul_u32_u24_e32 v74, 0x10001, v103
	s_delay_alu instid0(VALU_DEP_1) | instskip(SKIP_2) | instid1(VALU_DEP_1)
	v_pk_fma_f16 v61, v2, v74, v61
	v_pk_fma_f16 v69, v3, v74, v69
	v_mul_u32_u24_e32 v74, 0x10001, v99
	v_pk_fma_f16 v63, v2, v74, v63
	v_pk_fma_f16 v5, v3, v74, v5
	v_mul_u32_u24_e32 v74, 0x10001, v104
	s_delay_alu instid0(VALU_DEP_1) | instskip(SKIP_2) | instid1(VALU_DEP_1)
	;; [unrolled: 7-line block ×3, first 2 shown]
	v_pk_fma_f16 v67, v2, v74, v67
	v_pk_fma_f16 v73, v3, v74, v73
	v_mul_u32_u24_e32 v74, 0x10001, v101
	v_pk_fma_f16 v75, v2, v74, v0
	v_pk_fma_f16 v74, v3, v74, v1
	ds_load_b128 v[0:3], v78 offset:26208
	s_wait_dscnt 0x0
	v_lshrrev_b32_e32 v90, 16, v0
	v_lshrrev_b32_e32 v91, 16, v1
	;; [unrolled: 1-line block ×4, first 2 shown]
	v_and_b32_e32 v94, 0xffff, v0
	v_and_b32_e32 v95, 0xffff, v1
	;; [unrolled: 1-line block ×4, first 2 shown]
	ds_load_b128 v[0:3], v78 offset:26224
	v_mul_u32_u24_e32 v94, 0x10001, v94
	s_wait_dscnt 0x0
	v_lshrrev_b32_e32 v98, 16, v0
	v_lshrrev_b32_e32 v99, 16, v1
	;; [unrolled: 1-line block ×4, first 2 shown]
	v_and_b32_e32 v102, 0xffff, v0
	v_and_b32_e32 v103, 0xffff, v1
	;; [unrolled: 1-line block ×4, first 2 shown]
	ds_load_2addr_b64 v[0:3], v57 offset0:192 offset1:224
	s_wait_dscnt 0x0
	v_pk_fma_f16 v57, v0, v94, v59
	v_pk_fma_f16 v59, v1, v94, v68
	v_mul_u32_u24_e32 v68, 0x10001, v90
	s_delay_alu instid0(VALU_DEP_1) | instskip(SKIP_2) | instid1(VALU_DEP_1)
	v_pk_fma_f16 v60, v0, v68, v60
	v_pk_fma_f16 v4, v1, v68, v4
	v_mul_u32_u24_e32 v68, 0x10001, v95
	v_pk_fma_f16 v61, v0, v68, v61
	v_pk_fma_f16 v68, v1, v68, v69
	v_mul_u32_u24_e32 v69, 0x10001, v91
	s_delay_alu instid0(VALU_DEP_1) | instskip(SKIP_2) | instid1(VALU_DEP_1)
	v_pk_fma_f16 v63, v0, v69, v63
	v_pk_fma_f16 v5, v1, v69, v5
	v_mul_u32_u24_e32 v69, 0x10001, v96
	;; [unrolled: 7-line block ×7, first 2 shown]
	v_pk_fma_f16 v67, v2, v73, v67
	v_pk_fma_f16 v72, v3, v73, v72
	v_mul_u32_u24_e32 v73, 0x10001, v101
	s_delay_alu instid0(VALU_DEP_1)
	v_pk_fma_f16 v74, v2, v73, v0
	v_pk_fma_f16 v73, v3, v73, v1
	ds_load_b128 v[0:3], v78 offset:26240
	s_wait_dscnt 0x0
	v_lshrrev_b32_e32 v75, 16, v0
	v_lshrrev_b32_e32 v90, 16, v1
	;; [unrolled: 1-line block ×4, first 2 shown]
	v_and_b32_e32 v93, 0xffff, v0
	v_and_b32_e32 v94, 0xffff, v1
	;; [unrolled: 1-line block ×4, first 2 shown]
	ds_load_b128 v[0:3], v78 offset:26256
	v_mul_u32_u24_e32 v75, 0x10001, v75
	v_mul_u32_u24_e32 v93, 0x10001, v93
	s_wait_dscnt 0x0
	v_lshrrev_b32_e32 v97, 16, v0
	v_lshrrev_b32_e32 v98, 16, v1
	;; [unrolled: 1-line block ×4, first 2 shown]
	v_and_b32_e32 v101, 0xffff, v0
	v_and_b32_e32 v102, 0xffff, v1
	;; [unrolled: 1-line block ×4, first 2 shown]
	ds_load_2addr_b64 v[0:3], v56 offset1:32
	s_wait_dscnt 0x0
	v_pk_fma_f16 v60, v0, v75, v60
	v_pk_fma_f16 v4, v1, v75, v4
	v_mul_u32_u24_e32 v75, 0x10001, v94
	v_pk_fma_f16 v57, v0, v93, v57
	v_pk_fma_f16 v59, v1, v93, v59
	s_delay_alu instid0(VALU_DEP_3) | instskip(SKIP_2) | instid1(VALU_DEP_1)
	v_pk_fma_f16 v61, v0, v75, v61
	v_pk_fma_f16 v68, v1, v75, v68
	v_mul_u32_u24_e32 v75, 0x10001, v90
	v_pk_fma_f16 v63, v0, v75, v63
	v_pk_fma_f16 v5, v1, v75, v5
	v_mul_u32_u24_e32 v75, 0x10001, v95
	s_delay_alu instid0(VALU_DEP_1) | instskip(SKIP_2) | instid1(VALU_DEP_1)
	v_pk_fma_f16 v64, v0, v75, v64
	v_pk_fma_f16 v69, v1, v75, v69
	v_mul_u32_u24_e32 v75, 0x10001, v91
	v_pk_fma_f16 v66, v0, v75, v66
	v_pk_fma_f16 v6, v1, v75, v6
	v_mul_u32_u24_e32 v75, 0x10001, v96
	s_delay_alu instid0(VALU_DEP_1) | instskip(SKIP_2) | instid1(VALU_DEP_1)
	v_pk_fma_f16 v67, v0, v75, v67
	v_pk_fma_f16 v72, v1, v75, v72
	v_mul_u32_u24_e32 v75, 0x10001, v92
	v_pk_fma_f16 v1, v1, v75, v73
	v_mul_u32_u24_e32 v73, 0x10001, v101
	v_pk_fma_f16 v0, v0, v75, v74
	s_delay_alu instid0(VALU_DEP_2) | instskip(SKIP_2) | instid1(VALU_DEP_1)
	v_pk_fma_f16 v57, v2, v73, v57
	v_pk_fma_f16 v59, v3, v73, v59
	v_mul_u32_u24_e32 v73, 0x10001, v97
	v_pk_fma_f16 v60, v2, v73, v60
	v_pk_fma_f16 v4, v3, v73, v4
	v_mul_u32_u24_e32 v73, 0x10001, v102
	s_delay_alu instid0(VALU_DEP_1) | instskip(SKIP_2) | instid1(VALU_DEP_1)
	v_pk_fma_f16 v61, v2, v73, v61
	v_pk_fma_f16 v68, v3, v73, v68
	v_mul_u32_u24_e32 v73, 0x10001, v98
	v_pk_fma_f16 v63, v2, v73, v63
	v_pk_fma_f16 v5, v3, v73, v5
	v_mul_u32_u24_e32 v73, 0x10001, v103
	s_delay_alu instid0(VALU_DEP_1) | instskip(SKIP_2) | instid1(VALU_DEP_1)
	;; [unrolled: 7-line block ×3, first 2 shown]
	v_pk_fma_f16 v67, v2, v73, v67
	v_pk_fma_f16 v72, v3, v73, v72
	v_mul_u32_u24_e32 v73, 0x10001, v100
	v_pk_fma_f16 v74, v2, v73, v0
	v_pk_fma_f16 v73, v3, v73, v1
	ds_load_b128 v[0:3], v78 offset:26272
	s_wait_dscnt 0x0
	v_lshrrev_b32_e32 v75, 16, v0
	v_lshrrev_b32_e32 v90, 16, v1
	;; [unrolled: 1-line block ×4, first 2 shown]
	v_and_b32_e32 v93, 0xffff, v0
	v_and_b32_e32 v94, 0xffff, v1
	;; [unrolled: 1-line block ×4, first 2 shown]
	ds_load_b128 v[0:3], v78 offset:26288
	v_mul_u32_u24_e32 v75, 0x10001, v75
	v_mul_u32_u24_e32 v93, 0x10001, v93
	s_wait_dscnt 0x0
	v_lshrrev_b32_e32 v97, 16, v0
	v_lshrrev_b32_e32 v98, 16, v1
	;; [unrolled: 1-line block ×4, first 2 shown]
	v_and_b32_e32 v101, 0xffff, v0
	v_and_b32_e32 v102, 0xffff, v1
	;; [unrolled: 1-line block ×4, first 2 shown]
	ds_load_2addr_b64 v[0:3], v56 offset0:64 offset1:96
	s_wait_dscnt 0x0
	v_pk_fma_f16 v60, v0, v75, v60
	v_pk_fma_f16 v4, v1, v75, v4
	v_mul_u32_u24_e32 v75, 0x10001, v94
	v_pk_fma_f16 v57, v0, v93, v57
	v_pk_fma_f16 v59, v1, v93, v59
	s_delay_alu instid0(VALU_DEP_3) | instskip(SKIP_2) | instid1(VALU_DEP_1)
	v_pk_fma_f16 v61, v0, v75, v61
	v_pk_fma_f16 v68, v1, v75, v68
	v_mul_u32_u24_e32 v75, 0x10001, v90
	v_pk_fma_f16 v63, v0, v75, v63
	v_pk_fma_f16 v5, v1, v75, v5
	v_mul_u32_u24_e32 v75, 0x10001, v95
	s_delay_alu instid0(VALU_DEP_1) | instskip(SKIP_2) | instid1(VALU_DEP_1)
	v_pk_fma_f16 v64, v0, v75, v64
	v_pk_fma_f16 v69, v1, v75, v69
	v_mul_u32_u24_e32 v75, 0x10001, v91
	v_pk_fma_f16 v66, v0, v75, v66
	v_pk_fma_f16 v6, v1, v75, v6
	v_mul_u32_u24_e32 v75, 0x10001, v96
	s_delay_alu instid0(VALU_DEP_1) | instskip(SKIP_2) | instid1(VALU_DEP_1)
	v_pk_fma_f16 v67, v0, v75, v67
	v_pk_fma_f16 v72, v1, v75, v72
	v_mul_u32_u24_e32 v75, 0x10001, v92
	v_pk_fma_f16 v1, v1, v75, v73
	v_mul_u32_u24_e32 v73, 0x10001, v101
	v_pk_fma_f16 v0, v0, v75, v74
	s_delay_alu instid0(VALU_DEP_2) | instskip(SKIP_2) | instid1(VALU_DEP_1)
	v_pk_fma_f16 v57, v2, v73, v57
	v_pk_fma_f16 v59, v3, v73, v59
	v_mul_u32_u24_e32 v73, 0x10001, v97
	v_pk_fma_f16 v60, v2, v73, v60
	v_pk_fma_f16 v4, v3, v73, v4
	v_mul_u32_u24_e32 v73, 0x10001, v102
	s_delay_alu instid0(VALU_DEP_1) | instskip(SKIP_2) | instid1(VALU_DEP_1)
	v_pk_fma_f16 v61, v2, v73, v61
	v_pk_fma_f16 v68, v3, v73, v68
	v_mul_u32_u24_e32 v73, 0x10001, v98
	v_pk_fma_f16 v63, v2, v73, v63
	v_pk_fma_f16 v5, v3, v73, v5
	v_mul_u32_u24_e32 v73, 0x10001, v103
	s_delay_alu instid0(VALU_DEP_1) | instskip(SKIP_2) | instid1(VALU_DEP_1)
	;; [unrolled: 7-line block ×3, first 2 shown]
	v_pk_fma_f16 v67, v2, v73, v67
	v_pk_fma_f16 v72, v3, v73, v72
	v_mul_u32_u24_e32 v73, 0x10001, v100
	v_pk_fma_f16 v74, v2, v73, v0
	v_pk_fma_f16 v73, v3, v73, v1
	ds_load_b128 v[0:3], v78 offset:26304
	s_wait_dscnt 0x0
	v_lshrrev_b32_e32 v75, 16, v0
	v_lshrrev_b32_e32 v90, 16, v1
	;; [unrolled: 1-line block ×4, first 2 shown]
	v_and_b32_e32 v93, 0xffff, v0
	v_and_b32_e32 v94, 0xffff, v1
	;; [unrolled: 1-line block ×4, first 2 shown]
	ds_load_b128 v[0:3], v78 offset:26320
	v_mul_u32_u24_e32 v75, 0x10001, v75
	v_mul_u32_u24_e32 v93, 0x10001, v93
	s_wait_dscnt 0x0
	v_lshrrev_b32_e32 v97, 16, v0
	v_lshrrev_b32_e32 v98, 16, v1
	;; [unrolled: 1-line block ×4, first 2 shown]
	v_and_b32_e32 v101, 0xffff, v0
	v_and_b32_e32 v102, 0xffff, v1
	;; [unrolled: 1-line block ×4, first 2 shown]
	ds_load_2addr_b64 v[0:3], v56 offset0:128 offset1:160
	s_wait_dscnt 0x0
	v_pk_fma_f16 v60, v0, v75, v60
	v_pk_fma_f16 v4, v1, v75, v4
	v_mul_u32_u24_e32 v75, 0x10001, v94
	v_pk_fma_f16 v57, v0, v93, v57
	v_pk_fma_f16 v59, v1, v93, v59
	s_delay_alu instid0(VALU_DEP_3) | instskip(SKIP_2) | instid1(VALU_DEP_1)
	v_pk_fma_f16 v61, v0, v75, v61
	v_pk_fma_f16 v68, v1, v75, v68
	v_mul_u32_u24_e32 v75, 0x10001, v90
	v_pk_fma_f16 v63, v0, v75, v63
	v_pk_fma_f16 v5, v1, v75, v5
	v_mul_u32_u24_e32 v75, 0x10001, v95
	s_delay_alu instid0(VALU_DEP_1) | instskip(SKIP_2) | instid1(VALU_DEP_1)
	v_pk_fma_f16 v64, v0, v75, v64
	v_pk_fma_f16 v69, v1, v75, v69
	v_mul_u32_u24_e32 v75, 0x10001, v91
	v_pk_fma_f16 v66, v0, v75, v66
	v_pk_fma_f16 v6, v1, v75, v6
	v_mul_u32_u24_e32 v75, 0x10001, v96
	s_delay_alu instid0(VALU_DEP_1) | instskip(SKIP_2) | instid1(VALU_DEP_1)
	v_pk_fma_f16 v67, v0, v75, v67
	v_pk_fma_f16 v72, v1, v75, v72
	v_mul_u32_u24_e32 v75, 0x10001, v92
	v_pk_fma_f16 v1, v1, v75, v73
	v_mul_u32_u24_e32 v73, 0x10001, v101
	v_pk_fma_f16 v0, v0, v75, v74
	s_delay_alu instid0(VALU_DEP_2) | instskip(SKIP_2) | instid1(VALU_DEP_1)
	v_pk_fma_f16 v57, v2, v73, v57
	v_pk_fma_f16 v59, v3, v73, v59
	v_mul_u32_u24_e32 v73, 0x10001, v97
	v_pk_fma_f16 v60, v2, v73, v60
	v_pk_fma_f16 v4, v3, v73, v4
	v_mul_u32_u24_e32 v73, 0x10001, v102
	s_delay_alu instid0(VALU_DEP_1) | instskip(SKIP_2) | instid1(VALU_DEP_1)
	v_pk_fma_f16 v61, v2, v73, v61
	v_pk_fma_f16 v68, v3, v73, v68
	v_mul_u32_u24_e32 v73, 0x10001, v98
	v_pk_fma_f16 v63, v2, v73, v63
	v_pk_fma_f16 v5, v3, v73, v5
	v_mul_u32_u24_e32 v73, 0x10001, v103
	s_delay_alu instid0(VALU_DEP_1) | instskip(SKIP_2) | instid1(VALU_DEP_1)
	;; [unrolled: 7-line block ×3, first 2 shown]
	v_pk_fma_f16 v67, v2, v73, v67
	v_pk_fma_f16 v72, v3, v73, v72
	v_mul_u32_u24_e32 v73, 0x10001, v100
	v_pk_fma_f16 v74, v2, v73, v0
	v_pk_fma_f16 v73, v3, v73, v1
	ds_load_b128 v[0:3], v78 offset:26336
	s_wait_dscnt 0x0
	v_lshrrev_b32_e32 v75, 16, v0
	v_lshrrev_b32_e32 v90, 16, v1
	;; [unrolled: 1-line block ×4, first 2 shown]
	v_and_b32_e32 v93, 0xffff, v0
	v_and_b32_e32 v94, 0xffff, v1
	;; [unrolled: 1-line block ×4, first 2 shown]
	ds_load_b128 v[0:3], v78 offset:26352
	v_mul_u32_u24_e32 v93, 0x10001, v93
	s_wait_dscnt 0x0
	v_lshrrev_b32_e32 v97, 16, v0
	v_lshrrev_b32_e32 v98, 16, v1
	;; [unrolled: 1-line block ×4, first 2 shown]
	v_and_b32_e32 v101, 0xffff, v0
	v_and_b32_e32 v102, 0xffff, v1
	;; [unrolled: 1-line block ×4, first 2 shown]
	ds_load_2addr_b64 v[0:3], v56 offset0:192 offset1:224
	s_wait_dscnt 0x0
	v_pk_fma_f16 v56, v0, v93, v57
	v_pk_fma_f16 v57, v1, v93, v59
	v_mul_u32_u24_e32 v59, 0x10001, v75
	s_delay_alu instid0(VALU_DEP_1) | instskip(SKIP_2) | instid1(VALU_DEP_1)
	v_pk_fma_f16 v60, v0, v59, v60
	v_pk_fma_f16 v4, v1, v59, v4
	v_mul_u32_u24_e32 v59, 0x10001, v94
	v_pk_fma_f16 v61, v0, v59, v61
	v_pk_fma_f16 v59, v1, v59, v68
	v_mul_u32_u24_e32 v68, 0x10001, v90
	s_delay_alu instid0(VALU_DEP_1) | instskip(SKIP_2) | instid1(VALU_DEP_1)
	v_pk_fma_f16 v63, v0, v68, v63
	v_pk_fma_f16 v5, v1, v68, v5
	v_mul_u32_u24_e32 v68, 0x10001, v95
	;; [unrolled: 7-line block ×7, first 2 shown]
	v_pk_fma_f16 v67, v2, v72, v67
	v_pk_fma_f16 v69, v3, v72, v69
	v_mul_u32_u24_e32 v72, 0x10001, v100
	s_delay_alu instid0(VALU_DEP_1)
	v_pk_fma_f16 v73, v2, v72, v0
	v_pk_fma_f16 v72, v3, v72, v1
	ds_load_b128 v[0:3], v78 offset:26368
	s_wait_dscnt 0x0
	v_lshrrev_b32_e32 v74, 16, v0
	v_lshrrev_b32_e32 v75, 16, v1
	v_lshrrev_b32_e32 v90, 16, v2
	v_lshrrev_b32_e32 v91, 16, v3
	v_and_b32_e32 v92, 0xffff, v0
	v_and_b32_e32 v93, 0xffff, v1
	;; [unrolled: 1-line block ×4, first 2 shown]
	ds_load_b128 v[0:3], v78 offset:26384
	v_mul_u32_u24_e32 v74, 0x10001, v74
	v_mul_u32_u24_e32 v92, 0x10001, v92
	s_wait_dscnt 0x0
	v_lshrrev_b32_e32 v96, 16, v0
	v_lshrrev_b32_e32 v97, 16, v1
	;; [unrolled: 1-line block ×4, first 2 shown]
	v_and_b32_e32 v100, 0xffff, v0
	v_and_b32_e32 v101, 0xffff, v1
	;; [unrolled: 1-line block ×4, first 2 shown]
	ds_load_2addr_b64 v[0:3], v55 offset1:32
	s_wait_dscnt 0x0
	v_pk_fma_f16 v60, v0, v74, v60
	v_pk_fma_f16 v4, v1, v74, v4
	v_mul_u32_u24_e32 v74, 0x10001, v93
	v_pk_fma_f16 v56, v0, v92, v56
	v_pk_fma_f16 v57, v1, v92, v57
	s_delay_alu instid0(VALU_DEP_3) | instskip(SKIP_2) | instid1(VALU_DEP_1)
	v_pk_fma_f16 v61, v0, v74, v61
	v_pk_fma_f16 v59, v1, v74, v59
	v_mul_u32_u24_e32 v74, 0x10001, v75
	v_pk_fma_f16 v63, v0, v74, v63
	v_pk_fma_f16 v5, v1, v74, v5
	v_mul_u32_u24_e32 v74, 0x10001, v94
	s_delay_alu instid0(VALU_DEP_1) | instskip(SKIP_2) | instid1(VALU_DEP_1)
	v_pk_fma_f16 v64, v0, v74, v64
	v_pk_fma_f16 v68, v1, v74, v68
	v_mul_u32_u24_e32 v74, 0x10001, v90
	v_pk_fma_f16 v66, v0, v74, v66
	v_pk_fma_f16 v6, v1, v74, v6
	v_mul_u32_u24_e32 v74, 0x10001, v95
	s_delay_alu instid0(VALU_DEP_1) | instskip(SKIP_2) | instid1(VALU_DEP_1)
	v_pk_fma_f16 v67, v0, v74, v67
	v_pk_fma_f16 v69, v1, v74, v69
	v_mul_u32_u24_e32 v74, 0x10001, v91
	v_pk_fma_f16 v1, v1, v74, v72
	v_mul_u32_u24_e32 v72, 0x10001, v100
	v_pk_fma_f16 v0, v0, v74, v73
	s_delay_alu instid0(VALU_DEP_2) | instskip(SKIP_2) | instid1(VALU_DEP_1)
	v_pk_fma_f16 v56, v2, v72, v56
	v_pk_fma_f16 v57, v3, v72, v57
	v_mul_u32_u24_e32 v72, 0x10001, v96
	v_pk_fma_f16 v60, v2, v72, v60
	v_pk_fma_f16 v4, v3, v72, v4
	v_mul_u32_u24_e32 v72, 0x10001, v101
	s_delay_alu instid0(VALU_DEP_1) | instskip(SKIP_2) | instid1(VALU_DEP_1)
	v_pk_fma_f16 v61, v2, v72, v61
	v_pk_fma_f16 v59, v3, v72, v59
	v_mul_u32_u24_e32 v72, 0x10001, v97
	v_pk_fma_f16 v63, v2, v72, v63
	v_pk_fma_f16 v5, v3, v72, v5
	v_mul_u32_u24_e32 v72, 0x10001, v102
	s_delay_alu instid0(VALU_DEP_1) | instskip(SKIP_2) | instid1(VALU_DEP_1)
	;; [unrolled: 7-line block ×3, first 2 shown]
	v_pk_fma_f16 v67, v2, v72, v67
	v_pk_fma_f16 v69, v3, v72, v69
	v_mul_u32_u24_e32 v72, 0x10001, v99
	v_pk_fma_f16 v73, v2, v72, v0
	v_pk_fma_f16 v72, v3, v72, v1
	ds_load_b128 v[0:3], v78 offset:26400
	s_wait_dscnt 0x0
	v_lshrrev_b32_e32 v74, 16, v0
	v_lshrrev_b32_e32 v75, 16, v1
	;; [unrolled: 1-line block ×4, first 2 shown]
	v_and_b32_e32 v92, 0xffff, v0
	v_and_b32_e32 v93, 0xffff, v1
	;; [unrolled: 1-line block ×4, first 2 shown]
	ds_load_b128 v[0:3], v78 offset:26416
	v_mul_u32_u24_e32 v74, 0x10001, v74
	v_mul_u32_u24_e32 v92, 0x10001, v92
	s_wait_dscnt 0x0
	v_lshrrev_b32_e32 v96, 16, v0
	v_lshrrev_b32_e32 v97, 16, v1
	;; [unrolled: 1-line block ×4, first 2 shown]
	v_and_b32_e32 v100, 0xffff, v0
	v_and_b32_e32 v101, 0xffff, v1
	;; [unrolled: 1-line block ×4, first 2 shown]
	ds_load_2addr_b64 v[0:3], v55 offset0:64 offset1:96
	s_wait_dscnt 0x0
	v_pk_fma_f16 v60, v0, v74, v60
	v_pk_fma_f16 v4, v1, v74, v4
	v_mul_u32_u24_e32 v74, 0x10001, v93
	v_pk_fma_f16 v56, v0, v92, v56
	v_pk_fma_f16 v57, v1, v92, v57
	s_delay_alu instid0(VALU_DEP_3) | instskip(SKIP_2) | instid1(VALU_DEP_1)
	v_pk_fma_f16 v61, v0, v74, v61
	v_pk_fma_f16 v59, v1, v74, v59
	v_mul_u32_u24_e32 v74, 0x10001, v75
	v_pk_fma_f16 v63, v0, v74, v63
	v_pk_fma_f16 v5, v1, v74, v5
	v_mul_u32_u24_e32 v74, 0x10001, v94
	s_delay_alu instid0(VALU_DEP_1) | instskip(SKIP_2) | instid1(VALU_DEP_1)
	v_pk_fma_f16 v64, v0, v74, v64
	v_pk_fma_f16 v68, v1, v74, v68
	v_mul_u32_u24_e32 v74, 0x10001, v90
	v_pk_fma_f16 v66, v0, v74, v66
	v_pk_fma_f16 v6, v1, v74, v6
	v_mul_u32_u24_e32 v74, 0x10001, v95
	s_delay_alu instid0(VALU_DEP_1) | instskip(SKIP_2) | instid1(VALU_DEP_1)
	v_pk_fma_f16 v67, v0, v74, v67
	v_pk_fma_f16 v69, v1, v74, v69
	v_mul_u32_u24_e32 v74, 0x10001, v91
	v_pk_fma_f16 v1, v1, v74, v72
	v_mul_u32_u24_e32 v72, 0x10001, v100
	v_pk_fma_f16 v0, v0, v74, v73
	s_delay_alu instid0(VALU_DEP_2) | instskip(SKIP_2) | instid1(VALU_DEP_1)
	v_pk_fma_f16 v56, v2, v72, v56
	v_pk_fma_f16 v57, v3, v72, v57
	v_mul_u32_u24_e32 v72, 0x10001, v96
	v_pk_fma_f16 v60, v2, v72, v60
	v_pk_fma_f16 v4, v3, v72, v4
	v_mul_u32_u24_e32 v72, 0x10001, v101
	s_delay_alu instid0(VALU_DEP_1) | instskip(SKIP_2) | instid1(VALU_DEP_1)
	v_pk_fma_f16 v61, v2, v72, v61
	v_pk_fma_f16 v59, v3, v72, v59
	v_mul_u32_u24_e32 v72, 0x10001, v97
	v_pk_fma_f16 v63, v2, v72, v63
	v_pk_fma_f16 v5, v3, v72, v5
	v_mul_u32_u24_e32 v72, 0x10001, v102
	s_delay_alu instid0(VALU_DEP_1) | instskip(SKIP_2) | instid1(VALU_DEP_1)
	;; [unrolled: 7-line block ×3, first 2 shown]
	v_pk_fma_f16 v67, v2, v72, v67
	v_pk_fma_f16 v69, v3, v72, v69
	v_mul_u32_u24_e32 v72, 0x10001, v99
	v_pk_fma_f16 v73, v2, v72, v0
	v_pk_fma_f16 v72, v3, v72, v1
	ds_load_b128 v[0:3], v78 offset:26432
	s_wait_dscnt 0x0
	v_lshrrev_b32_e32 v74, 16, v0
	v_lshrrev_b32_e32 v75, 16, v1
	;; [unrolled: 1-line block ×4, first 2 shown]
	v_and_b32_e32 v92, 0xffff, v0
	v_and_b32_e32 v93, 0xffff, v1
	;; [unrolled: 1-line block ×4, first 2 shown]
	ds_load_b128 v[0:3], v78 offset:26448
	v_mul_u32_u24_e32 v74, 0x10001, v74
	v_mul_u32_u24_e32 v92, 0x10001, v92
	s_wait_dscnt 0x0
	v_lshrrev_b32_e32 v96, 16, v0
	v_lshrrev_b32_e32 v97, 16, v1
	;; [unrolled: 1-line block ×4, first 2 shown]
	v_and_b32_e32 v100, 0xffff, v0
	v_and_b32_e32 v101, 0xffff, v1
	v_and_b32_e32 v102, 0xffff, v2
	v_and_b32_e32 v103, 0xffff, v3
	ds_load_2addr_b64 v[0:3], v55 offset0:128 offset1:160
	s_wait_dscnt 0x0
	v_pk_fma_f16 v60, v0, v74, v60
	v_pk_fma_f16 v4, v1, v74, v4
	v_mul_u32_u24_e32 v74, 0x10001, v93
	v_pk_fma_f16 v56, v0, v92, v56
	v_pk_fma_f16 v57, v1, v92, v57
	s_delay_alu instid0(VALU_DEP_3) | instskip(SKIP_2) | instid1(VALU_DEP_1)
	v_pk_fma_f16 v61, v0, v74, v61
	v_pk_fma_f16 v59, v1, v74, v59
	v_mul_u32_u24_e32 v74, 0x10001, v75
	v_pk_fma_f16 v63, v0, v74, v63
	v_pk_fma_f16 v5, v1, v74, v5
	v_mul_u32_u24_e32 v74, 0x10001, v94
	s_delay_alu instid0(VALU_DEP_1) | instskip(SKIP_2) | instid1(VALU_DEP_1)
	v_pk_fma_f16 v64, v0, v74, v64
	v_pk_fma_f16 v68, v1, v74, v68
	v_mul_u32_u24_e32 v74, 0x10001, v90
	v_pk_fma_f16 v66, v0, v74, v66
	v_pk_fma_f16 v6, v1, v74, v6
	v_mul_u32_u24_e32 v74, 0x10001, v95
	s_delay_alu instid0(VALU_DEP_1) | instskip(SKIP_2) | instid1(VALU_DEP_1)
	v_pk_fma_f16 v67, v0, v74, v67
	v_pk_fma_f16 v69, v1, v74, v69
	v_mul_u32_u24_e32 v74, 0x10001, v91
	v_pk_fma_f16 v1, v1, v74, v72
	v_mul_u32_u24_e32 v72, 0x10001, v100
	v_pk_fma_f16 v0, v0, v74, v73
	s_delay_alu instid0(VALU_DEP_2) | instskip(SKIP_2) | instid1(VALU_DEP_1)
	v_pk_fma_f16 v56, v2, v72, v56
	v_pk_fma_f16 v57, v3, v72, v57
	v_mul_u32_u24_e32 v72, 0x10001, v96
	v_pk_fma_f16 v60, v2, v72, v60
	v_pk_fma_f16 v4, v3, v72, v4
	v_mul_u32_u24_e32 v72, 0x10001, v101
	s_delay_alu instid0(VALU_DEP_1) | instskip(SKIP_2) | instid1(VALU_DEP_1)
	v_pk_fma_f16 v61, v2, v72, v61
	v_pk_fma_f16 v59, v3, v72, v59
	v_mul_u32_u24_e32 v72, 0x10001, v97
	v_pk_fma_f16 v63, v2, v72, v63
	v_pk_fma_f16 v5, v3, v72, v5
	v_mul_u32_u24_e32 v72, 0x10001, v102
	s_delay_alu instid0(VALU_DEP_1) | instskip(SKIP_2) | instid1(VALU_DEP_1)
	;; [unrolled: 7-line block ×3, first 2 shown]
	v_pk_fma_f16 v67, v2, v72, v67
	v_pk_fma_f16 v69, v3, v72, v69
	v_mul_u32_u24_e32 v72, 0x10001, v99
	v_pk_fma_f16 v73, v2, v72, v0
	v_pk_fma_f16 v72, v3, v72, v1
	ds_load_b128 v[0:3], v78 offset:26464
	s_wait_dscnt 0x0
	v_lshrrev_b32_e32 v74, 16, v0
	v_lshrrev_b32_e32 v75, 16, v1
	;; [unrolled: 1-line block ×4, first 2 shown]
	v_and_b32_e32 v92, 0xffff, v0
	v_and_b32_e32 v93, 0xffff, v1
	;; [unrolled: 1-line block ×4, first 2 shown]
	ds_load_b128 v[0:3], v78 offset:26480
	v_mul_u32_u24_e32 v92, 0x10001, v92
	s_wait_dscnt 0x0
	v_lshrrev_b32_e32 v96, 16, v0
	v_lshrrev_b32_e32 v97, 16, v1
	;; [unrolled: 1-line block ×4, first 2 shown]
	v_and_b32_e32 v100, 0xffff, v0
	v_and_b32_e32 v101, 0xffff, v1
	;; [unrolled: 1-line block ×4, first 2 shown]
	ds_load_2addr_b64 v[0:3], v55 offset0:192 offset1:224
	s_wait_dscnt 0x0
	v_pk_fma_f16 v55, v0, v92, v56
	v_pk_fma_f16 v56, v1, v92, v57
	v_mul_u32_u24_e32 v57, 0x10001, v74
	s_delay_alu instid0(VALU_DEP_1) | instskip(SKIP_2) | instid1(VALU_DEP_1)
	v_pk_fma_f16 v60, v0, v57, v60
	v_pk_fma_f16 v4, v1, v57, v4
	v_mul_u32_u24_e32 v57, 0x10001, v93
	v_pk_fma_f16 v61, v0, v57, v61
	v_pk_fma_f16 v57, v1, v57, v59
	v_mul_u32_u24_e32 v59, 0x10001, v75
	s_delay_alu instid0(VALU_DEP_1) | instskip(SKIP_2) | instid1(VALU_DEP_1)
	v_pk_fma_f16 v63, v0, v59, v63
	v_pk_fma_f16 v5, v1, v59, v5
	v_mul_u32_u24_e32 v59, 0x10001, v94
	;; [unrolled: 7-line block ×7, first 2 shown]
	v_pk_fma_f16 v67, v2, v69, v67
	v_pk_fma_f16 v68, v3, v69, v68
	v_mul_u32_u24_e32 v69, 0x10001, v99
	s_delay_alu instid0(VALU_DEP_1)
	v_pk_fma_f16 v72, v2, v69, v0
	v_pk_fma_f16 v69, v3, v69, v1
	ds_load_b128 v[0:3], v78 offset:26496
	s_wait_dscnt 0x0
	v_lshrrev_b32_e32 v73, 16, v0
	v_lshrrev_b32_e32 v74, 16, v1
	v_lshrrev_b32_e32 v75, 16, v2
	v_lshrrev_b32_e32 v90, 16, v3
	v_and_b32_e32 v91, 0xffff, v0
	v_and_b32_e32 v92, 0xffff, v1
	;; [unrolled: 1-line block ×4, first 2 shown]
	ds_load_b128 v[0:3], v78 offset:26512
	v_mul_u32_u24_e32 v73, 0x10001, v73
	v_mul_u32_u24_e32 v91, 0x10001, v91
	s_wait_dscnt 0x0
	v_lshrrev_b32_e32 v95, 16, v0
	v_lshrrev_b32_e32 v96, 16, v1
	;; [unrolled: 1-line block ×4, first 2 shown]
	v_and_b32_e32 v99, 0xffff, v0
	v_and_b32_e32 v100, 0xffff, v1
	;; [unrolled: 1-line block ×4, first 2 shown]
	ds_load_2addr_b64 v[0:3], v21 offset1:32
	s_wait_dscnt 0x0
	v_pk_fma_f16 v60, v0, v73, v60
	v_pk_fma_f16 v4, v1, v73, v4
	v_mul_u32_u24_e32 v73, 0x10001, v92
	v_pk_fma_f16 v55, v0, v91, v55
	v_pk_fma_f16 v56, v1, v91, v56
	s_delay_alu instid0(VALU_DEP_3) | instskip(SKIP_2) | instid1(VALU_DEP_1)
	v_pk_fma_f16 v61, v0, v73, v61
	v_pk_fma_f16 v57, v1, v73, v57
	v_mul_u32_u24_e32 v73, 0x10001, v74
	v_pk_fma_f16 v63, v0, v73, v63
	v_pk_fma_f16 v5, v1, v73, v5
	v_mul_u32_u24_e32 v73, 0x10001, v93
	s_delay_alu instid0(VALU_DEP_1) | instskip(SKIP_2) | instid1(VALU_DEP_1)
	v_pk_fma_f16 v64, v0, v73, v64
	v_pk_fma_f16 v59, v1, v73, v59
	v_mul_u32_u24_e32 v73, 0x10001, v75
	v_pk_fma_f16 v66, v0, v73, v66
	v_pk_fma_f16 v6, v1, v73, v6
	v_mul_u32_u24_e32 v73, 0x10001, v94
	s_delay_alu instid0(VALU_DEP_1) | instskip(SKIP_2) | instid1(VALU_DEP_1)
	v_pk_fma_f16 v67, v0, v73, v67
	v_pk_fma_f16 v68, v1, v73, v68
	v_mul_u32_u24_e32 v73, 0x10001, v90
	v_pk_fma_f16 v1, v1, v73, v69
	v_mul_u32_u24_e32 v69, 0x10001, v99
	v_pk_fma_f16 v0, v0, v73, v72
	s_delay_alu instid0(VALU_DEP_2) | instskip(SKIP_2) | instid1(VALU_DEP_1)
	v_pk_fma_f16 v55, v2, v69, v55
	v_pk_fma_f16 v56, v3, v69, v56
	v_mul_u32_u24_e32 v69, 0x10001, v95
	v_pk_fma_f16 v60, v2, v69, v60
	v_pk_fma_f16 v4, v3, v69, v4
	v_mul_u32_u24_e32 v69, 0x10001, v100
	s_delay_alu instid0(VALU_DEP_1) | instskip(SKIP_2) | instid1(VALU_DEP_1)
	v_pk_fma_f16 v61, v2, v69, v61
	v_pk_fma_f16 v57, v3, v69, v57
	v_mul_u32_u24_e32 v69, 0x10001, v96
	v_pk_fma_f16 v63, v2, v69, v63
	v_pk_fma_f16 v5, v3, v69, v5
	v_mul_u32_u24_e32 v69, 0x10001, v101
	s_delay_alu instid0(VALU_DEP_1) | instskip(SKIP_2) | instid1(VALU_DEP_1)
	;; [unrolled: 7-line block ×3, first 2 shown]
	v_pk_fma_f16 v67, v2, v69, v67
	v_pk_fma_f16 v68, v3, v69, v68
	v_mul_u32_u24_e32 v69, 0x10001, v98
	v_pk_fma_f16 v72, v2, v69, v0
	v_pk_fma_f16 v69, v3, v69, v1
	ds_load_b128 v[0:3], v78 offset:26528
	s_wait_dscnt 0x0
	v_lshrrev_b32_e32 v73, 16, v0
	v_lshrrev_b32_e32 v74, 16, v1
	v_lshrrev_b32_e32 v75, 16, v2
	v_lshrrev_b32_e32 v90, 16, v3
	v_and_b32_e32 v91, 0xffff, v0
	v_and_b32_e32 v92, 0xffff, v1
	;; [unrolled: 1-line block ×4, first 2 shown]
	ds_load_b128 v[0:3], v78 offset:26544
	v_mul_u32_u24_e32 v73, 0x10001, v73
	v_mul_u32_u24_e32 v91, 0x10001, v91
	s_wait_dscnt 0x0
	v_lshrrev_b32_e32 v95, 16, v0
	v_lshrrev_b32_e32 v96, 16, v1
	;; [unrolled: 1-line block ×4, first 2 shown]
	v_and_b32_e32 v99, 0xffff, v0
	v_and_b32_e32 v100, 0xffff, v1
	;; [unrolled: 1-line block ×4, first 2 shown]
	ds_load_2addr_b64 v[0:3], v21 offset0:64 offset1:96
	s_wait_dscnt 0x0
	v_pk_fma_f16 v60, v0, v73, v60
	v_pk_fma_f16 v4, v1, v73, v4
	v_mul_u32_u24_e32 v73, 0x10001, v92
	v_pk_fma_f16 v55, v0, v91, v55
	v_pk_fma_f16 v56, v1, v91, v56
	s_delay_alu instid0(VALU_DEP_3) | instskip(SKIP_2) | instid1(VALU_DEP_1)
	v_pk_fma_f16 v61, v0, v73, v61
	v_pk_fma_f16 v57, v1, v73, v57
	v_mul_u32_u24_e32 v73, 0x10001, v74
	v_pk_fma_f16 v63, v0, v73, v63
	v_pk_fma_f16 v5, v1, v73, v5
	v_mul_u32_u24_e32 v73, 0x10001, v93
	s_delay_alu instid0(VALU_DEP_1) | instskip(SKIP_2) | instid1(VALU_DEP_1)
	v_pk_fma_f16 v64, v0, v73, v64
	v_pk_fma_f16 v59, v1, v73, v59
	v_mul_u32_u24_e32 v73, 0x10001, v75
	v_pk_fma_f16 v66, v0, v73, v66
	v_pk_fma_f16 v6, v1, v73, v6
	v_mul_u32_u24_e32 v73, 0x10001, v94
	s_delay_alu instid0(VALU_DEP_1) | instskip(SKIP_2) | instid1(VALU_DEP_1)
	v_pk_fma_f16 v67, v0, v73, v67
	v_pk_fma_f16 v68, v1, v73, v68
	v_mul_u32_u24_e32 v73, 0x10001, v90
	v_pk_fma_f16 v1, v1, v73, v69
	v_mul_u32_u24_e32 v69, 0x10001, v99
	v_pk_fma_f16 v0, v0, v73, v72
	s_delay_alu instid0(VALU_DEP_2) | instskip(SKIP_2) | instid1(VALU_DEP_1)
	v_pk_fma_f16 v55, v2, v69, v55
	v_pk_fma_f16 v56, v3, v69, v56
	v_mul_u32_u24_e32 v69, 0x10001, v95
	v_pk_fma_f16 v60, v2, v69, v60
	v_pk_fma_f16 v4, v3, v69, v4
	v_mul_u32_u24_e32 v69, 0x10001, v100
	s_delay_alu instid0(VALU_DEP_1) | instskip(SKIP_2) | instid1(VALU_DEP_1)
	v_pk_fma_f16 v61, v2, v69, v61
	v_pk_fma_f16 v57, v3, v69, v57
	v_mul_u32_u24_e32 v69, 0x10001, v96
	v_pk_fma_f16 v63, v2, v69, v63
	v_pk_fma_f16 v5, v3, v69, v5
	v_mul_u32_u24_e32 v69, 0x10001, v101
	s_delay_alu instid0(VALU_DEP_1) | instskip(SKIP_2) | instid1(VALU_DEP_1)
	v_pk_fma_f16 v64, v2, v69, v64
	v_pk_fma_f16 v59, v3, v69, v59
	v_mul_u32_u24_e32 v69, 0x10001, v97
	v_pk_fma_f16 v66, v2, v69, v66
	v_pk_fma_f16 v6, v3, v69, v6
	v_mul_u32_u24_e32 v69, 0x10001, v102
	s_delay_alu instid0(VALU_DEP_1) | instskip(SKIP_2) | instid1(VALU_DEP_1)
	v_pk_fma_f16 v67, v2, v69, v67
	v_pk_fma_f16 v68, v3, v69, v68
	v_mul_u32_u24_e32 v69, 0x10001, v98
	v_pk_fma_f16 v72, v2, v69, v0
	v_pk_fma_f16 v69, v3, v69, v1
	ds_load_b128 v[0:3], v78 offset:26560
	s_wait_dscnt 0x0
	v_lshrrev_b32_e32 v73, 16, v0
	v_lshrrev_b32_e32 v74, 16, v1
	;; [unrolled: 1-line block ×4, first 2 shown]
	v_and_b32_e32 v91, 0xffff, v0
	v_and_b32_e32 v92, 0xffff, v1
	v_and_b32_e32 v93, 0xffff, v2
	v_and_b32_e32 v94, 0xffff, v3
	ds_load_b128 v[0:3], v78 offset:26576
	v_mul_u32_u24_e32 v73, 0x10001, v73
	v_mul_u32_u24_e32 v91, 0x10001, v91
	s_wait_dscnt 0x0
	v_lshrrev_b32_e32 v95, 16, v0
	v_lshrrev_b32_e32 v96, 16, v1
	v_lshrrev_b32_e32 v97, 16, v2
	v_lshrrev_b32_e32 v98, 16, v3
	v_and_b32_e32 v99, 0xffff, v0
	v_and_b32_e32 v100, 0xffff, v1
	;; [unrolled: 1-line block ×4, first 2 shown]
	ds_load_2addr_b64 v[0:3], v21 offset0:128 offset1:160
	s_wait_dscnt 0x0
	v_pk_fma_f16 v60, v0, v73, v60
	v_pk_fma_f16 v4, v1, v73, v4
	v_mul_u32_u24_e32 v73, 0x10001, v92
	v_pk_fma_f16 v55, v0, v91, v55
	v_pk_fma_f16 v56, v1, v91, v56
	s_delay_alu instid0(VALU_DEP_3) | instskip(SKIP_2) | instid1(VALU_DEP_1)
	v_pk_fma_f16 v61, v0, v73, v61
	v_pk_fma_f16 v57, v1, v73, v57
	v_mul_u32_u24_e32 v73, 0x10001, v74
	v_pk_fma_f16 v63, v0, v73, v63
	v_pk_fma_f16 v5, v1, v73, v5
	v_mul_u32_u24_e32 v73, 0x10001, v93
	s_delay_alu instid0(VALU_DEP_1) | instskip(SKIP_2) | instid1(VALU_DEP_1)
	v_pk_fma_f16 v64, v0, v73, v64
	v_pk_fma_f16 v59, v1, v73, v59
	v_mul_u32_u24_e32 v73, 0x10001, v75
	v_pk_fma_f16 v66, v0, v73, v66
	v_pk_fma_f16 v6, v1, v73, v6
	v_mul_u32_u24_e32 v73, 0x10001, v94
	s_delay_alu instid0(VALU_DEP_1) | instskip(SKIP_2) | instid1(VALU_DEP_1)
	v_pk_fma_f16 v67, v0, v73, v67
	v_pk_fma_f16 v68, v1, v73, v68
	v_mul_u32_u24_e32 v73, 0x10001, v90
	v_pk_fma_f16 v1, v1, v73, v69
	v_mul_u32_u24_e32 v69, 0x10001, v99
	v_pk_fma_f16 v0, v0, v73, v72
	s_delay_alu instid0(VALU_DEP_2) | instskip(SKIP_2) | instid1(VALU_DEP_1)
	v_pk_fma_f16 v55, v2, v69, v55
	v_pk_fma_f16 v56, v3, v69, v56
	v_mul_u32_u24_e32 v69, 0x10001, v95
	v_pk_fma_f16 v60, v2, v69, v60
	v_pk_fma_f16 v4, v3, v69, v4
	v_mul_u32_u24_e32 v69, 0x10001, v100
	s_delay_alu instid0(VALU_DEP_1) | instskip(SKIP_2) | instid1(VALU_DEP_1)
	v_pk_fma_f16 v61, v2, v69, v61
	v_pk_fma_f16 v57, v3, v69, v57
	v_mul_u32_u24_e32 v69, 0x10001, v96
	v_pk_fma_f16 v63, v2, v69, v63
	v_pk_fma_f16 v5, v3, v69, v5
	v_mul_u32_u24_e32 v69, 0x10001, v101
	s_delay_alu instid0(VALU_DEP_1) | instskip(SKIP_2) | instid1(VALU_DEP_1)
	;; [unrolled: 7-line block ×3, first 2 shown]
	v_pk_fma_f16 v67, v2, v69, v67
	v_pk_fma_f16 v68, v3, v69, v68
	v_mul_u32_u24_e32 v69, 0x10001, v98
	v_pk_fma_f16 v72, v2, v69, v0
	v_pk_fma_f16 v69, v3, v69, v1
	ds_load_b128 v[0:3], v78 offset:26592
	s_wait_dscnt 0x0
	v_lshrrev_b32_e32 v73, 16, v0
	v_lshrrev_b32_e32 v74, 16, v1
	;; [unrolled: 1-line block ×4, first 2 shown]
	v_and_b32_e32 v91, 0xffff, v0
	v_and_b32_e32 v92, 0xffff, v1
	;; [unrolled: 1-line block ×4, first 2 shown]
	ds_load_b128 v[0:3], v78 offset:26608
	v_mul_u32_u24_e32 v91, 0x10001, v91
	s_wait_dscnt 0x0
	v_lshrrev_b32_e32 v78, 16, v0
	v_lshrrev_b32_e32 v95, 16, v1
	;; [unrolled: 1-line block ×4, first 2 shown]
	v_and_b32_e32 v98, 0xffff, v0
	v_and_b32_e32 v99, 0xffff, v1
	;; [unrolled: 1-line block ×4, first 2 shown]
	ds_load_2addr_b64 v[0:3], v21 offset0:192 offset1:224
	s_wait_loadcnt_dscnt 0x0
	s_barrier_signal -1
	s_barrier_wait -1
	global_inv scope:SCOPE_SE
	v_pk_fma_f16 v21, v0, v91, v55
	v_pk_fma_f16 v55, v1, v91, v56
	v_mul_u32_u24_e32 v56, 0x10001, v73
	s_delay_alu instid0(VALU_DEP_1) | instskip(SKIP_2) | instid1(VALU_DEP_1)
	v_pk_fma_f16 v60, v0, v56, v60
	v_pk_fma_f16 v4, v1, v56, v4
	v_mul_u32_u24_e32 v56, 0x10001, v92
	v_pk_fma_f16 v61, v0, v56, v61
	v_pk_fma_f16 v56, v1, v56, v57
	v_mul_u32_u24_e32 v57, 0x10001, v74
	s_delay_alu instid0(VALU_DEP_1) | instskip(SKIP_2) | instid1(VALU_DEP_1)
	v_pk_fma_f16 v63, v0, v57, v63
	v_pk_fma_f16 v5, v1, v57, v5
	v_mul_u32_u24_e32 v57, 0x10001, v93
	v_pk_fma_f16 v64, v0, v57, v64
	v_pk_fma_f16 v57, v1, v57, v59
	v_mul_u32_u24_e32 v59, 0x10001, v75
	s_delay_alu instid0(VALU_DEP_1) | instskip(SKIP_3) | instid1(VALU_DEP_2)
	v_pk_fma_f16 v91, v0, v59, v66
	v_pk_fma_f16 v6, v1, v59, v6
	v_mul_u32_u24_e32 v59, 0x10001, v94
	v_mul_u32_u24_e32 v66, 0x10001, v90
	v_pk_fma_f16 v92, v0, v59, v67
	v_pk_fma_f16 v59, v1, v59, v68
	s_delay_alu instid0(VALU_DEP_3) | instskip(SKIP_2) | instid1(VALU_DEP_1)
	v_pk_fma_f16 v0, v0, v66, v72
	v_pk_fma_f16 v1, v1, v66, v69
	v_mul_u32_u24_e32 v66, 0x10001, v98
	v_pk_fma_f16 v74, v2, v66, v21
	v_mul_u32_u24_e32 v21, 0x10001, v78
	v_pk_fma_f16 v75, v3, v66, v55
	s_delay_alu instid0(VALU_DEP_2) | instskip(SKIP_2) | instid1(VALU_DEP_2)
	v_pk_fma_f16 v73, v3, v21, v4
	v_mul_u32_u24_e32 v4, 0x10001, v99
	v_pk_fma_f16 v72, v2, v21, v60
	v_pk_fma_f16 v69, v2, v4, v61
	;; [unrolled: 1-line block ×3, first 2 shown]
	v_mul_u32_u24_e32 v4, 0x10001, v95
	s_delay_alu instid0(VALU_DEP_1) | instskip(SKIP_3) | instid1(VALU_DEP_2)
	v_pk_fma_f16 v66, v2, v4, v63
	v_pk_fma_f16 v67, v3, v4, v5
	v_mul_u32_u24_e32 v4, 0x10001, v100
	v_add_f32_e32 v5, v58, v65
	v_pk_fma_f16 v63, v2, v4, v64
	v_pk_fma_f16 v64, v3, v4, v57
	v_mul_u32_u24_e32 v4, 0x10001, v96
	s_delay_alu instid0(VALU_DEP_4) | instskip(NEXT) | instid1(VALU_DEP_2)
	v_fmac_f32_e32 v5, v47, v88
	v_pk_fma_f16 v60, v2, v4, v91
	v_pk_fma_f16 v61, v3, v4, v6
	v_mul_u32_u24_e32 v4, 0x10001, v101
	s_delay_alu instid0(VALU_DEP_4) | instskip(NEXT) | instid1(VALU_DEP_2)
	v_dual_add_f32 v6, v54, v62 :: v_dual_mov_b32 v47, v5
	v_pk_fma_f16 v57, v2, v4, v92
	v_pk_fma_f16 v59, v3, v4, v59
	v_mul_u32_u24_e32 v4, 0x10001, v97
	s_delay_alu instid0(VALU_DEP_4) | instskip(NEXT) | instid1(VALU_DEP_2)
	v_fmac_f32_e32 v6, v43, v89
	v_pk_fma_f16 v56, v2, v4, v0
	v_pk_fma_f16 v55, v3, v4, v1
	v_dual_add_f32 v0, v53, v84 :: v_dual_add_f32 v1, v52, v83
	v_dual_add_f32 v2, v51, v77 :: v_dual_add_f32 v3, v17, v70
	v_add_f32_e32 v4, v16, v71
	s_delay_alu instid0(VALU_DEP_3) | instskip(NEXT) | instid1(VALU_DEP_3)
	v_dual_fmac_f32 v0, v23, v48 :: v_dual_fmac_f32 v1, v22, v49
	v_dual_fmac_f32 v2, v42, v85 :: v_dual_fmac_f32 v3, v45, v86
	s_delay_alu instid0(VALU_DEP_3) | instskip(NEXT) | instid1(VALU_DEP_3)
	v_fmac_f32_e32 v4, v46, v87
	v_dual_mov_b32 v43, v6 :: v_dual_mov_b32 v22, v1
	s_delay_alu instid0(VALU_DEP_3) | instskip(NEXT) | instid1(VALU_DEP_3)
	v_dual_mov_b32 v42, v2 :: v_dual_mov_b32 v45, v3
	v_dual_mov_b32 v46, v4 :: v_dual_mov_b32 v23, v0
	;; [unrolled: 1-line block ×6, first 2 shown]
.LBB86_264:
	v_cmp_lt_i32_e32 vcc_lo, v82, v18
	s_cmp_eq_u64 s[16:17], 0
	s_cselect_b32 s2, -1, 0
	s_cmp_lg_u32 s18, 0
	s_wait_alu 0xfffd
	v_cndmask_b32_e32 v8, v20, v82, vcc_lo
	v_cmp_lt_i32_e32 vcc_lo, v81, v18
	s_cselect_b32 s3, -1, 0
	s_wait_alu 0xfffe
	s_or_b32 s2, s3, s2
	v_lshlrev_b32_e32 v8, 2, v8
	ds_bpermute_b32 v11, v8, v42
	s_wait_dscnt 0x0
	v_add_f32_e32 v11, v42, v11
	ds_bpermute_b32 v9, v8, v23
	ds_bpermute_b32 v10, v8, v22
	;; [unrolled: 1-line block ×5, first 2 shown]
	s_wait_alu 0xfffd
	v_cndmask_b32_e32 v16, v20, v81, vcc_lo
	ds_bpermute_b32 v14, v8, v46
	ds_bpermute_b32 v8, v8, v43
	v_cmp_lt_i32_e32 vcc_lo, v80, v18
	s_wait_dscnt 0x5
	v_dual_add_f32 v9, v23, v9 :: v_dual_add_f32 v10, v22, v10
	s_wait_dscnt 0x4
	v_add_f32_e32 v13, v45, v13
	s_wait_dscnt 0x3
	v_dual_add_f32 v15, v47, v15 :: v_dual_lshlrev_b32 v16, 2, v16
	s_wait_alu 0xfffd
	v_cndmask_b32_e32 v45, v20, v80, vcc_lo
	s_wait_dscnt 0x2
	v_add_f32_e32 v12, v44, v12
	v_cmp_lt_i32_e32 vcc_lo, v79, v18
	ds_bpermute_b32 v17, v16, v9
	ds_bpermute_b32 v21, v16, v10
	;; [unrolled: 1-line block ×4, first 2 shown]
	s_wait_dscnt 0x5
	v_add_f32_e32 v14, v46, v14
	s_wait_dscnt 0x4
	v_dual_add_f32 v8, v43, v8 :: v_dual_lshlrev_b32 v45, 2, v45
	ds_bpermute_b32 v23, v16, v12
	ds_bpermute_b32 v44, v16, v15
	s_wait_dscnt 0x5
	v_add_f32_e32 v9, v9, v17
	ds_bpermute_b32 v43, v16, v14
	s_wait_dscnt 0x4
	v_dual_add_f32 v10, v10, v21 :: v_dual_add_f32 v11, v11, v22
	s_wait_dscnt 0x3
	v_add_f32_e32 v13, v13, v42
	ds_bpermute_b32 v16, v16, v8
	s_wait_dscnt 0x2
	v_dual_add_f32 v12, v12, v23 :: v_dual_add_f32 v15, v15, v44
	ds_bpermute_b32 v21, v45, v11
	ds_bpermute_b32 v17, v45, v10
	;; [unrolled: 1-line block ×4, first 2 shown]
	s_wait_dscnt 0x5
	v_add_f32_e32 v14, v14, v43
	ds_bpermute_b32 v43, v45, v15
	s_wait_dscnt 0x5
	v_add_f32_e32 v8, v8, v16
	ds_bpermute_b32 v16, v45, v9
	ds_bpermute_b32 v42, v45, v14
	s_wait_dscnt 0x6
	v_add_f32_e32 v11, v11, v21
	ds_bpermute_b32 v44, v45, v8
	s_wait_dscnt 0x6
	s_wait_alu 0xfffd
	v_dual_cndmask_b32 v45, v20, v79 :: v_dual_add_f32 v10, v10, v17
	v_cmp_lt_i32_e32 vcc_lo, v19, v18
	s_wait_dscnt 0x4
	s_delay_alu instid0(VALU_DEP_2)
	v_dual_add_f32 v12, v12, v22 :: v_dual_lshlrev_b32 v45, 2, v45
	v_add_f32_e32 v13, v13, v23
	ds_bpermute_b32 v17, v45, v10
	s_wait_dscnt 0x4
	v_add_f32_e32 v15, v15, v43
	ds_bpermute_b32 v21, v45, v11
	ds_bpermute_b32 v22, v45, v12
	s_wait_dscnt 0x4
	v_dual_add_f32 v9, v9, v16 :: v_dual_add_f32 v14, v14, v42
	ds_bpermute_b32 v23, v45, v13
	s_wait_dscnt 0x4
	v_add_f32_e32 v8, v8, v44
	ds_bpermute_b32 v16, v45, v9
	ds_bpermute_b32 v43, v45, v15
	s_wait_alu 0xfffd
	v_cndmask_b32_e32 v18, v20, v19, vcc_lo
	ds_bpermute_b32 v42, v45, v14
	ds_bpermute_b32 v44, v45, v8
	s_wait_alu 0xfffe
	s_and_b32 vcc_lo, exec_lo, s2
	s_wait_dscnt 0x7
	v_add_f32_e32 v10, v10, v17
	s_wait_dscnt 0x5
	v_dual_add_f32 v11, v11, v21 :: v_dual_add_f32 v12, v12, v22
	s_wait_dscnt 0x4
	v_add_f32_e32 v13, v13, v23
	s_wait_dscnt 0x3
	v_dual_add_f32 v9, v9, v16 :: v_dual_lshlrev_b32 v18, 2, v18
	s_wait_dscnt 0x2
	v_add_f32_e32 v15, v15, v43
	ds_bpermute_b32 v17, v18, v10
	s_wait_dscnt 0x1
	v_add_f32_e32 v16, v8, v44
	ds_bpermute_b32 v8, v18, v9
	ds_bpermute_b32 v19, v18, v11
	ds_bpermute_b32 v20, v18, v12
	v_add_f32_e32 v14, v14, v42
	ds_bpermute_b32 v21, v18, v13
	ds_bpermute_b32 v23, v18, v15
	s_wait_dscnt 0x4
	v_dual_add_f32 v8, v9, v8 :: v_dual_add_f32 v9, v10, v17
	s_wait_dscnt 0x2
	v_dual_add_f32 v10, v11, v19 :: v_dual_add_f32 v11, v12, v20
	ds_bpermute_b32 v22, v18, v14
	ds_bpermute_b32 v18, v18, v16
	s_wait_dscnt 0x1
	v_dual_add_f32 v12, v13, v21 :: v_dual_add_f32 v13, v14, v22
	s_wait_dscnt 0x0
	v_dual_add_f32 v14, v15, v23 :: v_dual_add_f32 v15, v16, v18
	s_wait_alu 0xfffe
	s_cbranch_vccnz .LBB86_266
; %bb.265:
	v_dual_mov_b32 v16, 0 :: v_dual_max_num_f32 v17, v0, v0
	s_lshl_b64 s[2:3], s[34:35], 2
	v_dual_max_num_f32 v18, v1, v1 :: v_dual_max_num_f32 v19, v2, v2
	s_wait_alu 0xfffe
	s_add_nc_u64 s[2:3], s[16:17], s[2:3]
	v_dual_max_num_f32 v22, v4, v4 :: v_dual_max_num_f32 v23, v5, v5
	global_load_b32 v16, v16, s[2:3]
	v_max_num_f32_e32 v20, v3, v3
	v_dual_max_num_f32 v48, v6, v6 :: v_dual_max_num_f32 v49, v7, v7
	s_wait_loadcnt 0x0
	v_max_num_f32_e32 v21, v16, v16
	s_delay_alu instid0(VALU_DEP_1) | instskip(NEXT) | instid1(VALU_DEP_1)
	v_max_num_f32_e32 v44, v19, v21
	v_dual_max_num_f32 v42, v17, v21 :: v_dual_sub_f32 v19, v16, v44
	s_delay_alu instid0(VALU_DEP_1)
	v_dual_max_num_f32 v43, v18, v21 :: v_dual_sub_f32 v0, v0, v42
	v_max_num_f32_e32 v46, v22, v21
	v_max_num_f32_e32 v47, v23, v21
	v_sub_f32_e32 v17, v16, v42
	v_dual_max_num_f32 v45, v20, v21 :: v_dual_sub_f32 v2, v2, v44
	v_sub_f32_e32 v1, v1, v43
	v_dual_max_num_f32 v49, v49, v21 :: v_dual_sub_f32 v4, v4, v46
	;; [unrolled: 2-line block ×3, first 2 shown]
	v_dual_sub_f32 v3, v3, v45 :: v_dual_sub_f32 v22, v16, v47
	s_delay_alu instid0(VALU_DEP_3) | instskip(NEXT) | instid1(VALU_DEP_3)
	v_dual_sub_f32 v20, v16, v45 :: v_dual_mul_f32 v53, 0x3fb8aa3b, v18
	v_dual_sub_f32 v21, v16, v46 :: v_dual_sub_f32 v6, v6, v48
	v_dual_sub_f32 v23, v16, v48 :: v_dual_mul_f32 v52, 0x3fb8aa3b, v1
	v_sub_f32_e32 v7, v7, v49
	s_delay_alu instid0(VALU_DEP_4) | instskip(SKIP_4) | instid1(VALU_DEP_4)
	v_dual_sub_f32 v50, v16, v49 :: v_dual_mul_f32 v65, 0x3fb8aa3b, v20
	v_dual_mul_f32 v16, 0x3fb8aa3b, v0 :: v_dual_mul_f32 v51, 0x3fb8aa3b, v17
	v_mul_f32_e32 v54, 0x3fb8aa3b, v2
	v_dual_mul_f32 v58, 0x3fb8aa3b, v19 :: v_dual_mul_f32 v71, 0x3fb8aa3b, v21
	v_dual_mul_f32 v70, 0x3fb8aa3b, v4 :: v_dual_mul_f32 v79, 0x3fb8aa3b, v23
	v_fma_f32 v82, 0x3fb8aa3b, v0, -v16
	v_rndne_f32_e32 v83, v16
	v_fma_f32 v84, 0x3fb8aa3b, v17, -v51
	v_rndne_f32_e32 v85, v51
	;; [unrolled: 2-line block ×3, first 2 shown]
	v_rndne_f32_e32 v97, v65
	v_rndne_f32_e32 v101, v71
	;; [unrolled: 1-line block ×3, first 2 shown]
	v_fmac_f32_e32 v82, 0x32a5705f, v0
	v_sub_f32_e32 v16, v16, v83
	v_dual_mul_f32 v76, 0x3fb8aa3b, v5 :: v_dual_mul_f32 v81, 0x3fb8aa3b, v50
	v_dual_mul_f32 v78, 0x3fb8aa3b, v6 :: v_dual_sub_f32 v51, v51, v85
	v_dual_mul_f32 v80, 0x3fb8aa3b, v7 :: v_dual_sub_f32 v53, v53, v89
	v_fma_f32 v86, 0x3fb8aa3b, v1, -v52
	v_fma_f32 v96, 0x3fb8aa3b, v20, -v65
	;; [unrolled: 1-line block ×4, first 2 shown]
	v_dual_fmac_f32 v88, 0x32a5705f, v18 :: v_dual_sub_f32 v79, v79, v109
	v_fmac_f32_e32 v84, 0x32a5705f, v17
	v_sub_f32_e32 v65, v65, v97
	v_dual_sub_f32 v71, v71, v101 :: v_dual_add_f32 v16, v16, v82
	v_dual_mul_f32 v62, 0x3fb8aa3b, v3 :: v_dual_mul_f32 v77, 0x3fb8aa3b, v22
	v_fma_f32 v90, 0x3fb8aa3b, v2, -v54
	v_fma_f32 v112, 0x3fb8aa3b, v50, -v81
	v_rndne_f32_e32 v113, v81
	v_dual_add_f32 v53, v53, v88 :: v_dual_fmac_f32 v86, 0x32a5705f, v1
	v_add_f32_e32 v51, v51, v84
	v_exp_f32_e32 v16, v16
	v_rndne_f32_e32 v87, v52
	v_rndne_f32_e32 v95, v62
	v_cvt_i32_f32_e32 v83, v83
	v_dual_fmac_f32 v90, 0x32a5705f, v2 :: v_dual_sub_f32 v81, v81, v113
	v_fmac_f32_e32 v112, 0x32a5705f, v50
	v_exp_f32_e32 v51, v51
	v_fma_f32 v94, 0x3fb8aa3b, v3, -v62
	v_rndne_f32_e32 v105, v77
	v_cvt_i32_f32_e32 v85, v85
	v_sub_f32_e32 v52, v52, v87
	v_dual_sub_f32 v62, v62, v95 :: v_dual_add_f32 v81, v81, v112
	v_ldexp_f32 v16, v16, v83
	v_cmp_ngt_f32_e32 vcc_lo, 0xc2ce8ed0, v0
	v_rndne_f32_e32 v91, v54
	v_fma_f32 v104, 0x3fb8aa3b, v22, -v77
	v_dual_sub_f32 v77, v77, v105 :: v_dual_add_f32 v52, v52, v86
	v_exp_f32_e32 v81, v81
	v_ldexp_f32 v51, v51, v85
	s_wait_alu 0xfffd
	v_cndmask_b32_e32 v16, 0, v16, vcc_lo
	v_cmp_ngt_f32_e32 vcc_lo, 0xc2ce8ed0, v17
	v_fma_f32 v92, 0x3fb8aa3b, v19, -v58
	v_rndne_f32_e32 v93, v58
	v_fmac_f32_e32 v96, 0x32a5705f, v20
	v_cvt_i32_f32_e32 v113, v113
	v_exp_f32_e32 v52, v52
	s_wait_alu 0xfffd
	v_cndmask_b32_e32 v51, 0, v51, vcc_lo
	v_dual_sub_f32 v54, v54, v91 :: v_dual_add_f32 v65, v65, v96
	v_cvt_i32_f32_e32 v87, v87
	v_fmac_f32_e32 v100, 0x32a5705f, v21
	v_fmac_f32_e32 v92, 0x32a5705f, v19
	s_delay_alu instid0(VALU_DEP_4)
	v_add_f32_e32 v54, v54, v90
	v_exp_f32_e32 v53, v53
	v_ldexp_f32 v81, v81, v113
	v_fmac_f32_e32 v104, 0x32a5705f, v22
	v_sub_f32_e32 v58, v58, v93
	v_cvt_i32_f32_e32 v89, v89
	v_fmac_f32_e32 v108, 0x32a5705f, v23
	v_dual_fmac_f32 v94, 0x32a5705f, v3 :: v_dual_add_f32 v71, v71, v100
	v_add_f32_e32 v77, v77, v104
	v_add_f32_e32 v58, v58, v92
	v_exp_f32_e32 v54, v54
	v_ldexp_f32 v52, v52, v87
	v_cmp_ngt_f32_e32 vcc_lo, 0xc2ce8ed0, v1
	v_fma_f32 v98, 0x3fb8aa3b, v4, -v70
	v_cvt_i32_f32_e32 v91, v91
	v_dual_add_f32 v79, v79, v108 :: v_dual_add_f32 v62, v62, v94
	v_exp_f32_e32 v58, v58
	v_ldexp_f32 v53, v53, v89
	s_wait_alu 0xfffd
	v_cndmask_b32_e32 v52, 0, v52, vcc_lo
	v_cmp_ngt_f32_e32 vcc_lo, 0xc2ce8ed0, v18
	v_cvt_i32_f32_e32 v93, v93
	v_fmac_f32_e32 v98, 0x32a5705f, v4
	v_exp_f32_e32 v62, v62
	v_ldexp_f32 v54, v54, v91
	s_wait_alu 0xfffd
	v_cndmask_b32_e32 v53, 0, v53, vcc_lo
	v_cmp_ngt_f32_e32 vcc_lo, 0xc2ce8ed0, v2
	v_cvt_i32_f32_e32 v95, v95
	v_exp_f32_e32 v65, v65
	v_ldexp_f32 v58, v58, v93
	v_rndne_f32_e32 v99, v70
	s_wait_alu 0xfffd
	v_cndmask_b32_e32 v54, 0, v54, vcc_lo
	v_cmp_ngt_f32_e32 vcc_lo, 0xc2ce8ed0, v19
	v_cvt_i32_f32_e32 v97, v97
	v_ldexp_f32 v62, v62, v95
	v_exp_f32_e32 v77, v77
	v_exp_f32_e32 v79, v79
	s_wait_alu 0xfffd
	v_cndmask_b32_e32 v58, 0, v58, vcc_lo
	v_cmp_ngt_f32_e32 vcc_lo, 0xc2ce8ed0, v3
	v_ldexp_f32 v65, v65, v97
	v_fma_f32 v102, 0x3fb8aa3b, v5, -v76
	v_rndne_f32_e32 v103, v76
	v_cvt_i32_f32_e32 v105, v105
	s_wait_alu 0xfffd
	v_cndmask_b32_e32 v62, 0, v62, vcc_lo
	v_cmp_ngt_f32_e32 vcc_lo, 0xc2ce8ed0, v20
	v_sub_f32_e32 v70, v70, v99
	v_cvt_i32_f32_e32 v109, v109
	v_ldexp_f32 v77, v77, v105
	s_wait_alu 0xfffd
	v_dual_sub_f32 v76, v76, v103 :: v_dual_cndmask_b32 v65, 0, v65
	v_add_f32_e32 v70, v70, v98
	v_ldexp_f32 v79, v79, v109
	v_fmac_f32_e32 v102, 0x32a5705f, v5
	v_fma_f32 v106, 0x3fb8aa3b, v6, -v78
	v_rndne_f32_e32 v107, v78
	v_exp_f32_e32 v70, v70
	v_cvt_i32_f32_e32 v99, v99
	v_add_f32_e32 v76, v76, v102
	v_exp_f32_e32 v71, v71
	v_cvt_i32_f32_e32 v101, v101
	v_fmac_f32_e32 v106, 0x32a5705f, v6
	v_sub_f32_e32 v78, v78, v107
	v_exp_f32_e32 v76, v76
	v_cmp_ngt_f32_e32 vcc_lo, 0xc2ce8ed0, v4
	v_fma_f32 v110, 0x3fb8aa3b, v7, -v80
	v_ldexp_f32 v70, v70, v99
	v_rndne_f32_e32 v111, v80
	v_cvt_i32_f32_e32 v103, v103
	v_add_f32_e32 v78, v78, v106
	v_ldexp_f32 v71, v71, v101
	s_wait_alu 0xfffd
	v_cndmask_b32_e32 v70, 0, v70, vcc_lo
	v_cmp_ngt_f32_e32 vcc_lo, 0xc2ce8ed0, v21
	v_fmac_f32_e32 v110, 0x32a5705f, v7
	v_sub_f32_e32 v80, v80, v111
	v_exp_f32_e32 v78, v78
	v_ldexp_f32 v76, v76, v103
	s_wait_alu 0xfffd
	v_cndmask_b32_e32 v71, 0, v71, vcc_lo
	v_cmp_ngt_f32_e32 vcc_lo, 0xc2ce8ed0, v5
	v_cvt_i32_f32_e32 v107, v107
	v_add_f32_e32 v80, v80, v110
	v_cvt_i32_f32_e32 v111, v111
	s_wait_alu 0xfffd
	v_cndmask_b32_e32 v76, 0, v76, vcc_lo
	v_cmp_ngt_f32_e32 vcc_lo, 0xc2ce8ed0, v22
	v_exp_f32_e32 v80, v80
	v_ldexp_f32 v78, v78, v107
	s_wait_alu 0xfffd
	v_cndmask_b32_e32 v77, 0, v77, vcc_lo
	v_cmp_ngt_f32_e32 vcc_lo, 0xc2ce8ed0, v6
	s_wait_alu 0xfffd
	v_cndmask_b32_e32 v78, 0, v78, vcc_lo
	v_cmp_ngt_f32_e32 vcc_lo, 0xc2ce8ed0, v23
	s_delay_alu instid0(TRANS32_DEP_1)
	v_ldexp_f32 v80, v80, v111
	s_wait_alu 0xfffd
	v_cndmask_b32_e32 v79, 0, v79, vcc_lo
	v_cmp_ngt_f32_e32 vcc_lo, 0xc2ce8ed0, v7
	s_wait_alu 0xfffd
	v_cndmask_b32_e32 v80, 0, v80, vcc_lo
	v_cmp_ngt_f32_e32 vcc_lo, 0xc2ce8ed0, v50
	s_wait_alu 0xfffd
	v_cndmask_b32_e32 v81, 0, v81, vcc_lo
	v_cmp_nlt_f32_e32 vcc_lo, 0x42b17218, v0
	s_wait_alu 0xfffd
	v_cndmask_b32_e32 v0, 0x7f800000, v16, vcc_lo
	v_cmp_nlt_f32_e32 vcc_lo, 0x42b17218, v17
	;; [unrolled: 3-line block ×3, first 2 shown]
	s_delay_alu instid0(VALU_DEP_2)
	v_fmac_f32_e32 v16, v8, v0
	s_wait_alu 0xfffd
	v_cndmask_b32_e32 v1, 0x7f800000, v52, vcc_lo
	v_cmp_nlt_f32_e32 vcc_lo, 0x42b17218, v18
	v_cvt_f16_f32_e32 v0, v0
	s_wait_alu 0xfffd
	v_cndmask_b32_e32 v17, 0x7f800000, v53, vcc_lo
	v_cmp_nlt_f32_e32 vcc_lo, 0x42b17218, v2
	s_delay_alu instid0(VALU_DEP_2)
	v_dual_fmac_f32 v17, v9, v1 :: v_dual_and_b32 v0, 0xffff, v0
	s_wait_alu 0xfffd
	v_cndmask_b32_e32 v2, 0x7f800000, v54, vcc_lo
	v_cmp_nlt_f32_e32 vcc_lo, 0x42b17218, v19
	v_cvt_f16_f32_e32 v1, v1
	v_mul_u32_u24_e32 v0, 0x10001, v0
	s_wait_alu 0xfffd
	v_cndmask_b32_e32 v18, 0x7f800000, v58, vcc_lo
	v_cmp_nlt_f32_e32 vcc_lo, 0x42b17218, v3
	v_and_b32_e32 v1, 0xffff, v1
	v_pk_mul_f16 v74, v74, v0
	v_pk_mul_f16 v75, v75, v0
	v_fmac_f32_e32 v18, v10, v2
	s_wait_alu 0xfffd
	v_cndmask_b32_e32 v3, 0x7f800000, v62, vcc_lo
	v_cmp_nlt_f32_e32 vcc_lo, 0x42b17218, v20
	v_cvt_f16_f32_e32 v2, v2
	v_mul_u32_u24_e32 v1, 0x10001, v1
	s_wait_alu 0xfffd
	v_cndmask_b32_e32 v19, 0x7f800000, v65, vcc_lo
	v_cmp_nlt_f32_e32 vcc_lo, 0x42b17218, v4
	v_and_b32_e32 v2, 0xffff, v2
	v_pk_mul_f16 v72, v72, v1
	v_pk_mul_f16 v73, v73, v1
	s_wait_alu 0xfffd
	v_dual_fmac_f32 v19, v11, v3 :: v_dual_cndmask_b32 v4, 0x7f800000, v70
	v_cmp_nlt_f32_e32 vcc_lo, 0x42b17218, v21
	v_cvt_f16_f32_e32 v3, v3
	v_mul_u32_u24_e32 v2, 0x10001, v2
	s_wait_alu 0xfffd
	v_cndmask_b32_e32 v20, 0x7f800000, v71, vcc_lo
	v_cmp_nlt_f32_e32 vcc_lo, 0x42b17218, v5
	v_and_b32_e32 v3, 0xffff, v3
	v_pk_mul_f16 v69, v69, v2
	v_pk_mul_f16 v68, v68, v2
	v_fmac_f32_e32 v20, v12, v4
	s_wait_alu 0xfffd
	v_cndmask_b32_e32 v5, 0x7f800000, v76, vcc_lo
	v_cmp_nlt_f32_e32 vcc_lo, 0x42b17218, v22
	v_cvt_f16_f32_e32 v4, v4
	v_mul_u32_u24_e32 v3, 0x10001, v3
	s_wait_alu 0xfffd
	v_cndmask_b32_e32 v21, 0x7f800000, v77, vcc_lo
	v_cmp_nlt_f32_e32 vcc_lo, 0x42b17218, v6
	v_and_b32_e32 v4, 0xffff, v4
	v_pk_mul_f16 v66, v66, v3
	v_pk_mul_f16 v67, v67, v3
	s_wait_alu 0xfffd
	v_dual_fmac_f32 v21, v13, v5 :: v_dual_cndmask_b32 v6, 0x7f800000, v78
	v_cmp_nlt_f32_e32 vcc_lo, 0x42b17218, v23
	v_cvt_f16_f32_e32 v5, v5
	v_mul_u32_u24_e32 v4, 0x10001, v4
	s_wait_alu 0xfffd
	v_cndmask_b32_e32 v22, 0x7f800000, v79, vcc_lo
	v_cmp_nlt_f32_e32 vcc_lo, 0x42b17218, v7
	v_and_b32_e32 v5, 0xffff, v5
	v_pk_mul_f16 v63, v63, v4
	v_pk_mul_f16 v64, v64, v4
	s_wait_alu 0xfffd
	v_dual_fmac_f32 v22, v14, v6 :: v_dual_cndmask_b32 v7, 0x7f800000, v80
	v_cmp_nlt_f32_e32 vcc_lo, 0x42b17218, v50
	v_cvt_f16_f32_e32 v6, v6
	v_mul_u32_u24_e32 v5, 0x10001, v5
	s_wait_alu 0xfffd
	v_cndmask_b32_e32 v23, 0x7f800000, v81, vcc_lo
	s_delay_alu instid0(VALU_DEP_3) | instskip(NEXT) | instid1(VALU_DEP_3)
	v_and_b32_e32 v6, 0xffff, v6
	v_pk_mul_f16 v60, v60, v5
	v_pk_mul_f16 v61, v61, v5
	s_delay_alu instid0(VALU_DEP_4) | instskip(SKIP_3) | instid1(VALU_DEP_3)
	v_fmac_f32_e32 v23, v15, v7
	v_cvt_f16_f32_e32 v7, v7
	v_mul_u32_u24_e32 v6, 0x10001, v6
	v_dual_mov_b32 v8, v16 :: v_dual_mov_b32 v9, v17
	v_dual_mov_b32 v10, v18 :: v_dual_and_b32 v7, 0xffff, v7
	s_delay_alu instid0(VALU_DEP_3) | instskip(SKIP_2) | instid1(VALU_DEP_4)
	v_pk_mul_f16 v57, v57, v6
	v_pk_mul_f16 v59, v59, v6
	v_dual_mov_b32 v11, v19 :: v_dual_mov_b32 v12, v20
	v_mul_u32_u24_e32 v7, 0x10001, v7
	v_dual_mov_b32 v13, v21 :: v_dual_mov_b32 v14, v22
	v_mov_b32_e32 v15, v23
	s_delay_alu instid0(VALU_DEP_3)
	v_pk_mul_f16 v56, v56, v7
	v_pk_mul_f16 v55, v55, v7
	v_dual_mov_b32 v0, v42 :: v_dual_mov_b32 v1, v43
	v_dual_mov_b32 v2, v44 :: v_dual_mov_b32 v3, v45
	;; [unrolled: 1-line block ×4, first 2 shown]
	s_mov_b32 s2, exec_lo
	v_cmpx_gt_i32_e64 s26, v25
	s_cbranch_execnz .LBB86_267
	s_branch .LBB86_306
.LBB86_266:
	v_dual_mov_b32 v16, v8 :: v_dual_mov_b32 v17, v9
	v_dual_mov_b32 v18, v10 :: v_dual_mov_b32 v19, v11
	;; [unrolled: 1-line block ×4, first 2 shown]
	s_mov_b32 s2, exec_lo
	v_cmpx_gt_i32_e64 s26, v25
	s_cbranch_execz .LBB86_306
.LBB86_267:
	s_load_b32 s1, s[0:1], 0xd4
	v_mov_b32_e32 v42, 1.0
	s_wait_kmcnt 0x0
	s_cmp_lg_u32 s1, 1
	s_cselect_b32 s4, -1, 0
	s_cmp_eq_u32 s1, 1
	s_cselect_b32 s3, -1, 0
	s_wait_alu 0xfffe
	s_and_b32 vcc_lo, exec_lo, s4
	s_wait_alu 0xfffe
	s_cbranch_vccnz .LBB86_269
; %bb.268:
	v_div_scale_f32 v25, null, v16, v16, 1.0
	s_delay_alu instid0(VALU_DEP_1) | instskip(NEXT) | instid1(TRANS32_DEP_1)
	v_rcp_f32_e32 v42, v25
	v_fma_f32 v43, -v25, v42, 1.0
	s_delay_alu instid0(VALU_DEP_1) | instskip(SKIP_1) | instid1(VALU_DEP_1)
	v_fmac_f32_e32 v42, v43, v42
	v_div_scale_f32 v43, vcc_lo, 1.0, v16, 1.0
	v_mul_f32_e32 v44, v43, v42
	s_delay_alu instid0(VALU_DEP_1) | instskip(NEXT) | instid1(VALU_DEP_1)
	v_fma_f32 v45, -v25, v44, v43
	v_fmac_f32_e32 v44, v45, v42
	s_delay_alu instid0(VALU_DEP_1) | instskip(SKIP_1) | instid1(VALU_DEP_1)
	v_fma_f32 v25, -v25, v44, v43
	s_wait_alu 0xfffd
	v_div_fmas_f32 v25, v25, v42, v44
	s_delay_alu instid0(VALU_DEP_1)
	v_div_fixup_f32 v42, v25, v16, 1.0
.LBB86_269:
	s_mul_i32 s2, s36, s26
	v_cvt_f32_f16_e32 v45, v75
	s_wait_alu 0xfffe
	s_add_co_i32 s2, s2, s33
	v_cmp_eq_u32_e32 vcc_lo, 0, v40
	s_wait_alu 0xfffe
	v_add_nc_u32_e32 v16, s2, v24
	v_cvt_f32_f16_e32 v40, v74
	v_dual_mul_f32 v45, v42, v45 :: v_dual_mov_b32 v44, 0
	s_delay_alu instid0(VALU_DEP_3) | instskip(SKIP_1) | instid1(VALU_DEP_1)
	v_mad_co_u64_u32 v[24:25], null, v16, s27, s[34:35]
	v_lshrrev_b32_e32 v16, 16, v74
	v_cvt_f32_f16_e32 v16, v16
	s_delay_alu instid0(VALU_DEP_3) | instskip(SKIP_1) | instid1(VALU_DEP_1)
	v_mad_co_u64_u32 v[24:25], null, s1, v24, s[18:19]
	v_lshrrev_b32_e32 v25, 16, v75
	v_cvt_f32_f16_e32 v25, v25
	s_delay_alu instid0(VALU_DEP_3) | instskip(NEXT) | instid1(VALU_DEP_2)
	v_lshl_add_u32 v43, v24, 7, v34
	v_mul_f32_e32 v46, v42, v25
	s_delay_alu instid0(VALU_DEP_2) | instskip(SKIP_2) | instid1(VALU_DEP_3)
	v_lshlrev_b64_e32 v[47:48], 2, v[43:44]
	v_mul_f32_e32 v43, v42, v40
	v_mul_f32_e32 v44, v42, v16
	v_add_co_u32 v47, s0, s20, v47
	s_wait_alu 0xf1ff
	s_delay_alu instid0(VALU_DEP_4)
	v_add_co_ci_u32_e64 v48, null, s21, v48, s0
	s_and_b32 s0, vcc_lo, s4
	global_store_b128 v[47:48], v[43:46], off
	s_wait_alu 0xfffe
	s_and_saveexec_b32 s4, s0
	s_cbranch_execz .LBB86_271
; %bb.270:
	v_ashrrev_i32_e32 v25, 31, v24
	v_dual_mov_b32 v42, v0 :: v_dual_mov_b32 v43, v8
	s_delay_alu instid0(VALU_DEP_2) | instskip(NEXT) | instid1(VALU_DEP_1)
	v_lshlrev_b64_e32 v[24:25], 3, v[24:25]
	v_add_co_u32 v24, vcc_lo, s22, v24
	s_wait_alu 0xfffd
	s_delay_alu instid0(VALU_DEP_2)
	v_add_co_ci_u32_e64 v25, null, s23, v25, vcc_lo
	global_store_b64 v[24:25], v[42:43], off
.LBB86_271:
	s_wait_alu 0xfffe
	s_or_b32 exec_lo, exec_lo, s4
	v_cmp_gt_i32_e32 vcc_lo, s26, v41
	s_and_b32 exec_lo, exec_lo, vcc_lo
	s_cbranch_execz .LBB86_306
; %bb.272:
	v_cndmask_b32_e64 v24, 0, 1, s3
	v_mov_b32_e32 v0, 1.0
	s_and_not1_b32 vcc_lo, exec_lo, s3
	s_wait_alu 0xfffe
	s_cbranch_vccnz .LBB86_274
; %bb.273:
	v_div_scale_f32 v0, null, v17, v17, 1.0
	s_delay_alu instid0(VALU_DEP_1) | instskip(NEXT) | instid1(TRANS32_DEP_1)
	v_rcp_f32_e32 v8, v0
	v_fma_f32 v16, -v0, v8, 1.0
	s_delay_alu instid0(VALU_DEP_1) | instskip(SKIP_1) | instid1(VALU_DEP_1)
	v_fmac_f32_e32 v8, v16, v8
	v_div_scale_f32 v16, vcc_lo, 1.0, v17, 1.0
	v_mul_f32_e32 v25, v16, v8
	s_delay_alu instid0(VALU_DEP_1) | instskip(NEXT) | instid1(VALU_DEP_1)
	v_fma_f32 v40, -v0, v25, v16
	v_fmac_f32_e32 v25, v40, v8
	s_delay_alu instid0(VALU_DEP_1) | instskip(SKIP_1) | instid1(VALU_DEP_1)
	v_fma_f32 v0, -v0, v25, v16
	s_wait_alu 0xfffd
	v_div_fmas_f32 v0, v0, v8, v25
	s_delay_alu instid0(VALU_DEP_1)
	v_div_fixup_f32 v0, v0, v17, 1.0
.LBB86_274:
	v_dual_mov_b32 v41, 0 :: v_dual_add_nc_u32 v8, s2, v37
	v_cvt_f32_f16_e32 v25, v72
	v_cvt_f32_f16_e32 v37, v73
	s_delay_alu instid0(VALU_DEP_3) | instskip(SKIP_1) | instid1(VALU_DEP_3)
	v_mad_co_u64_u32 v[16:17], null, v8, s27, s[34:35]
	v_lshrrev_b32_e32 v8, 16, v72
	v_mul_f32_e32 v42, v0, v37
	s_delay_alu instid0(VALU_DEP_2) | instskip(NEXT) | instid1(VALU_DEP_4)
	v_cvt_f32_f16_e32 v8, v8
	v_mad_co_u64_u32 v[16:17], null, s1, v16, s[18:19]
	v_lshrrev_b32_e32 v17, 16, v73
	s_delay_alu instid0(VALU_DEP_1) | instskip(NEXT) | instid1(VALU_DEP_3)
	v_cvt_f32_f16_e32 v17, v17
	v_lshl_add_u32 v40, v16, 7, v34
	s_delay_alu instid0(VALU_DEP_2) | instskip(NEXT) | instid1(VALU_DEP_2)
	v_mul_f32_e32 v43, v0, v17
	v_lshlrev_b64_e32 v[44:45], 2, v[40:41]
	v_mul_f32_e32 v40, v0, v25
	v_mul_f32_e32 v41, v0, v8
	s_delay_alu instid0(VALU_DEP_3) | instskip(SKIP_1) | instid1(VALU_DEP_4)
	v_add_co_u32 v44, vcc_lo, s20, v44
	s_wait_alu 0xfffd
	v_add_co_ci_u32_e64 v45, null, s21, v45, vcc_lo
	global_store_b128 v[44:45], v[40:43], off
	s_and_saveexec_b32 s3, s0
	s_cbranch_execz .LBB86_276
; %bb.275:
	v_ashrrev_i32_e32 v17, 31, v16
	v_mov_b32_e32 v8, v1
	s_delay_alu instid0(VALU_DEP_2) | instskip(NEXT) | instid1(VALU_DEP_1)
	v_lshlrev_b64_e32 v[16:17], 3, v[16:17]
	v_add_co_u32 v16, vcc_lo, s22, v16
	s_wait_alu 0xfffd
	s_delay_alu instid0(VALU_DEP_2)
	v_add_co_ci_u32_e64 v17, null, s23, v17, vcc_lo
	global_store_b64 v[16:17], v[8:9], off
.LBB86_276:
	s_wait_alu 0xfffe
	s_or_b32 exec_lo, exec_lo, s3
	v_cmp_gt_i32_e32 vcc_lo, s26, v39
	s_and_b32 exec_lo, exec_lo, vcc_lo
	s_cbranch_execz .LBB86_306
; %bb.277:
	v_cmp_ne_u32_e32 vcc_lo, 1, v24
	v_mov_b32_e32 v8, 1.0
	s_cbranch_vccnz .LBB86_279
; %bb.278:
	v_div_scale_f32 v0, null, v18, v18, 1.0
	s_delay_alu instid0(VALU_DEP_1) | instskip(NEXT) | instid1(TRANS32_DEP_1)
	v_rcp_f32_e32 v1, v0
	v_fma_f32 v8, -v0, v1, 1.0
	s_delay_alu instid0(VALU_DEP_1) | instskip(SKIP_1) | instid1(VALU_DEP_1)
	v_fmac_f32_e32 v1, v8, v1
	v_div_scale_f32 v8, vcc_lo, 1.0, v18, 1.0
	v_mul_f32_e32 v9, v8, v1
	s_delay_alu instid0(VALU_DEP_1) | instskip(NEXT) | instid1(VALU_DEP_1)
	v_fma_f32 v16, -v0, v9, v8
	v_fmac_f32_e32 v9, v16, v1
	s_delay_alu instid0(VALU_DEP_1) | instskip(SKIP_1) | instid1(VALU_DEP_1)
	v_fma_f32 v0, -v0, v9, v8
	s_wait_alu 0xfffd
	v_div_fmas_f32 v0, v0, v1, v9
	s_delay_alu instid0(VALU_DEP_1)
	v_div_fixup_f32 v8, v0, v18, 1.0
.LBB86_279:
	v_dual_mov_b32 v17, 0 :: v_dual_add_nc_u32 v0, s2, v36
	v_lshrrev_b32_e32 v9, 16, v68
	v_cvt_f32_f16_e32 v18, v69
	v_cvt_f32_f16_e32 v25, v68
	s_delay_alu instid0(VALU_DEP_4) | instskip(NEXT) | instid1(VALU_DEP_4)
	v_mad_co_u64_u32 v[0:1], null, v0, s27, s[34:35]
	v_cvt_f32_f16_e32 v9, v9
	s_delay_alu instid0(VALU_DEP_4) | instskip(NEXT) | instid1(VALU_DEP_4)
	v_mul_f32_e32 v39, v8, v18
	v_mul_f32_e32 v41, v8, v25
	s_delay_alu instid0(VALU_DEP_3) | instskip(SKIP_2) | instid1(VALU_DEP_1)
	v_mul_f32_e32 v42, v8, v9
	v_mad_co_u64_u32 v[0:1], null, s1, v0, s[18:19]
	v_lshrrev_b32_e32 v1, 16, v69
	v_cvt_f32_f16_e32 v1, v1
	s_delay_alu instid0(VALU_DEP_3) | instskip(NEXT) | instid1(VALU_DEP_2)
	v_lshl_add_u32 v16, v0, 7, v34
	v_mul_f32_e32 v40, v8, v1
	s_delay_alu instid0(VALU_DEP_2) | instskip(NEXT) | instid1(VALU_DEP_1)
	v_lshlrev_b64_e32 v[16:17], 2, v[16:17]
	v_add_co_u32 v8, vcc_lo, s20, v16
	s_wait_alu 0xfffd
	s_delay_alu instid0(VALU_DEP_2)
	v_add_co_ci_u32_e64 v9, null, s21, v17, vcc_lo
	global_store_b128 v[8:9], v[39:42], off
	s_and_saveexec_b32 s3, s0
	s_cbranch_execz .LBB86_281
; %bb.280:
	v_ashrrev_i32_e32 v1, 31, v0
	v_mov_b32_e32 v9, v2
	s_delay_alu instid0(VALU_DEP_2) | instskip(NEXT) | instid1(VALU_DEP_1)
	v_lshlrev_b64_e32 v[0:1], 3, v[0:1]
	v_add_co_u32 v0, vcc_lo, s22, v0
	s_wait_alu 0xfffd
	s_delay_alu instid0(VALU_DEP_2)
	v_add_co_ci_u32_e64 v1, null, s23, v1, vcc_lo
	global_store_b64 v[0:1], v[9:10], off
.LBB86_281:
	s_wait_alu 0xfffe
	s_or_b32 exec_lo, exec_lo, s3
	v_cmp_gt_i32_e32 vcc_lo, s26, v38
	s_and_b32 exec_lo, exec_lo, vcc_lo
	s_cbranch_execz .LBB86_306
; %bb.282:
	v_cmp_ne_u32_e32 vcc_lo, 1, v24
	v_mov_b32_e32 v2, 1.0
	s_cbranch_vccnz .LBB86_284
; %bb.283:
	v_div_scale_f32 v0, null, v19, v19, 1.0
	s_delay_alu instid0(VALU_DEP_1) | instskip(NEXT) | instid1(TRANS32_DEP_1)
	v_rcp_f32_e32 v1, v0
	v_fma_f32 v2, -v0, v1, 1.0
	s_delay_alu instid0(VALU_DEP_1) | instskip(SKIP_1) | instid1(VALU_DEP_1)
	v_fmac_f32_e32 v1, v2, v1
	v_div_scale_f32 v2, vcc_lo, 1.0, v19, 1.0
	v_mul_f32_e32 v8, v2, v1
	s_delay_alu instid0(VALU_DEP_1) | instskip(NEXT) | instid1(VALU_DEP_1)
	v_fma_f32 v9, -v0, v8, v2
	v_fmac_f32_e32 v8, v9, v1
	s_delay_alu instid0(VALU_DEP_1) | instskip(SKIP_1) | instid1(VALU_DEP_1)
	v_fma_f32 v0, -v0, v8, v2
	s_wait_alu 0xfffd
	v_div_fmas_f32 v0, v0, v1, v8
	s_delay_alu instid0(VALU_DEP_1)
	v_div_fixup_f32 v2, v0, v19, 1.0
.LBB86_284:
	v_dual_mov_b32 v9, 0 :: v_dual_add_nc_u32 v0, s2, v33
	v_lshrrev_b32_e32 v10, 16, v67
	v_cvt_f32_f16_e32 v17, v67
	v_cvt_f32_f16_e32 v16, v66
	s_delay_alu instid0(VALU_DEP_4) | instskip(NEXT) | instid1(VALU_DEP_4)
	v_mad_co_u64_u32 v[0:1], null, v0, s27, s[34:35]
	v_cvt_f32_f16_e32 v10, v10
	s_delay_alu instid0(VALU_DEP_4) | instskip(NEXT) | instid1(VALU_DEP_4)
	v_mul_f32_e32 v18, v2, v17
	v_mul_f32_e32 v16, v2, v16
	s_delay_alu instid0(VALU_DEP_3) | instskip(SKIP_2) | instid1(VALU_DEP_1)
	v_mul_f32_e32 v19, v2, v10
	v_mad_co_u64_u32 v[0:1], null, s1, v0, s[18:19]
	v_lshrrev_b32_e32 v1, 16, v66
	v_cvt_f32_f16_e32 v1, v1
	s_delay_alu instid0(VALU_DEP_3) | instskip(NEXT) | instid1(VALU_DEP_2)
	v_lshl_add_u32 v8, v0, 7, v34
	v_mul_f32_e32 v17, v2, v1
	s_delay_alu instid0(VALU_DEP_2) | instskip(NEXT) | instid1(VALU_DEP_1)
	v_lshlrev_b64_e32 v[8:9], 2, v[8:9]
	v_add_co_u32 v1, vcc_lo, s20, v8
	s_wait_alu 0xfffd
	s_delay_alu instid0(VALU_DEP_2)
	v_add_co_ci_u32_e64 v2, null, s21, v9, vcc_lo
	global_store_b128 v[1:2], v[16:19], off
	s_and_saveexec_b32 s3, s0
	s_cbranch_execz .LBB86_286
; %bb.285:
	v_ashrrev_i32_e32 v1, 31, v0
	v_mov_b32_e32 v10, v3
	s_delay_alu instid0(VALU_DEP_2) | instskip(NEXT) | instid1(VALU_DEP_1)
	v_lshlrev_b64_e32 v[0:1], 3, v[0:1]
	v_add_co_u32 v0, vcc_lo, s22, v0
	s_wait_alu 0xfffd
	s_delay_alu instid0(VALU_DEP_2)
	v_add_co_ci_u32_e64 v1, null, s23, v1, vcc_lo
	global_store_b64 v[0:1], v[10:11], off
.LBB86_286:
	s_wait_alu 0xfffe
	s_or_b32 exec_lo, exec_lo, s3
	v_cmp_gt_i32_e32 vcc_lo, s26, v35
	s_and_b32 exec_lo, exec_lo, vcc_lo
	s_cbranch_execz .LBB86_306
; %bb.287:
	v_cmp_ne_u32_e32 vcc_lo, 1, v24
	v_mov_b32_e32 v2, 1.0
	s_cbranch_vccnz .LBB86_289
; %bb.288:
	v_div_scale_f32 v0, null, v20, v20, 1.0
	s_delay_alu instid0(VALU_DEP_1) | instskip(NEXT) | instid1(TRANS32_DEP_1)
	v_rcp_f32_e32 v1, v0
	v_fma_f32 v2, -v0, v1, 1.0
	s_delay_alu instid0(VALU_DEP_1) | instskip(SKIP_1) | instid1(VALU_DEP_1)
	v_fmac_f32_e32 v1, v2, v1
	v_div_scale_f32 v2, vcc_lo, 1.0, v20, 1.0
	v_mul_f32_e32 v3, v2, v1
	s_delay_alu instid0(VALU_DEP_1) | instskip(NEXT) | instid1(VALU_DEP_1)
	v_fma_f32 v8, -v0, v3, v2
	v_fmac_f32_e32 v3, v8, v1
	s_delay_alu instid0(VALU_DEP_1) | instskip(SKIP_1) | instid1(VALU_DEP_1)
	v_fma_f32 v0, -v0, v3, v2
	s_wait_alu 0xfffd
	v_div_fmas_f32 v0, v0, v1, v3
	s_delay_alu instid0(VALU_DEP_1)
	v_div_fixup_f32 v2, v0, v20, 1.0
.LBB86_289:
	v_dual_mov_b32 v9, 0 :: v_dual_add_nc_u32 v0, s2, v30
	v_lshrrev_b32_e32 v3, 16, v64
	v_cvt_f32_f16_e32 v10, v63
	v_cvt_f32_f16_e32 v11, v64
	s_delay_alu instid0(VALU_DEP_4) | instskip(NEXT) | instid1(VALU_DEP_4)
	v_mad_co_u64_u32 v[0:1], null, v0, s27, s[34:35]
	v_cvt_f32_f16_e32 v3, v3
	s_delay_alu instid0(VALU_DEP_2) | instskip(SKIP_1) | instid1(VALU_DEP_1)
	v_mad_co_u64_u32 v[0:1], null, s1, v0, s[18:19]
	v_lshrrev_b32_e32 v1, 16, v63
	v_cvt_f32_f16_e32 v1, v1
	s_delay_alu instid0(VALU_DEP_3) | instskip(NEXT) | instid1(VALU_DEP_1)
	v_lshl_add_u32 v8, v0, 7, v34
	v_lshlrev_b64_e32 v[16:17], 2, v[8:9]
	s_delay_alu instid0(VALU_DEP_3)
	v_mul_f32_e32 v9, v2, v1
	v_mul_f32_e32 v8, v2, v10
	;; [unrolled: 1-line block ×4, first 2 shown]
	v_add_co_u32 v1, vcc_lo, s20, v16
	s_wait_alu 0xfffd
	v_add_co_ci_u32_e64 v2, null, s21, v17, vcc_lo
	global_store_b128 v[1:2], v[8:11], off
	s_and_saveexec_b32 s3, s0
	s_cbranch_execz .LBB86_291
; %bb.290:
	v_ashrrev_i32_e32 v1, 31, v0
	v_mov_b32_e32 v11, v4
	s_delay_alu instid0(VALU_DEP_2) | instskip(NEXT) | instid1(VALU_DEP_1)
	v_lshlrev_b64_e32 v[0:1], 3, v[0:1]
	v_add_co_u32 v0, vcc_lo, s22, v0
	s_wait_alu 0xfffd
	s_delay_alu instid0(VALU_DEP_2)
	v_add_co_ci_u32_e64 v1, null, s23, v1, vcc_lo
	global_store_b64 v[0:1], v[11:12], off
.LBB86_291:
	s_wait_alu 0xfffe
	s_or_b32 exec_lo, exec_lo, s3
	v_cmp_gt_i32_e32 vcc_lo, s26, v32
	s_and_b32 exec_lo, exec_lo, vcc_lo
	s_cbranch_execz .LBB86_306
; %bb.292:
	v_cmp_ne_u32_e32 vcc_lo, 1, v24
	v_mov_b32_e32 v2, 1.0
	s_cbranch_vccnz .LBB86_294
; %bb.293:
	v_div_scale_f32 v0, null, v21, v21, 1.0
	s_delay_alu instid0(VALU_DEP_1) | instskip(NEXT) | instid1(TRANS32_DEP_1)
	v_rcp_f32_e32 v1, v0
	v_fma_f32 v2, -v0, v1, 1.0
	s_delay_alu instid0(VALU_DEP_1) | instskip(SKIP_1) | instid1(VALU_DEP_1)
	v_fmac_f32_e32 v1, v2, v1
	v_div_scale_f32 v2, vcc_lo, 1.0, v21, 1.0
	v_mul_f32_e32 v3, v2, v1
	s_delay_alu instid0(VALU_DEP_1) | instskip(NEXT) | instid1(VALU_DEP_1)
	v_fma_f32 v4, -v0, v3, v2
	v_fmac_f32_e32 v3, v4, v1
	s_delay_alu instid0(VALU_DEP_1) | instskip(SKIP_1) | instid1(VALU_DEP_1)
	v_fma_f32 v0, -v0, v3, v2
	s_wait_alu 0xfffd
	v_div_fmas_f32 v0, v0, v1, v3
	s_delay_alu instid0(VALU_DEP_1)
	v_div_fixup_f32 v2, v0, v21, 1.0
.LBB86_294:
	v_lshrrev_b32_e32 v8, 16, v61
	v_cvt_f32_f16_e32 v9, v60
	v_cvt_f32_f16_e32 v10, v61
	s_delay_alu instid0(VALU_DEP_3) | instskip(SKIP_1) | instid1(VALU_DEP_4)
	v_cvt_f32_f16_e32 v11, v8
	v_add_nc_u32_e32 v0, s2, v29
	v_mul_f32_e32 v8, v2, v9
	s_delay_alu instid0(VALU_DEP_4) | instskip(NEXT) | instid1(VALU_DEP_4)
	v_mul_f32_e32 v10, v2, v10
	v_mul_f32_e32 v11, v2, v11
	s_delay_alu instid0(VALU_DEP_4) | instskip(NEXT) | instid1(VALU_DEP_1)
	v_mad_co_u64_u32 v[0:1], null, v0, s27, s[34:35]
	v_mad_co_u64_u32 v[0:1], null, s1, v0, s[18:19]
	v_lshrrev_b32_e32 v1, 16, v60
	s_delay_alu instid0(VALU_DEP_1) | instskip(SKIP_1) | instid1(VALU_DEP_4)
	v_cvt_f32_f16_e32 v1, v1
	v_mov_b32_e32 v4, 0
	v_lshl_add_u32 v3, v0, 7, v34
	s_delay_alu instid0(VALU_DEP_3) | instskip(NEXT) | instid1(VALU_DEP_2)
	v_mul_f32_e32 v9, v2, v1
	v_lshlrev_b64_e32 v[3:4], 2, v[3:4]
	s_delay_alu instid0(VALU_DEP_1) | instskip(SKIP_1) | instid1(VALU_DEP_2)
	v_add_co_u32 v1, vcc_lo, s20, v3
	s_wait_alu 0xfffd
	v_add_co_ci_u32_e64 v2, null, s21, v4, vcc_lo
	global_store_b128 v[1:2], v[8:11], off
	s_and_saveexec_b32 s3, s0
	s_cbranch_execz .LBB86_296
; %bb.295:
	v_ashrrev_i32_e32 v1, 31, v0
	v_mov_b32_e32 v12, v5
	s_delay_alu instid0(VALU_DEP_2) | instskip(NEXT) | instid1(VALU_DEP_1)
	v_lshlrev_b64_e32 v[0:1], 3, v[0:1]
	v_add_co_u32 v0, vcc_lo, s22, v0
	s_wait_alu 0xfffd
	s_delay_alu instid0(VALU_DEP_2)
	v_add_co_ci_u32_e64 v1, null, s23, v1, vcc_lo
	global_store_b64 v[0:1], v[12:13], off
.LBB86_296:
	s_wait_alu 0xfffe
	s_or_b32 exec_lo, exec_lo, s3
	v_cmp_gt_i32_e32 vcc_lo, s26, v31
	s_and_b32 exec_lo, exec_lo, vcc_lo
	s_cbranch_execz .LBB86_306
; %bb.297:
	v_cmp_ne_u32_e32 vcc_lo, 1, v24
	v_mov_b32_e32 v2, 1.0
	s_cbranch_vccnz .LBB86_299
; %bb.298:
	v_div_scale_f32 v0, null, v22, v22, 1.0
	s_delay_alu instid0(VALU_DEP_1) | instskip(NEXT) | instid1(TRANS32_DEP_1)
	v_rcp_f32_e32 v1, v0
	v_fma_f32 v2, -v0, v1, 1.0
	s_delay_alu instid0(VALU_DEP_1) | instskip(SKIP_1) | instid1(VALU_DEP_1)
	v_fmac_f32_e32 v1, v2, v1
	v_div_scale_f32 v2, vcc_lo, 1.0, v22, 1.0
	v_mul_f32_e32 v3, v2, v1
	s_delay_alu instid0(VALU_DEP_1) | instskip(NEXT) | instid1(VALU_DEP_1)
	v_fma_f32 v4, -v0, v3, v2
	v_fmac_f32_e32 v3, v4, v1
	s_delay_alu instid0(VALU_DEP_1) | instskip(SKIP_1) | instid1(VALU_DEP_1)
	v_fma_f32 v0, -v0, v3, v2
	s_wait_alu 0xfffd
	v_div_fmas_f32 v0, v0, v1, v3
	s_delay_alu instid0(VALU_DEP_1)
	v_div_fixup_f32 v2, v0, v22, 1.0
.LBB86_299:
	v_add_nc_u32_e32 v0, s2, v26
	v_lshrrev_b32_e32 v5, 16, v59
	v_cvt_f32_f16_e32 v9, v59
	v_cvt_f32_f16_e32 v8, v57
	s_delay_alu instid0(VALU_DEP_4) | instskip(NEXT) | instid1(VALU_DEP_4)
	v_mad_co_u64_u32 v[0:1], null, v0, s27, s[34:35]
	v_cvt_f32_f16_e32 v5, v5
	v_mov_b32_e32 v4, 0
	v_mul_f32_e32 v10, v2, v9
	v_mul_f32_e32 v8, v2, v8
	s_delay_alu instid0(VALU_DEP_4) | instskip(SKIP_2) | instid1(VALU_DEP_1)
	v_mul_f32_e32 v11, v2, v5
	v_mad_co_u64_u32 v[0:1], null, s1, v0, s[18:19]
	v_lshrrev_b32_e32 v1, 16, v57
	v_cvt_f32_f16_e32 v1, v1
	s_delay_alu instid0(VALU_DEP_3) | instskip(NEXT) | instid1(VALU_DEP_2)
	v_lshl_add_u32 v3, v0, 7, v34
	v_mul_f32_e32 v9, v2, v1
	s_delay_alu instid0(VALU_DEP_2) | instskip(NEXT) | instid1(VALU_DEP_1)
	v_lshlrev_b64_e32 v[3:4], 2, v[3:4]
	v_add_co_u32 v1, vcc_lo, s20, v3
	s_wait_alu 0xfffd
	s_delay_alu instid0(VALU_DEP_2)
	v_add_co_ci_u32_e64 v2, null, s21, v4, vcc_lo
	global_store_b128 v[1:2], v[8:11], off
	s_and_saveexec_b32 s3, s0
	s_cbranch_execz .LBB86_301
; %bb.300:
	v_ashrrev_i32_e32 v1, 31, v0
	v_mov_b32_e32 v13, v6
	s_delay_alu instid0(VALU_DEP_2) | instskip(NEXT) | instid1(VALU_DEP_1)
	v_lshlrev_b64_e32 v[0:1], 3, v[0:1]
	v_add_co_u32 v0, vcc_lo, s22, v0
	s_wait_alu 0xfffd
	s_delay_alu instid0(VALU_DEP_2)
	v_add_co_ci_u32_e64 v1, null, s23, v1, vcc_lo
	global_store_b64 v[0:1], v[13:14], off
.LBB86_301:
	s_wait_alu 0xfffe
	s_or_b32 exec_lo, exec_lo, s3
	v_cmp_gt_i32_e32 vcc_lo, s26, v28
	s_and_b32 exec_lo, exec_lo, vcc_lo
	s_cbranch_execz .LBB86_306
; %bb.302:
	v_cmp_ne_u32_e32 vcc_lo, 1, v24
	v_mov_b32_e32 v2, 1.0
	s_cbranch_vccnz .LBB86_304
; %bb.303:
	v_div_scale_f32 v0, null, v23, v23, 1.0
	s_delay_alu instid0(VALU_DEP_1) | instskip(NEXT) | instid1(TRANS32_DEP_1)
	v_rcp_f32_e32 v1, v0
	v_fma_f32 v2, -v0, v1, 1.0
	s_delay_alu instid0(VALU_DEP_1) | instskip(SKIP_1) | instid1(VALU_DEP_1)
	v_fmac_f32_e32 v1, v2, v1
	v_div_scale_f32 v2, vcc_lo, 1.0, v23, 1.0
	v_mul_f32_e32 v3, v2, v1
	s_delay_alu instid0(VALU_DEP_1) | instskip(NEXT) | instid1(VALU_DEP_1)
	v_fma_f32 v4, -v0, v3, v2
	v_fmac_f32_e32 v3, v4, v1
	s_delay_alu instid0(VALU_DEP_1) | instskip(SKIP_1) | instid1(VALU_DEP_1)
	v_fma_f32 v0, -v0, v3, v2
	s_wait_alu 0xfffd
	v_div_fmas_f32 v0, v0, v1, v3
	s_delay_alu instid0(VALU_DEP_1)
	v_div_fixup_f32 v2, v0, v23, 1.0
.LBB86_304:
	v_cvt_f32_f16_e32 v6, v56
	v_add_nc_u32_e32 v0, s2, v27
	v_lshrrev_b32_e32 v5, 16, v55
	v_cvt_f32_f16_e32 v10, v55
	v_mov_b32_e32 v4, 0
	s_delay_alu instid0(VALU_DEP_4) | instskip(NEXT) | instid1(VALU_DEP_4)
	v_mad_co_u64_u32 v[0:1], null, v0, s27, s[34:35]
	v_cvt_f32_f16_e32 v11, v5
	s_delay_alu instid0(VALU_DEP_4) | instskip(NEXT) | instid1(VALU_DEP_3)
	v_mul_f32_e32 v5, v2, v10
	v_mad_co_u64_u32 v[0:1], null, s1, v0, s[18:19]
	v_lshrrev_b32_e32 v1, 16, v56
	s_delay_alu instid0(VALU_DEP_1) | instskip(NEXT) | instid1(VALU_DEP_3)
	v_cvt_f32_f16_e32 v1, v1
	v_lshl_add_u32 v3, v0, 7, v34
	s_delay_alu instid0(VALU_DEP_1) | instskip(NEXT) | instid1(VALU_DEP_3)
	v_lshlrev_b64_e32 v[8:9], 2, v[3:4]
	v_mul_f32_e32 v4, v2, v1
	v_mul_f32_e32 v3, v2, v6
	;; [unrolled: 1-line block ×3, first 2 shown]
	s_delay_alu instid0(VALU_DEP_4)
	v_add_co_u32 v1, vcc_lo, s20, v8
	s_wait_alu 0xfffd
	v_add_co_ci_u32_e64 v2, null, s21, v9, vcc_lo
	global_store_b128 v[1:2], v[3:6], off
	s_and_b32 exec_lo, exec_lo, s0
	s_cbranch_execz .LBB86_306
; %bb.305:
	v_ashrrev_i32_e32 v1, 31, v0
	v_mov_b32_e32 v14, v7
	s_delay_alu instid0(VALU_DEP_2) | instskip(NEXT) | instid1(VALU_DEP_1)
	v_lshlrev_b64_e32 v[0:1], 3, v[0:1]
	v_add_co_u32 v0, vcc_lo, s22, v0
	s_wait_alu 0xfffd
	s_delay_alu instid0(VALU_DEP_2)
	v_add_co_ci_u32_e64 v1, null, s23, v1, vcc_lo
	global_store_b64 v[0:1], v[14:15], off
	s_nop 0
	s_sendmsg sendmsg(MSG_DEALLOC_VGPRS)
	s_endpgm
.LBB86_306:
	s_nop 0
	s_sendmsg sendmsg(MSG_DEALLOC_VGPRS)
	s_endpgm
	.section	.rodata,"a",@progbits
	.p2align	6, 0x0
	.amdhsa_kernel _ZL15flash_attn_tileILi128ELi128ELi64ELi1ELb1EEvPKcS1_S1_S1_S1_PKiPfP15HIP_vector_typeIfLj2EEffffjfiS5_IjLj3EEiiiiiiiiiiiliiliiiiil
		.amdhsa_group_segment_fixed_size 33792
		.amdhsa_private_segment_fixed_size 32
		.amdhsa_kernarg_size 464
		.amdhsa_user_sgpr_count 2
		.amdhsa_user_sgpr_dispatch_ptr 0
		.amdhsa_user_sgpr_queue_ptr 0
		.amdhsa_user_sgpr_kernarg_segment_ptr 1
		.amdhsa_user_sgpr_dispatch_id 0
		.amdhsa_user_sgpr_private_segment_size 0
		.amdhsa_wavefront_size32 1
		.amdhsa_uses_dynamic_stack 0
		.amdhsa_enable_private_segment 1
		.amdhsa_system_sgpr_workgroup_id_x 1
		.amdhsa_system_sgpr_workgroup_id_y 1
		.amdhsa_system_sgpr_workgroup_id_z 1
		.amdhsa_system_sgpr_workgroup_info 0
		.amdhsa_system_vgpr_workitem_id 1
		.amdhsa_next_free_vgpr 217
		.amdhsa_next_free_sgpr 48
		.amdhsa_reserve_vcc 1
		.amdhsa_float_round_mode_32 0
		.amdhsa_float_round_mode_16_64 0
		.amdhsa_float_denorm_mode_32 3
		.amdhsa_float_denorm_mode_16_64 3
		.amdhsa_fp16_overflow 0
		.amdhsa_workgroup_processor_mode 1
		.amdhsa_memory_ordered 1
		.amdhsa_forward_progress 1
		.amdhsa_inst_pref_size 255
		.amdhsa_round_robin_scheduling 0
		.amdhsa_exception_fp_ieee_invalid_op 0
		.amdhsa_exception_fp_denorm_src 0
		.amdhsa_exception_fp_ieee_div_zero 0
		.amdhsa_exception_fp_ieee_overflow 0
		.amdhsa_exception_fp_ieee_underflow 0
		.amdhsa_exception_fp_ieee_inexact 0
		.amdhsa_exception_int_div_zero 0
	.end_amdhsa_kernel
	.section	.text._ZL15flash_attn_tileILi128ELi128ELi64ELi1ELb1EEvPKcS1_S1_S1_S1_PKiPfP15HIP_vector_typeIfLj2EEffffjfiS5_IjLj3EEiiiiiiiiiiiliiliiiiil,"axG",@progbits,_ZL15flash_attn_tileILi128ELi128ELi64ELi1ELb1EEvPKcS1_S1_S1_S1_PKiPfP15HIP_vector_typeIfLj2EEffffjfiS5_IjLj3EEiiiiiiiiiiiliiliiiiil,comdat
.Lfunc_end86:
	.size	_ZL15flash_attn_tileILi128ELi128ELi64ELi1ELb1EEvPKcS1_S1_S1_S1_PKiPfP15HIP_vector_typeIfLj2EEffffjfiS5_IjLj3EEiiiiiiiiiiiliiliiiiil, .Lfunc_end86-_ZL15flash_attn_tileILi128ELi128ELi64ELi1ELb1EEvPKcS1_S1_S1_S1_PKiPfP15HIP_vector_typeIfLj2EEffffjfiS5_IjLj3EEiiiiiiiiiiiliiliiiiil
                                        ; -- End function
	.set _ZL15flash_attn_tileILi128ELi128ELi64ELi1ELb1EEvPKcS1_S1_S1_S1_PKiPfP15HIP_vector_typeIfLj2EEffffjfiS5_IjLj3EEiiiiiiiiiiiliiliiiiil.num_vgpr, 179
	.set _ZL15flash_attn_tileILi128ELi128ELi64ELi1ELb1EEvPKcS1_S1_S1_S1_PKiPfP15HIP_vector_typeIfLj2EEffffjfiS5_IjLj3EEiiiiiiiiiiiliiliiiiil.num_agpr, 0
	.set _ZL15flash_attn_tileILi128ELi128ELi64ELi1ELb1EEvPKcS1_S1_S1_S1_PKiPfP15HIP_vector_typeIfLj2EEffffjfiS5_IjLj3EEiiiiiiiiiiiliiliiiiil.numbered_sgpr, 48
	.set _ZL15flash_attn_tileILi128ELi128ELi64ELi1ELb1EEvPKcS1_S1_S1_S1_PKiPfP15HIP_vector_typeIfLj2EEffffjfiS5_IjLj3EEiiiiiiiiiiiliiliiiiil.num_named_barrier, 0
	.set _ZL15flash_attn_tileILi128ELi128ELi64ELi1ELb1EEvPKcS1_S1_S1_S1_PKiPfP15HIP_vector_typeIfLj2EEffffjfiS5_IjLj3EEiiiiiiiiiiiliiliiiiil.private_seg_size, 32
	.set _ZL15flash_attn_tileILi128ELi128ELi64ELi1ELb1EEvPKcS1_S1_S1_S1_PKiPfP15HIP_vector_typeIfLj2EEffffjfiS5_IjLj3EEiiiiiiiiiiiliiliiiiil.uses_vcc, 1
	.set _ZL15flash_attn_tileILi128ELi128ELi64ELi1ELb1EEvPKcS1_S1_S1_S1_PKiPfP15HIP_vector_typeIfLj2EEffffjfiS5_IjLj3EEiiiiiiiiiiiliiliiiiil.uses_flat_scratch, 1
	.set _ZL15flash_attn_tileILi128ELi128ELi64ELi1ELb1EEvPKcS1_S1_S1_S1_PKiPfP15HIP_vector_typeIfLj2EEffffjfiS5_IjLj3EEiiiiiiiiiiiliiliiiiil.has_dyn_sized_stack, 0
	.set _ZL15flash_attn_tileILi128ELi128ELi64ELi1ELb1EEvPKcS1_S1_S1_S1_PKiPfP15HIP_vector_typeIfLj2EEffffjfiS5_IjLj3EEiiiiiiiiiiiliiliiiiil.has_recursion, 0
	.set _ZL15flash_attn_tileILi128ELi128ELi64ELi1ELb1EEvPKcS1_S1_S1_S1_PKiPfP15HIP_vector_typeIfLj2EEffffjfiS5_IjLj3EEiiiiiiiiiiiliiliiiiil.has_indirect_call, 0
	.section	.AMDGPU.csdata,"",@progbits
; Kernel info:
; codeLenInByte = 72512
; TotalNumSgprs: 50
; NumVgprs: 179
; ScratchSize: 32
; MemoryBound: 0
; FloatMode: 240
; IeeeMode: 1
; LDSByteSize: 33792 bytes/workgroup (compile time only)
; SGPRBlocks: 0
; VGPRBlocks: 27
; NumSGPRsForWavesPerEU: 50
; NumVGPRsForWavesPerEU: 217
; Occupancy: 6
; WaveLimiterHint : 0
; COMPUTE_PGM_RSRC2:SCRATCH_EN: 1
; COMPUTE_PGM_RSRC2:USER_SGPR: 2
; COMPUTE_PGM_RSRC2:TRAP_HANDLER: 0
; COMPUTE_PGM_RSRC2:TGID_X_EN: 1
; COMPUTE_PGM_RSRC2:TGID_Y_EN: 1
; COMPUTE_PGM_RSRC2:TGID_Z_EN: 1
; COMPUTE_PGM_RSRC2:TIDIG_COMP_CNT: 1
	.section	.text._ZL15flash_attn_tileILi128ELi128ELi32ELi1ELb1EEvPKcS1_S1_S1_S1_PKiPfP15HIP_vector_typeIfLj2EEffffjfiS5_IjLj3EEiiiiiiiiiiiliiliiiiil,"axG",@progbits,_ZL15flash_attn_tileILi128ELi128ELi32ELi1ELb1EEvPKcS1_S1_S1_S1_PKiPfP15HIP_vector_typeIfLj2EEffffjfiS5_IjLj3EEiiiiiiiiiiiliiliiiiil,comdat
	.globl	_ZL15flash_attn_tileILi128ELi128ELi32ELi1ELb1EEvPKcS1_S1_S1_S1_PKiPfP15HIP_vector_typeIfLj2EEffffjfiS5_IjLj3EEiiiiiiiiiiiliiliiiiil ; -- Begin function _ZL15flash_attn_tileILi128ELi128ELi32ELi1ELb1EEvPKcS1_S1_S1_S1_PKiPfP15HIP_vector_typeIfLj2EEffffjfiS5_IjLj3EEiiiiiiiiiiiliiliiiiil
	.p2align	8
	.type	_ZL15flash_attn_tileILi128ELi128ELi32ELi1ELb1EEvPKcS1_S1_S1_S1_PKiPfP15HIP_vector_typeIfLj2EEffffjfiS5_IjLj3EEiiiiiiiiiiiliiliiiiil,@function
_ZL15flash_attn_tileILi128ELi128ELi32ELi1ELb1EEvPKcS1_S1_S1_S1_PKiPfP15HIP_vector_typeIfLj2EEffffjfiS5_IjLj3EEiiiiiiiiiiiliiliiiiil: ; @_ZL15flash_attn_tileILi128ELi128ELi32ELi1ELb1EEvPKcS1_S1_S1_S1_PKiPfP15HIP_vector_typeIfLj2EEffffjfiS5_IjLj3EEiiiiiiiiiiiliiliiiiil
; %bb.0:
	s_clause 0x1
	s_load_b128 s[20:23], s[0:1], 0x5c
	s_load_b64 s[2:3], s[0:1], 0x80
	s_lshr_b32 s6, ttmp7, 16
	s_load_b64 s[30:31], s[0:1], 0xb8
	s_mov_b32 s41, 0
	s_mov_b64 s[38:39], 0
	s_wait_kmcnt 0x0
	s_cvt_f32_u32 s4, s23
	s_sub_co_i32 s5, 0, s23
	s_delay_alu instid0(SALU_CYCLE_2) | instskip(NEXT) | instid1(TRANS32_DEP_1)
	v_rcp_iflag_f32_e32 v1, s4
	v_readfirstlane_b32 s4, v1
	s_mul_f32 s4, s4, 0x4f7ffffe
	s_wait_alu 0xfffe
	s_delay_alu instid0(SALU_CYCLE_2) | instskip(SKIP_1) | instid1(SALU_CYCLE_2)
	s_cvt_u32_f32 s4, s4
	s_wait_alu 0xfffe
	s_mul_i32 s5, s5, s4
	s_wait_alu 0xfffe
	s_mul_hi_u32 s5, s4, s5
	s_wait_alu 0xfffe
	s_add_co_i32 s4, s4, s5
	s_wait_alu 0xfffe
	s_mul_hi_u32 s4, s6, s4
	s_wait_alu 0xfffe
	s_mul_i32 s5, s4, s23
	s_add_co_i32 s7, s4, 1
	s_wait_alu 0xfffe
	s_sub_co_i32 s5, s6, s5
	s_wait_alu 0xfffe
	s_sub_co_i32 s8, s5, s23
	s_cmp_ge_u32 s5, s23
	s_cselect_b32 s4, s7, s4
	s_cselect_b32 s5, s8, s5
	s_wait_alu 0xfffe
	s_add_co_i32 s7, s4, 1
	s_cmp_ge_u32 s5, s23
	s_cselect_b32 s36, s7, s4
	s_abs_i32 s4, s3
	s_abs_i32 s9, s23
	s_wait_alu 0xfffe
	s_cvt_f32_u32 s5, s4
	s_sub_co_i32 s7, 0, s4
	s_mul_i32 s8, s36, s23
	s_xor_b32 s3, s23, s3
	s_wait_alu 0xfffe
	v_rcp_iflag_f32_e32 v1, s5
	s_sub_co_i32 s34, s6, s8
	s_ashr_i32 s3, s3, 31
	s_delay_alu instid0(TRANS32_DEP_1) | instskip(SKIP_2) | instid1(SALU_CYCLE_2)
	v_readfirstlane_b32 s5, v1
	s_mul_f32 s5, s5, 0x4f7ffffe
	s_wait_alu 0xfffe
	s_cvt_u32_f32 s5, s5
	s_wait_alu 0xfffe
	s_delay_alu instid0(SALU_CYCLE_2) | instskip(NEXT) | instid1(SALU_CYCLE_1)
	s_mul_i32 s7, s7, s5
	s_mul_hi_u32 s7, s5, s7
	s_delay_alu instid0(SALU_CYCLE_1)
	s_add_co_i32 s5, s5, s7
	s_wait_alu 0xfffe
	s_mul_hi_u32 s5, s9, s5
	s_wait_alu 0xfffe
	s_mul_i32 s6, s5, s4
	s_add_co_i32 s7, s5, 1
	s_sub_co_i32 s6, s9, s6
	s_delay_alu instid0(SALU_CYCLE_1)
	s_sub_co_i32 s8, s6, s4
	s_cmp_ge_u32 s6, s4
	s_cselect_b32 s5, s7, s5
	s_cselect_b32 s6, s8, s6
	s_wait_alu 0xfffe
	s_add_co_i32 s7, s5, 1
	s_cmp_ge_u32 s6, s4
	s_cselect_b32 s4, s7, s5
	s_abs_i32 s40, s34
	s_wait_alu 0xfffe
	s_xor_b32 s4, s4, s3
	s_wait_alu 0xfffe
	s_sub_co_i32 s37, s4, s3
	s_delay_alu instid0(SALU_CYCLE_1) | instskip(NEXT) | instid1(SALU_CYCLE_1)
	s_abs_i32 s3, s37
	s_cvt_f32_u32 s4, s3
	s_sub_co_i32 s25, 0, s3
	s_wait_alu 0xfffe
	s_delay_alu instid0(SALU_CYCLE_1) | instskip(SKIP_1) | instid1(TRANS32_DEP_1)
	v_rcp_iflag_f32_e32 v1, s4
	s_load_b512 s[4:19], s[0:1], 0x0
	v_readfirstlane_b32 s24, v1
	s_mul_f32 s24, s24, 0x4f7ffffe
	s_delay_alu instid0(SALU_CYCLE_3) | instskip(NEXT) | instid1(SALU_CYCLE_3)
	s_cvt_u32_f32 s24, s24
	s_mul_i32 s25, s25, s24
	s_delay_alu instid0(SALU_CYCLE_1) | instskip(NEXT) | instid1(SALU_CYCLE_1)
	s_mul_hi_u32 s25, s24, s25
	s_add_co_i32 s42, s24, s25
	s_wait_kmcnt 0x0
	s_cmp_eq_u64 s[10:11], 0
	s_cbranch_scc1 .LBB87_2
; %bb.1:
	s_abs_i32 s26, s30
	s_delay_alu instid0(SALU_CYCLE_1) | instskip(NEXT) | instid1(SALU_CYCLE_3)
	s_cvt_f32_u32 s24, s26
	v_rcp_iflag_f32_e32 v1, s24
	s_delay_alu instid0(TRANS32_DEP_1) | instskip(SKIP_2) | instid1(SALU_CYCLE_2)
	v_readfirstlane_b32 s24, v1
	s_mul_f32 s24, s24, 0x4f7ffffe
	s_wait_alu 0xfffe
	s_cvt_u32_f32 s27, s24
	s_sub_co_i32 s24, 0, s26
	s_wait_alu 0xfffe
	s_delay_alu instid0(SALU_CYCLE_1) | instskip(SKIP_4) | instid1(SALU_CYCLE_1)
	s_mul_i32 s24, s24, s27
	s_wait_alu 0xfffe
	s_mul_hi_u32 s28, s27, s24
	s_load_b64 s[24:25], s[0:1], 0xc8
	s_add_co_i32 s27, s27, s28
	s_mul_hi_u32 s27, s36, s27
	s_delay_alu instid0(SALU_CYCLE_1) | instskip(NEXT) | instid1(SALU_CYCLE_1)
	s_mul_i32 s27, s27, s26
	s_sub_co_i32 s27, s36, s27
	s_delay_alu instid0(SALU_CYCLE_1) | instskip(SKIP_2) | instid1(SALU_CYCLE_1)
	s_sub_co_i32 s28, s27, s26
	s_cmp_ge_u32 s27, s26
	s_cselect_b32 s27, s28, s27
	s_sub_co_i32 s28, s27, s26
	s_cmp_ge_u32 s27, s26
	s_cselect_b32 s26, s28, s27
	s_delay_alu instid0(SALU_CYCLE_1)
	s_ashr_i32 s27, s26, 31
	s_wait_kmcnt 0x0
	s_mul_u64 s[24:25], s[24:25], s[26:27]
	s_wait_alu 0xfffe
	s_add_nc_u64 s[38:39], s[10:11], s[24:25]
.LBB87_2:
	s_clause 0x1
	s_load_b128 s[24:27], s[0:1], 0x40
	s_load_b64 s[10:11], s[0:1], 0x50
	v_mov_b32_e32 v48, 1.0
	s_mov_b32 s43, s41
	s_wait_kmcnt 0x0
	s_cmp_le_f32 s25, 0
	s_cbranch_scc1 .LBB87_4
; %bb.3:
	v_sub_co_u32 v1, s10, s34, s10
	s_and_b32 s28, s10, exec_lo
	s_cselect_b32 s26, s26, s27
	s_add_co_i32 s27, s34, 1
	v_readfirstlane_b32 s25, v1
	s_lshl_b32 s25, s25, 1
	s_wait_alu 0xfffe
	s_or_b32 s25, s25, 1
	s_and_b32 s10, s10, exec_lo
	s_wait_alu 0xfffe
	s_cselect_b32 s10, s27, s25
	s_cmp_neq_f32 s26, 1.0
	s_wait_alu 0xfffe
	s_cvt_f32_i32 s10, s10
	s_wait_alu 0xfffe
	s_delay_alu instid0(SALU_CYCLE_2)
	s_cselect_b32 s25, s10, 1.0
	s_wait_alu 0xfffe
	s_cmp_neq_f32 s25, 0
	s_cselect_b32 s10, s26, 1.0
	s_wait_alu 0xfffe
	v_frexp_mant_f32_e64 v1, |s10|
	s_delay_alu instid0(VALU_DEP_1) | instskip(SKIP_3) | instid1(SALU_CYCLE_1)
	v_readfirstlane_b32 s26, v1
	v_cvt_f64_f32_e64 v[1:2], |s10|
	s_cmp_lt_f32 s26, 0x3f2aaaab
	s_cselect_b32 s27, -1, 0
	s_and_b32 s28, s27, exec_lo
	s_cselect_b32 s28, 2.0, 1.0
	s_delay_alu instid0(SALU_CYCLE_1) | instskip(NEXT) | instid1(SALU_CYCLE_3)
	s_mul_f32 s26, s26, s28
	s_add_f32 s28, s26, 1.0
	s_add_f32 s30, s26, -1.0
	s_delay_alu instid0(SALU_CYCLE_2) | instskip(SKIP_1) | instid1(SALU_CYCLE_3)
	v_s_rcp_f32 s29, s28
	s_add_f32 s44, s28, -1.0
	s_sub_f32 s26, s26, s44
	s_delay_alu instid0(TRANS32_DEP_1) | instskip(NEXT) | instid1(SALU_CYCLE_3)
	s_mul_f32 s33, s30, s29
	s_mul_f32 s35, s28, s33
	s_wait_alu 0xfffe
	s_delay_alu instid0(SALU_CYCLE_2) | instskip(NEXT) | instid1(VALU_DEP_1)
	s_xor_b32 s45, s35, 0x80000000
	v_frexp_exp_i32_f64_e32 v1, v[1:2]
	s_fmac_f32 s45, s33, s28
	s_delay_alu instid0(SALU_CYCLE_3) | instskip(NEXT) | instid1(SALU_CYCLE_3)
	s_fmac_f32 s45, s33, s26
	s_add_f32 s26, s35, s45
	s_delay_alu instid0(SALU_CYCLE_3) | instskip(SKIP_2) | instid1(SALU_CYCLE_1)
	s_sub_f32 s28, s30, s26
	s_sub_f32 s35, s26, s35
	s_wait_alu 0xfffe
	s_sub_f32 s30, s30, s28
	s_delay_alu instid0(SALU_CYCLE_1) | instskip(NEXT) | instid1(SALU_CYCLE_2)
	s_sub_f32 s35, s35, s45
	s_sub_f32 s26, s30, s26
	s_wait_alu 0xfffe
	s_delay_alu instid0(SALU_CYCLE_2) | instskip(SKIP_1) | instid1(SALU_CYCLE_2)
	s_add_f32 s26, s35, s26
	s_mov_b32 s35, 0x3e76c4e1
	s_add_f32 s26, s28, s26
	s_delay_alu instid0(SALU_CYCLE_3) | instskip(NEXT) | instid1(SALU_CYCLE_3)
	s_mul_f32 s26, s29, s26
	s_add_f32 s28, s33, s26
	s_wait_alu 0xfffe
	s_delay_alu instid0(SALU_CYCLE_2) | instskip(SKIP_2) | instid1(SALU_CYCLE_1)
	s_sub_f32 s29, s28, s33
	s_mul_f32 s30, s28, s28
	s_wait_alu 0xfffe
	s_sub_f32 s26, s26, s29
	s_delay_alu instid0(SALU_CYCLE_1) | instskip(SKIP_4) | instid1(SALU_CYCLE_2)
	s_xor_b32 s29, s30, 0x80000000
	s_wait_alu 0xfffe
	s_fmac_f32 s29, s28, s28
	s_add_f32 s33, s26, s26
	s_wait_alu 0xfffe
	s_fmac_f32 s29, s28, s33
	s_wait_alu 0xfffe
	s_delay_alu instid0(SALU_CYCLE_2) | instskip(NEXT) | instid1(SALU_CYCLE_3)
	s_add_f32 s33, s30, s29
	s_fmaak_f32 s35, s33, s35, 0x3e91f4c4
	s_sub_f32 s30, s33, s30
	s_wait_alu 0xfffe
	s_delay_alu instid0(SALU_CYCLE_1) | instskip(NEXT) | instid1(SALU_CYCLE_1)
	s_fmaak_f32 s35, s33, s35, 0x3ecccdef
	s_sub_f32 s29, s29, s30
	s_mul_f32 s30, s28, s33
	s_wait_alu 0xfffe
	s_mul_f32 s44, s33, s35
	s_delay_alu instid0(SALU_CYCLE_1) | instskip(NEXT) | instid1(SALU_CYCLE_2)
	s_xor_b32 s46, s30, 0x80000000
	s_xor_b32 s45, s44, 0x80000000
	s_fmac_f32 s46, s33, s28
	s_fmac_f32 s45, s33, s35
	s_delay_alu instid0(SALU_CYCLE_2) | instskip(NEXT) | instid1(SALU_CYCLE_2)
	s_fmac_f32 s46, s33, s26
	s_fmac_f32 s45, s29, s35
	s_delay_alu instid0(SALU_CYCLE_2) | instskip(NEXT) | instid1(SALU_CYCLE_2)
	s_fmac_f32 s46, s29, s28
	s_add_f32 s35, s44, s45
	s_wait_alu 0xfffe
	s_delay_alu instid0(SALU_CYCLE_2) | instskip(SKIP_1) | instid1(SALU_CYCLE_2)
	s_sub_f32 s44, s35, s44
	s_add_f32 s47, s35, 0x3f2aaaaa
	s_sub_f32 s44, s45, s44
	s_delay_alu instid0(SALU_CYCLE_2) | instskip(NEXT) | instid1(SALU_CYCLE_2)
	s_add_f32 s45, s47, 0xbf2aaaaa
	s_add_f32 s33, s44, 0x31739010
	s_delay_alu instid0(SALU_CYCLE_2) | instskip(SKIP_1) | instid1(SALU_CYCLE_2)
	s_sub_f32 s35, s35, s45
	s_wait_alu 0xfffe
	s_add_f32 s29, s33, s35
	s_add_f32 s33, s30, s46
	s_wait_alu 0xfffe
	s_delay_alu instid0(SALU_CYCLE_1) | instskip(NEXT) | instid1(SALU_CYCLE_1)
	s_add_f32 s35, s47, s29
	s_sub_f32 s30, s33, s30
	s_wait_alu 0xfffe
	s_delay_alu instid0(SALU_CYCLE_1) | instskip(SKIP_2) | instid1(SALU_CYCLE_1)
	s_mul_f32 s44, s33, s35
	s_sub_f32 s45, s47, s35
	s_sub_f32 s30, s46, s30
	s_xor_b32 s47, s44, 0x80000000
	s_delay_alu instid0(SALU_CYCLE_1)
	s_add_f32 s29, s29, s45
	s_fmac_f32 s47, s33, s35
	v_readfirstlane_b32 s45, v1
	v_ldexp_f32 v1, s28, 1
	s_cmp_lg_u32 s27, 0
	s_wait_alu 0xfffe
	s_fmac_f32 s47, s33, s29
	s_sub_co_ci_u32 s27, s45, 0
	v_readfirstlane_b32 s28, v1
	s_delay_alu instid0(SALU_CYCLE_1) | instskip(SKIP_2) | instid1(SALU_CYCLE_1)
	s_fmac_f32 s47, s30, s35
	s_cvt_f32_i32 s27, s27
	v_ldexp_f32 v1, s26, 1
	s_add_f32 s29, s44, s47
	s_delay_alu instid0(SALU_CYCLE_1) | instskip(NEXT) | instid1(VALU_DEP_1)
	s_mul_f32 s26, s27, 0x3f317218
	v_readfirstlane_b32 s35, v1
	s_wait_alu 0xfffe
	s_add_f32 s30, s28, s29
	s_sub_f32 s33, s29, s44
	s_xor_b32 s44, s26, 0x80000000
	s_delay_alu instid0(SALU_CYCLE_1) | instskip(NEXT) | instid1(SALU_CYCLE_1)
	s_sub_f32 s28, s30, s28
	s_sub_f32 s33, s47, s33
	s_fmamk_f32 s44, s27, 0x3f317218, s44
	s_wait_alu 0xfffe
	s_sub_f32 s28, s29, s28
	s_add_f32 s29, s35, s33
	s_fmamk_f32 s27, s27, 0xb102e308, s44
	s_wait_alu 0xfffe
	s_delay_alu instid0(SALU_CYCLE_1) | instskip(NEXT) | instid1(SALU_CYCLE_1)
	s_add_f32 s28, s29, s28
	s_add_f32 s29, s26, s27
	s_wait_alu 0xfffe
	s_delay_alu instid0(SALU_CYCLE_1) | instskip(NEXT) | instid1(SALU_CYCLE_1)
	s_add_f32 s33, s30, s28
	s_sub_f32 s26, s29, s26
	s_delay_alu instid0(SALU_CYCLE_2)
	s_add_f32 s35, s29, s33
	s_sub_f32 s30, s33, s30
	s_wait_alu 0xfffe
	s_sub_f32 s26, s27, s26
	s_sub_f32 s44, s35, s29
	s_sub_f32 s27, s28, s30
	s_delay_alu instid0(SALU_CYCLE_2)
	s_sub_f32 s45, s35, s44
	s_sub_f32 s28, s33, s44
	s_wait_alu 0xfffe
	s_add_f32 s30, s26, s27
	s_sub_f32 s29, s29, s45
	s_wait_alu 0xfffe
	s_delay_alu instid0(SALU_CYCLE_2) | instskip(SKIP_2) | instid1(SALU_CYCLE_1)
	s_add_f32 s28, s28, s29
	s_sub_f32 s29, s30, s26
	s_wait_alu 0xfffe
	s_add_f32 s28, s30, s28
	s_delay_alu instid0(SALU_CYCLE_1) | instskip(SKIP_4) | instid1(SALU_CYCLE_2)
	s_sub_f32 s30, s30, s29
	s_sub_f32 s27, s27, s29
	s_wait_alu 0xfffe
	s_add_f32 s33, s35, s28
	s_sub_f32 s26, s26, s30
	s_sub_f32 s29, s33, s35
	s_wait_alu 0xfffe
	s_delay_alu instid0(SALU_CYCLE_1) | instskip(NEXT) | instid1(SALU_CYCLE_1)
	s_add_f32 s26, s27, s26
	s_sub_f32 s27, s28, s29
	s_wait_alu 0xfffe
	s_delay_alu instid0(SALU_CYCLE_2) | instskip(SKIP_1) | instid1(SALU_CYCLE_2)
	s_add_f32 s26, s26, s27
	s_wait_alu 0xfffe
	s_add_f32 s27, s33, s26
	s_wait_alu 0xfffe
	s_delay_alu instid0(SALU_CYCLE_2) | instskip(SKIP_2) | instid1(SALU_CYCLE_1)
	s_mul_f32 s28, s25, s27
	s_sub_f32 s29, s27, s33
	s_wait_alu 0xfffe
	s_xor_b32 s30, s28, 0x80000000
	s_delay_alu instid0(SALU_CYCLE_1) | instskip(SKIP_2) | instid1(SALU_CYCLE_2)
	s_sub_f32 s26, s26, s29
	s_fmac_f32 s30, s25, s27
	s_wait_alu 0xfffe
	s_fmac_f32 s30, s25, s26
	v_cmp_class_f32_e64 s26, s28, 0x204
	s_delay_alu instid0(SALU_CYCLE_2) | instskip(SKIP_2) | instid1(SALU_CYCLE_1)
	s_add_f32 s27, s28, s30
	s_and_b32 s26, s26, exec_lo
	s_wait_alu 0xfffe
	s_sub_f32 s26, s27, s28
	s_cselect_b32 s27, s28, s27
	s_wait_alu 0xfffe
	s_and_b32 s28, s27, 0x7fffffff
	s_sub_f32 s26, s30, s26
	s_wait_alu 0xfffe
	s_cmp_neq_f32 s28, 0x7f800000
	s_delay_alu instid0(SALU_CYCLE_1)
	s_cselect_b32 s26, s26, 0
	s_cmp_eq_f32 s27, 0x42b17218
	s_cselect_b32 s28, 0x37000000, 0
	s_wait_alu 0xfffe
	s_sub_f32 s27, s27, s28
	s_add_f32 s26, s28, s26
	s_wait_alu 0xfffe
	s_delay_alu instid0(SALU_CYCLE_1) | instskip(SKIP_1) | instid1(SALU_CYCLE_2)
	s_mul_f32 s29, s27, 0x3fb8aa3b
	s_wait_alu 0xfffe
	s_xor_b32 s30, s29, 0x80000000
	s_rndne_f32 s33, s29
	s_fmamk_f32 s30, s27, 0x3fb8aa3b, s30
	s_cmp_nlt_f32 s27, 0xc2ce8ed0
	s_delay_alu instid0(SALU_CYCLE_1) | instskip(NEXT) | instid1(SALU_CYCLE_1)
	s_sub_f32 s29, s29, s33
	s_fmamk_f32 s30, s27, 0x32a5705f, s30
	s_cselect_b32 vcc_lo, -1, 0
	s_cmp_ngt_f32 s27, 0x42b17218
	s_trunc_f32 s27, s25
	s_wait_alu 0xfffe
	s_add_f32 s29, s29, s30
	s_cvt_i32_f32 s30, s33
	s_wait_alu 0xfffe
	s_delay_alu instid0(SALU_CYCLE_1) | instskip(SKIP_1) | instid1(TRANS32_DEP_1)
	v_s_exp_f32 s29, s29
	s_wait_alu 0xf1ff
	v_ldexp_f32 v1, s29, s30
	s_mul_f32 s29, s25, 0.5
	s_delay_alu instid0(VALU_DEP_1)
	v_cndmask_b32_e32 v1, 0, v1, vcc_lo
	s_cselect_b32 vcc_lo, -1, 0
	s_cmp_eq_f32 s27, s25
	s_wait_alu 0xfffe
	s_trunc_f32 s30, s29
	v_cndmask_b32_e32 v1, 0x7f800000, v1, vcc_lo
	s_cselect_b32 s33, -1, 0
	s_wait_alu 0xfffe
	s_cmp_neq_f32 s30, s29
	s_delay_alu instid0(VALU_DEP_1)
	v_fma_f32 v2, s26, v1, v1
	v_cmp_class_f32_e64 vcc_lo, v1, 0x204
	s_cselect_b32 s28, -1, 0
	s_wait_alu 0xfffe
	s_and_b32 s26, s33, s28
	s_wait_alu 0xfffd
	v_cndmask_b32_e32 v1, v2, v1, vcc_lo
	s_wait_alu 0xfffe
	s_and_b32 s28, s26, exec_lo
	s_cselect_b32 s28, s10, 1.0
	s_cmp_eq_f32 s27, s25
	v_cmp_class_f32_e64 s27, s10, 0x204
	s_wait_alu 0xfffe
	v_bfi_b32 v1, 0x7fffffff, v1, s28
	s_cselect_b32 vcc_lo, -1, 0
	s_cmp_lt_f32 s10, 0
	s_wait_alu 0xfffe
	s_delay_alu instid0(VALU_DEP_1) | instskip(SKIP_3) | instid1(VALU_DEP_1)
	v_cndmask_b32_e32 v2, 0x7fc00000, v1, vcc_lo
	s_cselect_b32 vcc_lo, -1, 0
	s_cmp_eq_f32 s10, 0
	s_wait_alu 0xfffe
	v_cndmask_b32_e32 v1, v1, v2, vcc_lo
	s_cselect_b32 s28, -1, 0
	s_wait_alu 0xfffe
	s_or_b32 vcc_lo, s28, s27
	s_cmp_lt_f32 s25, 0
	s_cselect_b32 s25, -1, 0
	s_wait_alu 0xfffe
	s_xor_b32 s25, s25, s28
	s_wait_alu 0xfffe
	s_and_b32 s25, s25, exec_lo
	s_cselect_b32 s25, 0, 0x7f800000
	s_and_b32 s26, s26, exec_lo
	s_cselect_b32 s26, s10, 0
	s_cmp_o_f32 s10, s10
	s_wait_alu 0xfffe
	v_mov_b32_e32 v2, s26
	s_delay_alu instid0(VALU_DEP_1) | instskip(NEXT) | instid1(VALU_DEP_1)
	v_bfi_b32 v2, 0x7fffffff, s25, v2
	v_cndmask_b32_e32 v1, v1, v2, vcc_lo
	s_cselect_b32 vcc_lo, -1, 0
	s_wait_alu 0xfffe
	s_delay_alu instid0(VALU_DEP_1)
	v_cndmask_b32_e32 v48, 0x7fc00000, v1, vcc_lo
.LBB87_4:
	v_bfe_u32 v37, v0, 10, 10
	s_lshl_b32 s33, ttmp9, 5
	s_load_b96 s[28:30], s[0:1], 0x70
	v_and_b32_e32 v33, 0x3ff, v0
	s_ashr_i32 s35, s34, 31
	v_lshlrev_b32_e32 v30, 2, v37
	v_lshlrev_b32_e32 v35, 10, v37
	s_delay_alu instid0(VALU_DEP_3) | instskip(NEXT) | instid1(VALU_DEP_3)
	v_dual_mov_b32 v21, 0 :: v_dual_lshlrev_b32 v36, 3, v33
	v_or_b32_e32 v24, 3, v30
	v_or_b32_e32 v26, 2, v30
	;; [unrolled: 1-line block ×3, first 2 shown]
	s_delay_alu instid0(VALU_DEP_4) | instskip(NEXT) | instid1(VALU_DEP_4)
	v_add_nc_u32_e32 v16, 0x6800, v36
	v_add_nc_u32_e32 v25, s33, v24
	s_delay_alu instid0(VALU_DEP_3) | instskip(NEXT) | instid1(VALU_DEP_3)
	v_add_nc_u32_e32 v31, s33, v27
	v_add_nc_u32_e32 v17, v16, v35
	v_lshl_add_u32 v18, v27, 8, v16
	s_delay_alu instid0(VALU_DEP_4)
	v_mul_hi_u32 v3, v25, s20
	v_lshl_add_u32 v19, v26, 8, v16
	s_wait_kmcnt 0x0
	s_mul_i32 s44, s34, s29
	s_ashr_i32 s29, s28, 31
	v_mul_hi_u32 v0, v31, s20
	s_wait_alu 0xfffe
	s_lshr_b64 s[46:47], s[28:29], 2
	s_lshr_b32 s10, s29, 2
	s_mul_i32 s26, s36, s30
	v_add_nc_u32_e32 v3, v25, v3
	s_wait_alu 0xfffe
	s_ashr_i32 s27, s26, 31
	s_ashr_i32 s45, s44, 31
	s_wait_alu 0xfffe
	s_add_nc_u64 s[4:5], s[4:5], s[26:27]
	v_add_nc_u32_e32 v0, v31, v0
	v_lshrrev_b32_e32 v3, s21, v3
	s_wait_alu 0xfffe
	s_add_nc_u64 s[4:5], s[4:5], s[44:45]
	v_lshl_add_u32 v16, v24, 8, v16
	v_lshrrev_b32_e32 v0, s21, v0
	v_mul_lo_u32 v3, v3, s22
	s_delay_alu instid0(VALU_DEP_2) | instskip(NEXT) | instid1(VALU_DEP_2)
	v_mul_lo_u32 v4, v0, s22
	v_sub_nc_u32_e32 v13, v25, v3
	s_delay_alu instid0(VALU_DEP_2) | instskip(NEXT) | instid1(VALU_DEP_2)
	v_sub_nc_u32_e32 v10, v31, v4
	v_mad_co_u64_u32 v[6:7], null, s46, v13, 0
	v_add_nc_u32_e32 v28, s33, v26
	s_delay_alu instid0(VALU_DEP_1) | instskip(NEXT) | instid1(VALU_DEP_1)
	v_mul_hi_u32 v2, v28, s20
	v_add_nc_u32_e32 v2, v28, v2
	s_delay_alu instid0(VALU_DEP_1) | instskip(NEXT) | instid1(VALU_DEP_1)
	v_lshrrev_b32_e32 v2, s21, v2
	v_mul_lo_u32 v2, v2, s22
	s_delay_alu instid0(VALU_DEP_1) | instskip(SKIP_1) | instid1(VALU_DEP_2)
	v_sub_nc_u32_e32 v11, v28, v2
	v_mad_co_u64_u32 v[2:3], null, s46, v10, 0
	v_mad_co_u64_u32 v[4:5], null, s46, v11, 0
	v_add_nc_u32_e32 v32, s33, v30
	s_delay_alu instid0(VALU_DEP_1) | instskip(NEXT) | instid1(VALU_DEP_1)
	v_mul_hi_u32 v1, v32, s20
	v_add_nc_u32_e32 v1, v32, v1
	s_delay_alu instid0(VALU_DEP_1) | instskip(NEXT) | instid1(VALU_DEP_1)
	v_lshrrev_b32_e32 v1, s21, v1
	v_mul_lo_u32 v1, v1, s22
	s_delay_alu instid0(VALU_DEP_1) | instskip(NEXT) | instid1(VALU_DEP_1)
	v_sub_nc_u32_e32 v53, v32, v1
	v_mad_co_u64_u32 v[0:1], null, s46, v53, 0
	s_delay_alu instid0(VALU_DEP_1) | instskip(SKIP_3) | instid1(VALU_DEP_3)
	v_mad_co_u64_u32 v[8:9], null, s10, v53, v[1:2]
	v_mov_b32_e32 v1, v3
	v_mov_b32_e32 v3, v5
	v_dual_mov_b32 v5, v7 :: v_dual_lshlrev_b32 v12, 4, v33
	v_mad_co_u64_u32 v[9:10], null, s10, v10, v[1:2]
	v_mov_b32_e32 v1, v8
	s_delay_alu instid0(VALU_DEP_4) | instskip(NEXT) | instid1(VALU_DEP_4)
	v_mad_co_u64_u32 v[7:8], null, s10, v11, v[3:4]
	v_mad_co_u64_u32 v[10:11], null, s10, v13, v[5:6]
	s_delay_alu instid0(VALU_DEP_3)
	v_lshlrev_b64_e32 v[0:1], 2, v[0:1]
	v_mov_b32_e32 v3, v9
	s_wait_alu 0xfffe
	v_add_co_u32 v12, s4, s4, v12
	v_mov_b32_e32 v5, v7
	s_wait_alu 0xf1ff
	v_add_co_ci_u32_e64 v13, null, s5, 0, s4
	v_mov_b32_e32 v7, v10
	v_lshlrev_b64_e32 v[8:9], 2, v[2:3]
	v_add_co_u32 v0, vcc_lo, v12, v0
	v_lshlrev_b64_e32 v[4:5], 2, v[4:5]
	s_wait_alu 0xfffd
	v_add_co_ci_u32_e64 v1, null, v13, v1, vcc_lo
	v_lshlrev_b64_e32 v[10:11], 2, v[6:7]
	v_add_co_u32 v6, vcc_lo, v12, v8
	s_wait_alu 0xfffd
	v_add_co_ci_u32_e64 v7, null, v13, v9, vcc_lo
	v_add_co_u32 v8, vcc_lo, v12, v4
	global_load_b128 v[0:3], v[0:1], off
	s_wait_alu 0xfffd
	v_add_co_ci_u32_e64 v9, null, v13, v5, vcc_lo
	v_add_co_u32 v12, vcc_lo, v12, v10
	s_wait_alu 0xfffd
	v_add_co_ci_u32_e64 v13, null, v13, v11, vcc_lo
	s_clause 0x2
	global_load_b128 v[4:7], v[6:7], off
	global_load_b128 v[8:11], v[8:9], off
	global_load_b128 v[12:15], v[12:13], off
	s_ashr_i32 s10, s37, 31
	s_mul_u64 s[4:5], s[40:41], s[42:43]
	s_mov_b32 s37, 0
	s_cmp_eq_u64 s[14:15], 0
	s_wait_loadcnt 0x3
	v_fma_mixlo_f16 v1, s24, v1, 0
	v_fma_mixlo_f16 v0, s24, v0, 0
	;; [unrolled: 1-line block ×4, first 2 shown]
	s_delay_alu instid0(VALU_DEP_4) | instskip(NEXT) | instid1(VALU_DEP_4)
	v_lshlrev_b32_e32 v1, 16, v1
	v_and_b32_e32 v0, 0xffff, v0
	s_delay_alu instid0(VALU_DEP_4) | instskip(NEXT) | instid1(VALU_DEP_4)
	v_lshlrev_b32_e32 v3, 16, v3
	v_and_b32_e32 v2, 0xffff, v2
	s_wait_loadcnt 0x2
	v_fma_mixlo_f16 v4, s24, v4, 0
	v_fma_mixlo_f16 v5, s24, v5, 0
	;; [unrolled: 1-line block ×4, first 2 shown]
	s_wait_loadcnt 0x1
	v_fma_mixlo_f16 v8, s24, v8, 0
	v_fma_mixlo_f16 v9, s24, v9, 0
	;; [unrolled: 1-line block ×4, first 2 shown]
	s_wait_loadcnt 0x0
	v_fma_mixlo_f16 v12, s24, v12, 0
	v_fma_mixlo_f16 v13, s24, v13, 0
	v_or_b32_e32 v0, v1, v0
	v_or3_b32 v1, v3, v2, 0
	v_lshlrev_b32_e32 v2, 16, v5
	v_and_b32_e32 v3, 0xffff, v4
	v_lshlrev_b32_e32 v4, 16, v7
	v_and_b32_e32 v5, 0xffff, v6
	;; [unrolled: 2-line block ×3, first 2 shown]
	v_fma_mixlo_f16 v14, s24, v14, 0
	v_fma_mixlo_f16 v15, s24, v15, 0
	v_lshlrev_b32_e32 v8, 16, v11
	v_and_b32_e32 v9, 0xffff, v10
	v_lshlrev_b32_e32 v10, 16, v13
	v_and_b32_e32 v11, 0xffff, v12
	v_or_b32_e32 v2, v2, v3
	v_or3_b32 v3, v4, v5, 0
	v_or_b32_e32 v4, v6, v7
	v_lshlrev_b32_e32 v12, 16, v15
	v_and_b32_e32 v13, 0xffff, v14
	v_or_b32_e32 v6, v10, v11
	v_or3_b32 v0, 0, 0, v0
	v_or3_b32 v2, 0, 0, v2
	;; [unrolled: 1-line block ×6, first 2 shown]
	ds_store_b64 v17, v[0:1]
	ds_store_b64 v18, v[2:3]
	;; [unrolled: 1-line block ×4, first 2 shown]
	s_wait_dscnt 0x0
	s_barrier_signal -1
	s_barrier_wait -1
	global_inv scope:SCOPE_SE
	s_cbranch_scc1 .LBB87_6
; %bb.5:
	s_load_b32 s2, s[0:1], 0xd0
	s_mov_b32 s25, s37
	s_wait_kmcnt 0x0
	s_mul_i32 s2, s2, s36
	s_delay_alu instid0(SALU_CYCLE_1)
	s_add_co_i32 s24, s2, ttmp9
	s_wait_alu 0xfffe
	s_lshl_b64 s[24:25], s[24:25], 2
	s_wait_alu 0xfffe
	s_add_nc_u64 s[14:15], s[14:15], s[24:25]
	s_load_b32 s2, s[14:15], 0x0
.LBB87_6:
	s_clause 0x2
	s_load_b64 s[14:15], s[0:1], 0x8c
	s_load_b128 s[24:27], s[0:1], 0x98
	s_load_b64 s[42:43], s[0:1], 0xa8
	s_mul_i32 s4, s5, s3
	s_ashr_i32 s30, s31, 1
	s_wait_alu 0xfffe
	s_sub_co_i32 s4, s40, s4
	s_xor_b32 s29, s35, s10
	s_add_co_i32 s10, s5, 1
	s_wait_alu 0xfffe
	s_sub_co_i32 s31, s4, s3
	v_lshlrev_b32_e32 v29, 2, v33
	v_lshrrev_b32_e32 v61, 3, v33
	v_mul_u32_u24_e32 v54, 0x90, v33
	v_or_b32_e32 v52, 1, v32
	v_or_b32_e32 v51, 2, v32
	;; [unrolled: 1-line block ×3, first 2 shown]
	v_add_nc_u32_e32 v44, 0x4800, v35
	v_lshrrev_b32_e32 v39, 4, v33
	v_and_b32_e32 v60, 28, v29
	v_and_b32_e32 v38, 60, v29
	v_mbcnt_lo_u32_b32 v34, -1, 0
	s_wait_kmcnt 0x0
	s_ashr_i32 s28, s14, 2
	s_ashr_i32 s14, s26, 2
	s_cmp_ge_u32 s4, s3
	s_mul_u64 s[24:25], s[24:25], s[36:37]
	s_cselect_b32 s10, s10, s5
	s_wait_alu 0xfffe
	s_cselect_b32 s4, s31, s4
	s_add_co_i32 s26, s10, 1
	s_wait_alu 0xfffe
	s_cmp_ge_u32 s4, s3
	s_mul_u64 s[40:41], s[42:43], s[36:37]
	s_cselect_b32 s3, s26, s10
	s_add_nc_u64 s[4:5], s[6:7], s[24:25]
	s_xor_b32 s3, s3, s29
	s_add_nc_u64 s[6:7], s[8:9], s[40:41]
	s_sub_co_i32 s25, s3, s29
	s_and_b32 s10, ttmp7, 0xffff
	s_wait_alu 0xfffe
	s_mul_i32 s8, s25, s15
	s_mul_i32 s26, s25, s27
	s_add_co_i32 s3, s2, 0xffffff80
	s_lshl_b32 s24, s10, 7
	s_ashr_i32 s9, s8, 31
	s_wait_alu 0xfffe
	s_ashr_i32 s27, s26, 31
	s_add_nc_u64 s[4:5], s[4:5], s[8:9]
	s_cmp_ge_i32 s24, s3
	s_wait_alu 0xfffe
	s_add_nc_u64 s[26:27], s[6:7], s[26:27]
	s_cbranch_scc1 .LBB87_110
; %bb.7:
	v_dual_mov_b32 v40, 0 :: v_dual_add_nc_u32 v1, v61, v30
	v_dual_mov_b32 v41, 0 :: v_dual_lshlrev_b32 v2, 2, v60
	s_lshl_b32 s6, s28, 5
	s_delay_alu instid0(VALU_DEP_2)
	v_mul_lo_u32 v0, s28, v1
	v_mul_hi_u32 v3, s20, v52
	v_mul_hi_u32 v4, s20, v51
	;; [unrolled: 1-line block ×3, first 2 shown]
	v_lshl_add_u32 v6, v37, 1, v39
	v_mad_u32_u24 v56, 0x90, v1, v2
	s_ashr_i32 s29, s28, 31
	s_cmp_lg_u64 s[38:39], 0
	v_dual_mov_b32 v43, 0 :: v_dual_add_nc_u32 v2, s6, v0
	v_mul_lo_u32 v12, s14, v6
	v_dual_mov_b32 v80, 0xfeffffff :: v_dual_add_nc_u32 v3, v52, v3
	s_delay_alu instid0(VALU_DEP_3) | instskip(SKIP_2) | instid1(VALU_DEP_3)
	v_dual_mov_b32 v47, 0 :: v_dual_add_nc_u32 v8, s6, v2
	v_dual_mov_b32 v45, 0 :: v_dual_add_nc_u32 v4, v51, v4
	;; [unrolled: 1-line block ×4, first 2 shown]
	s_cselect_b32 s8, -1, 0
	s_lshl_b32 s6, s14, 4
	v_lshrrev_b32_e32 v7, s21, v3
	v_lshrrev_b32_e32 v4, s21, v4
	;; [unrolled: 1-line block ×3, first 2 shown]
	s_wait_alu 0xfffe
	v_dual_mov_b32 v79, 0 :: v_dual_add_nc_u32 v14, s6, v12
	v_mul_lo_u32 v7, v7, s22
	v_mul_lo_u32 v4, v4, s22
	;; [unrolled: 1-line block ×3, first 2 shown]
	s_delay_alu instid0(VALU_DEP_4) | instskip(SKIP_2) | instid1(VALU_DEP_3)
	v_dual_mov_b32 v77, 0 :: v_dual_add_nc_u32 v16, s6, v14
	v_dual_mov_b32 v78, 0xfeffffff :: v_dual_lshlrev_b32 v13, 2, v38
	v_ashrrev_i32_e32 v1, 31, v0
	v_dual_mov_b32 v73, 0 :: v_dual_add_nc_u32 v18, s6, v16
	v_sub_nc_u32_e32 v7, v52, v7
	v_sub_nc_u32_e32 v4, v51, v4
	;; [unrolled: 1-line block ×3, first 2 shown]
	v_ashrrev_i32_e32 v3, 31, v2
	v_ashrrev_i32_e32 v9, 31, v8
	v_ashrrev_i32_e32 v11, 31, v10
	v_lshl_or_b32 v64, v6, 8, v13
	v_ashrrev_i32_e32 v13, 31, v12
	v_ashrrev_i32_e32 v15, 31, v14
	;; [unrolled: 1-line block ×4, first 2 shown]
	v_mul_lo_u32 v62, v53, s30
	v_mul_lo_u32 v63, v7, s30
	v_mul_lo_u32 v65, v4, s30
	v_mul_lo_u32 v66, v5, s30
	v_lshlrev_b64_e32 v[4:5], 2, v[0:1]
	v_lshlrev_b64_e32 v[6:7], 2, v[2:3]
	;; [unrolled: 1-line block ×8, first 2 shown]
	v_dual_mov_b32 v42, 0 :: v_dual_add_nc_u32 v55, 0x6800, v35
	v_dual_mov_b32 v74, 0 :: v_dual_add_nc_u32 v57, 0x1200, v56
	;; [unrolled: 1-line block ×3, first 2 shown]
	v_add_nc_u32_e32 v59, 0x3600, v56
	v_add_nc_u32_e32 v67, 0x1000, v64
	;; [unrolled: 1-line block ×4, first 2 shown]
	v_lshlrev_b32_e32 v70, 2, v60
	v_dual_mov_b32 v76, 0xfeffffff :: v_dual_lshlrev_b32 v71, 2, v38
	v_mbcnt_lo_u32_b32 v72, -1, 0
	s_ashr_i32 s15, s14, 31
	s_add_nc_u64 s[6:7], s[0:1], 0xd0
	s_mov_b32 s9, 0xbbbac73d
.LBB87_8:                               ; =>This Inner Loop Header: Depth=1
	s_ashr_i32 s25, s24, 31
	v_mov_b32_e32 v93, 0
	s_wait_alu 0xfffe
	s_mul_u64 s[40:41], s[24:25], s[28:29]
	v_dual_mov_b32 v89, 0 :: v_dual_mov_b32 v90, 0
	s_wait_alu 0xfffe
	s_lshl_b64 s[40:41], s[40:41], 2
	v_dual_mov_b32 v85, 0 :: v_dual_mov_b32 v86, 0
	s_wait_alu 0xfffe
	s_add_nc_u64 s[40:41], s[4:5], s[40:41]
	v_dual_mov_b32 v91, 0 :: v_dual_mov_b32 v92, 0
	s_wait_alu 0xfffe
	v_add_co_u32 v0, vcc_lo, s40, v4
	s_wait_alu 0xfffd
	v_add_co_ci_u32_e64 v1, null, s41, v5, vcc_lo
	v_add_co_u32 v2, vcc_lo, s40, v6
	s_wait_alu 0xfffd
	v_add_co_ci_u32_e64 v3, null, s41, v7, vcc_lo
	;; [unrolled: 3-line block ×8, first 2 shown]
	s_clause 0x3
	global_load_b128 v[81:84], v[0:1], off
	global_load_b128 v[94:97], v[2:3], off
	;; [unrolled: 1-line block ×4, first 2 shown]
	v_dual_mov_b32 v87, 0 :: v_dual_mov_b32 v88, 0
	s_wait_loadcnt 0x3
	ds_store_b128 v56, v[81:84]
	s_wait_loadcnt 0x2
	ds_store_b128 v57, v[94:97]
	;; [unrolled: 2-line block ×4, first 2 shown]
	s_wait_dscnt 0x0
	s_barrier_signal -1
	s_barrier_wait -1
	global_inv scope:SCOPE_SE
	ds_load_b128 v[97:100], v54
	ds_load_b128 v[101:104], v55
	v_mov_b32_e32 v94, 0
	ds_load_b128 v[105:108], v55 offset:256
	ds_load_b128 v[117:120], v54 offset:4608
	ds_load_b128 v[109:112], v55 offset:512
	ds_load_b128 v[113:116], v55 offset:768
	ds_load_b128 v[121:124], v54 offset:9216
	ds_load_b128 v[125:128], v54 offset:13824
	s_wait_dscnt 0x6
	;;#ASMSTART
	v_dot2_f32_f16 v93, v97, v101, v93
	;;#ASMEND
	;;#ASMSTART
	v_dot2_f32_f16 v93, v98, v102, v93
	;;#ASMEND
	;; [unrolled: 3-line block ×4, first 2 shown]
	s_wait_dscnt 0x5
	;;#ASMSTART
	v_dot2_f32_f16 v89, v97, v105, v89
	;;#ASMEND
	;;#ASMSTART
	v_dot2_f32_f16 v89, v98, v106, v89
	;;#ASMEND
	;; [unrolled: 3-line block ×4, first 2 shown]
	s_wait_dscnt 0x3
	;;#ASMSTART
	v_dot2_f32_f16 v85, v97, v109, v85
	;;#ASMEND
	;;#ASMSTART
	v_dot2_f32_f16 v85, v98, v110, v85
	;;#ASMEND
	v_dual_mov_b32 v81, 0 :: v_dual_mov_b32 v82, 0
	;;#ASMSTART
	v_dot2_f32_f16 v85, v99, v111, v85
	;;#ASMEND
	;;#ASMSTART
	v_dot2_f32_f16 v85, v100, v112, v85
	;;#ASMEND
	s_wait_dscnt 0x2
	;;#ASMSTART
	v_dot2_f32_f16 v81, v97, v113, v81
	;;#ASMEND
	;;#ASMSTART
	v_dot2_f32_f16 v81, v98, v114, v81
	;;#ASMEND
	;; [unrolled: 3-line block ×18, first 2 shown]
	v_dual_mov_b32 v95, 0 :: v_dual_mov_b32 v96, 0
	;;#ASMSTART
	v_dot2_f32_f16 v82, v119, v115, v82
	;;#ASMEND
	;;#ASMSTART
	v_dot2_f32_f16 v82, v120, v116, v82
	;;#ASMEND
	s_wait_dscnt 0x1
	;;#ASMSTART
	v_dot2_f32_f16 v95, v121, v101, v95
	;;#ASMEND
	;;#ASMSTART
	v_dot2_f32_f16 v95, v122, v102, v95
	;;#ASMEND
	;;#ASMSTART
	v_dot2_f32_f16 v95, v123, v103, v95
	;;#ASMEND
	;;#ASMSTART
	v_dot2_f32_f16 v95, v124, v104, v95
	;;#ASMEND
	;;#ASMSTART
	v_dot2_f32_f16 v91, v121, v105, v91
	;;#ASMEND
	;;#ASMSTART
	v_dot2_f32_f16 v91, v122, v106, v91
	;;#ASMEND
	;;#ASMSTART
	v_dot2_f32_f16 v91, v123, v107, v91
	;;#ASMEND
	;;#ASMSTART
	v_dot2_f32_f16 v91, v124, v108, v91
	;;#ASMEND
	;;#ASMSTART
	v_dot2_f32_f16 v87, v121, v109, v87
	;;#ASMEND
	;;#ASMSTART
	v_dot2_f32_f16 v87, v122, v110, v87
	;;#ASMEND
	v_dual_mov_b32 v83, 0 :: v_dual_mov_b32 v84, 0
	;;#ASMSTART
	v_dot2_f32_f16 v87, v123, v111, v87
	;;#ASMEND
	;;#ASMSTART
	v_dot2_f32_f16 v87, v124, v112, v87
	;;#ASMEND
	;; [unrolled: 3-line block ×6, first 2 shown]
	s_wait_dscnt 0x0
	;;#ASMSTART
	v_dot2_f32_f16 v96, v125, v101, v96
	;;#ASMEND
	;;#ASMSTART
	v_dot2_f32_f16 v96, v126, v102, v96
	;;#ASMEND
	;; [unrolled: 3-line block ×16, first 2 shown]
	ds_load_b128 v[97:100], v54 offset:16
	ds_load_b128 v[101:104], v55 offset:16
	ds_load_b128 v[105:108], v55 offset:272
	ds_load_b128 v[109:112], v55 offset:528
	ds_load_b128 v[113:116], v55 offset:784
	ds_load_b128 v[117:120], v54 offset:4624
	ds_load_b128 v[121:124], v54 offset:9232
	ds_load_b128 v[125:128], v54 offset:13840
	s_wait_dscnt 0x6
	;;#ASMSTART
	v_dot2_f32_f16 v93, v97, v101, v93
	;;#ASMEND
	;;#ASMSTART
	v_dot2_f32_f16 v93, v98, v102, v93
	;;#ASMEND
	;;#ASMSTART
	v_dot2_f32_f16 v93, v99, v103, v93
	;;#ASMEND
	;;#ASMSTART
	v_dot2_f32_f16 v93, v100, v104, v93
	;;#ASMEND
	s_wait_dscnt 0x5
	;;#ASMSTART
	v_dot2_f32_f16 v89, v97, v105, v89
	;;#ASMEND
	;;#ASMSTART
	v_dot2_f32_f16 v89, v98, v106, v89
	;;#ASMEND
	;;#ASMSTART
	v_dot2_f32_f16 v89, v99, v107, v89
	;;#ASMEND
	;;#ASMSTART
	v_dot2_f32_f16 v89, v100, v108, v89
	;;#ASMEND
	;; [unrolled: 13-line block ×5, first 2 shown]
	;;#ASMSTART
	v_dot2_f32_f16 v90, v117, v105, v90
	;;#ASMEND
	;;#ASMSTART
	v_dot2_f32_f16 v90, v118, v106, v90
	;;#ASMEND
	;; [unrolled: 3-line block ×12, first 2 shown]
	s_wait_dscnt 0x1
	;;#ASMSTART
	v_dot2_f32_f16 v95, v121, v101, v95
	;;#ASMEND
	;;#ASMSTART
	v_dot2_f32_f16 v95, v122, v102, v95
	;;#ASMEND
	;; [unrolled: 3-line block ×16, first 2 shown]
	s_wait_dscnt 0x0
	;;#ASMSTART
	v_dot2_f32_f16 v96, v125, v101, v96
	;;#ASMEND
	;;#ASMSTART
	v_dot2_f32_f16 v96, v126, v102, v96
	;;#ASMEND
	;; [unrolled: 3-line block ×16, first 2 shown]
	ds_load_b128 v[97:100], v54 offset:32
	ds_load_b128 v[101:104], v55 offset:32
	;; [unrolled: 1-line block ×8, first 2 shown]
	s_wait_dscnt 0x6
	;;#ASMSTART
	v_dot2_f32_f16 v93, v97, v101, v93
	;;#ASMEND
	;;#ASMSTART
	v_dot2_f32_f16 v93, v98, v102, v93
	;;#ASMEND
	;;#ASMSTART
	v_dot2_f32_f16 v93, v99, v103, v93
	;;#ASMEND
	;;#ASMSTART
	v_dot2_f32_f16 v93, v100, v104, v93
	;;#ASMEND
	s_wait_dscnt 0x5
	;;#ASMSTART
	v_dot2_f32_f16 v89, v97, v105, v89
	;;#ASMEND
	;;#ASMSTART
	v_dot2_f32_f16 v89, v98, v106, v89
	;;#ASMEND
	;;#ASMSTART
	v_dot2_f32_f16 v89, v99, v107, v89
	;;#ASMEND
	;;#ASMSTART
	v_dot2_f32_f16 v89, v100, v108, v89
	;;#ASMEND
	;; [unrolled: 13-line block ×5, first 2 shown]
	;;#ASMSTART
	v_dot2_f32_f16 v90, v117, v105, v90
	;;#ASMEND
	;;#ASMSTART
	v_dot2_f32_f16 v90, v118, v106, v90
	;;#ASMEND
	;; [unrolled: 3-line block ×12, first 2 shown]
	s_wait_dscnt 0x1
	;;#ASMSTART
	v_dot2_f32_f16 v95, v121, v101, v95
	;;#ASMEND
	;;#ASMSTART
	v_dot2_f32_f16 v95, v122, v102, v95
	;;#ASMEND
	;; [unrolled: 3-line block ×16, first 2 shown]
	s_wait_dscnt 0x0
	;;#ASMSTART
	v_dot2_f32_f16 v96, v125, v101, v96
	;;#ASMEND
	;;#ASMSTART
	v_dot2_f32_f16 v96, v126, v102, v96
	;;#ASMEND
	;; [unrolled: 3-line block ×16, first 2 shown]
	ds_load_b128 v[97:100], v54 offset:48
	ds_load_b128 v[101:104], v55 offset:48
	;; [unrolled: 1-line block ×8, first 2 shown]
	s_wait_dscnt 0x6
	;;#ASMSTART
	v_dot2_f32_f16 v93, v97, v101, v93
	;;#ASMEND
	;;#ASMSTART
	v_dot2_f32_f16 v93, v98, v102, v93
	;;#ASMEND
	;;#ASMSTART
	v_dot2_f32_f16 v93, v99, v103, v93
	;;#ASMEND
	;;#ASMSTART
	v_dot2_f32_f16 v93, v100, v104, v93
	;;#ASMEND
	s_wait_dscnt 0x5
	;;#ASMSTART
	v_dot2_f32_f16 v89, v97, v105, v89
	;;#ASMEND
	;;#ASMSTART
	v_dot2_f32_f16 v89, v98, v106, v89
	;;#ASMEND
	;;#ASMSTART
	v_dot2_f32_f16 v89, v99, v107, v89
	;;#ASMEND
	;;#ASMSTART
	v_dot2_f32_f16 v89, v100, v108, v89
	;;#ASMEND
	;; [unrolled: 13-line block ×5, first 2 shown]
	;;#ASMSTART
	v_dot2_f32_f16 v90, v117, v105, v90
	;;#ASMEND
	;;#ASMSTART
	v_dot2_f32_f16 v90, v118, v106, v90
	;;#ASMEND
	;; [unrolled: 3-line block ×12, first 2 shown]
	s_wait_dscnt 0x1
	;;#ASMSTART
	v_dot2_f32_f16 v95, v121, v101, v95
	;;#ASMEND
	;;#ASMSTART
	v_dot2_f32_f16 v95, v122, v102, v95
	;;#ASMEND
	;; [unrolled: 3-line block ×16, first 2 shown]
	s_wait_dscnt 0x0
	;;#ASMSTART
	v_dot2_f32_f16 v96, v125, v101, v96
	;;#ASMEND
	;;#ASMSTART
	v_dot2_f32_f16 v96, v126, v102, v96
	;;#ASMEND
	;; [unrolled: 3-line block ×16, first 2 shown]
	ds_load_b128 v[97:100], v54 offset:64
	ds_load_b128 v[101:104], v55 offset:64
	;; [unrolled: 1-line block ×8, first 2 shown]
	s_wait_dscnt 0x6
	;;#ASMSTART
	v_dot2_f32_f16 v93, v97, v101, v93
	;;#ASMEND
	;;#ASMSTART
	v_dot2_f32_f16 v93, v98, v102, v93
	;;#ASMEND
	;;#ASMSTART
	v_dot2_f32_f16 v93, v99, v103, v93
	;;#ASMEND
	;;#ASMSTART
	v_dot2_f32_f16 v93, v100, v104, v93
	;;#ASMEND
	s_wait_dscnt 0x5
	;;#ASMSTART
	v_dot2_f32_f16 v89, v97, v105, v89
	;;#ASMEND
	;;#ASMSTART
	v_dot2_f32_f16 v89, v98, v106, v89
	;;#ASMEND
	;;#ASMSTART
	v_dot2_f32_f16 v89, v99, v107, v89
	;;#ASMEND
	;;#ASMSTART
	v_dot2_f32_f16 v89, v100, v108, v89
	;;#ASMEND
	;; [unrolled: 13-line block ×5, first 2 shown]
	;;#ASMSTART
	v_dot2_f32_f16 v90, v117, v105, v90
	;;#ASMEND
	;;#ASMSTART
	v_dot2_f32_f16 v90, v118, v106, v90
	;;#ASMEND
	;; [unrolled: 3-line block ×12, first 2 shown]
	s_wait_dscnt 0x1
	;;#ASMSTART
	v_dot2_f32_f16 v95, v121, v101, v95
	;;#ASMEND
	;;#ASMSTART
	v_dot2_f32_f16 v95, v122, v102, v95
	;;#ASMEND
	;; [unrolled: 3-line block ×16, first 2 shown]
	s_wait_dscnt 0x0
	;;#ASMSTART
	v_dot2_f32_f16 v96, v125, v101, v96
	;;#ASMEND
	;;#ASMSTART
	v_dot2_f32_f16 v96, v126, v102, v96
	;;#ASMEND
	;; [unrolled: 3-line block ×16, first 2 shown]
	ds_load_b128 v[97:100], v54 offset:80
	ds_load_b128 v[101:104], v55 offset:80
	;; [unrolled: 1-line block ×8, first 2 shown]
	s_wait_dscnt 0x6
	;;#ASMSTART
	v_dot2_f32_f16 v93, v97, v101, v93
	;;#ASMEND
	;;#ASMSTART
	v_dot2_f32_f16 v93, v98, v102, v93
	;;#ASMEND
	;;#ASMSTART
	v_dot2_f32_f16 v93, v99, v103, v93
	;;#ASMEND
	;;#ASMSTART
	v_dot2_f32_f16 v93, v100, v104, v93
	;;#ASMEND
	s_wait_dscnt 0x5
	;;#ASMSTART
	v_dot2_f32_f16 v89, v97, v105, v89
	;;#ASMEND
	;;#ASMSTART
	v_dot2_f32_f16 v89, v98, v106, v89
	;;#ASMEND
	;;#ASMSTART
	v_dot2_f32_f16 v89, v99, v107, v89
	;;#ASMEND
	;;#ASMSTART
	v_dot2_f32_f16 v89, v100, v108, v89
	;;#ASMEND
	;; [unrolled: 13-line block ×5, first 2 shown]
	;;#ASMSTART
	v_dot2_f32_f16 v90, v117, v105, v90
	;;#ASMEND
	;;#ASMSTART
	v_dot2_f32_f16 v90, v118, v106, v90
	;;#ASMEND
	;; [unrolled: 3-line block ×12, first 2 shown]
	s_wait_dscnt 0x1
	;;#ASMSTART
	v_dot2_f32_f16 v95, v121, v101, v95
	;;#ASMEND
	;;#ASMSTART
	v_dot2_f32_f16 v95, v122, v102, v95
	;;#ASMEND
	;; [unrolled: 3-line block ×16, first 2 shown]
	s_wait_dscnt 0x0
	;;#ASMSTART
	v_dot2_f32_f16 v96, v125, v101, v96
	;;#ASMEND
	;;#ASMSTART
	v_dot2_f32_f16 v96, v126, v102, v96
	;;#ASMEND
	;; [unrolled: 3-line block ×16, first 2 shown]
	ds_load_b128 v[97:100], v54 offset:96
	ds_load_b128 v[101:104], v55 offset:96
	;; [unrolled: 1-line block ×8, first 2 shown]
	s_wait_dscnt 0x6
	;;#ASMSTART
	v_dot2_f32_f16 v93, v97, v101, v93
	;;#ASMEND
	;;#ASMSTART
	v_dot2_f32_f16 v93, v98, v102, v93
	;;#ASMEND
	;;#ASMSTART
	v_dot2_f32_f16 v93, v99, v103, v93
	;;#ASMEND
	;;#ASMSTART
	v_dot2_f32_f16 v93, v100, v104, v93
	;;#ASMEND
	s_wait_dscnt 0x5
	;;#ASMSTART
	v_dot2_f32_f16 v89, v97, v105, v89
	;;#ASMEND
	;;#ASMSTART
	v_dot2_f32_f16 v89, v98, v106, v89
	;;#ASMEND
	;;#ASMSTART
	v_dot2_f32_f16 v89, v99, v107, v89
	;;#ASMEND
	;;#ASMSTART
	v_dot2_f32_f16 v89, v100, v108, v89
	;;#ASMEND
	;; [unrolled: 13-line block ×5, first 2 shown]
	;;#ASMSTART
	v_dot2_f32_f16 v90, v117, v105, v90
	;;#ASMEND
	;;#ASMSTART
	v_dot2_f32_f16 v90, v118, v106, v90
	;;#ASMEND
	;; [unrolled: 3-line block ×12, first 2 shown]
	s_wait_dscnt 0x1
	;;#ASMSTART
	v_dot2_f32_f16 v95, v121, v101, v95
	;;#ASMEND
	;;#ASMSTART
	v_dot2_f32_f16 v95, v122, v102, v95
	;;#ASMEND
	;; [unrolled: 3-line block ×16, first 2 shown]
	s_wait_dscnt 0x0
	;;#ASMSTART
	v_dot2_f32_f16 v96, v125, v101, v96
	;;#ASMEND
	;;#ASMSTART
	v_dot2_f32_f16 v96, v126, v102, v96
	;;#ASMEND
	;; [unrolled: 3-line block ×16, first 2 shown]
	ds_load_b128 v[97:100], v54 offset:112
	ds_load_b128 v[101:104], v55 offset:112
	;; [unrolled: 1-line block ×8, first 2 shown]
	s_wait_dscnt 0x6
	;;#ASMSTART
	v_dot2_f32_f16 v93, v97, v101, v93
	;;#ASMEND
	;;#ASMSTART
	v_dot2_f32_f16 v93, v98, v102, v93
	;;#ASMEND
	;;#ASMSTART
	v_dot2_f32_f16 v93, v99, v103, v93
	;;#ASMEND
	;;#ASMSTART
	v_dot2_f32_f16 v93, v100, v104, v93
	;;#ASMEND
	s_wait_dscnt 0x5
	;;#ASMSTART
	v_dot2_f32_f16 v89, v97, v105, v89
	;;#ASMEND
	;;#ASMSTART
	v_dot2_f32_f16 v89, v98, v106, v89
	;;#ASMEND
	;;#ASMSTART
	v_dot2_f32_f16 v89, v99, v107, v89
	;;#ASMEND
	;;#ASMSTART
	v_dot2_f32_f16 v89, v100, v108, v89
	;;#ASMEND
	;; [unrolled: 13-line block ×5, first 2 shown]
	;;#ASMSTART
	v_dot2_f32_f16 v90, v117, v105, v90
	;;#ASMEND
	;;#ASMSTART
	v_dot2_f32_f16 v90, v118, v106, v90
	;;#ASMEND
	;; [unrolled: 3-line block ×12, first 2 shown]
	s_wait_dscnt 0x1
	;;#ASMSTART
	v_dot2_f32_f16 v95, v121, v101, v95
	;;#ASMEND
	;;#ASMSTART
	v_dot2_f32_f16 v95, v122, v102, v95
	;;#ASMEND
	;; [unrolled: 3-line block ×16, first 2 shown]
	s_wait_dscnt 0x0
	;;#ASMSTART
	v_dot2_f32_f16 v96, v125, v101, v96
	;;#ASMEND
	;;#ASMSTART
	v_dot2_f32_f16 v96, v126, v102, v96
	;;#ASMEND
	;; [unrolled: 3-line block ×16, first 2 shown]
	s_wait_loadcnt 0x0
	s_barrier_signal -1
	s_barrier_wait -1
	global_inv scope:SCOPE_SE
	s_clause 0x3
	global_load_b128 v[97:100], v[0:1], off offset:128
	global_load_b128 v[0:3], v[2:3], off offset:128
	;; [unrolled: 1-line block ×4, first 2 shown]
	s_wait_loadcnt 0x3
	ds_store_b128 v56, v[97:100]
	s_wait_loadcnt 0x2
	ds_store_b128 v57, v[0:3]
	;; [unrolled: 2-line block ×4, first 2 shown]
	s_wait_dscnt 0x0
	s_barrier_signal -1
	s_barrier_wait -1
	global_inv scope:SCOPE_SE
	ds_load_b128 v[0:3], v54
	ds_load_b128 v[20:23], v55 offset:128
	ds_load_b128 v[97:100], v55 offset:384
	;; [unrolled: 1-line block ×7, first 2 shown]
	s_wait_dscnt 0x6
	;;#ASMSTART
	v_dot2_f32_f16 v93, v0, v20, v93
	;;#ASMEND
	;;#ASMSTART
	v_dot2_f32_f16 v93, v1, v21, v93
	;;#ASMEND
	;;#ASMSTART
	v_dot2_f32_f16 v93, v2, v22, v93
	;;#ASMEND
	;;#ASMSTART
	v_dot2_f32_f16 v93, v3, v23, v93
	;;#ASMEND
	s_wait_dscnt 0x5
	;;#ASMSTART
	v_dot2_f32_f16 v89, v0, v97, v89
	;;#ASMEND
	;;#ASMSTART
	v_dot2_f32_f16 v89, v1, v98, v89
	;;#ASMEND
	;;#ASMSTART
	v_dot2_f32_f16 v89, v2, v99, v89
	;;#ASMEND
	;;#ASMSTART
	v_dot2_f32_f16 v89, v3, v100, v89
	;;#ASMEND
	;; [unrolled: 13-line block ×5, first 2 shown]
	;;#ASMSTART
	v_dot2_f32_f16 v90, v109, v97, v90
	;;#ASMEND
	;;#ASMSTART
	v_dot2_f32_f16 v90, v110, v98, v90
	;;#ASMEND
	;; [unrolled: 3-line block ×12, first 2 shown]
	s_wait_dscnt 0x1
	;;#ASMSTART
	v_dot2_f32_f16 v95, v113, v20, v95
	;;#ASMEND
	;;#ASMSTART
	v_dot2_f32_f16 v95, v114, v21, v95
	;;#ASMEND
	;; [unrolled: 3-line block ×16, first 2 shown]
	s_wait_dscnt 0x0
	;;#ASMSTART
	v_dot2_f32_f16 v96, v117, v20, v96
	;;#ASMEND
	;;#ASMSTART
	v_dot2_f32_f16 v96, v118, v21, v96
	;;#ASMEND
	;; [unrolled: 3-line block ×16, first 2 shown]
	ds_load_b128 v[0:3], v54 offset:16
	ds_load_b128 v[20:23], v55 offset:144
	;; [unrolled: 1-line block ×8, first 2 shown]
	s_wait_dscnt 0x6
	;;#ASMSTART
	v_dot2_f32_f16 v93, v0, v20, v93
	;;#ASMEND
	;;#ASMSTART
	v_dot2_f32_f16 v93, v1, v21, v93
	;;#ASMEND
	;;#ASMSTART
	v_dot2_f32_f16 v93, v2, v22, v93
	;;#ASMEND
	;;#ASMSTART
	v_dot2_f32_f16 v93, v3, v23, v93
	;;#ASMEND
	s_wait_dscnt 0x5
	;;#ASMSTART
	v_dot2_f32_f16 v89, v0, v97, v89
	;;#ASMEND
	;;#ASMSTART
	v_dot2_f32_f16 v89, v1, v98, v89
	;;#ASMEND
	;;#ASMSTART
	v_dot2_f32_f16 v89, v2, v99, v89
	;;#ASMEND
	;;#ASMSTART
	v_dot2_f32_f16 v89, v3, v100, v89
	;;#ASMEND
	;; [unrolled: 13-line block ×5, first 2 shown]
	;;#ASMSTART
	v_dot2_f32_f16 v90, v109, v97, v90
	;;#ASMEND
	;;#ASMSTART
	v_dot2_f32_f16 v90, v110, v98, v90
	;;#ASMEND
	;; [unrolled: 3-line block ×12, first 2 shown]
	s_wait_dscnt 0x1
	;;#ASMSTART
	v_dot2_f32_f16 v95, v113, v20, v95
	;;#ASMEND
	;;#ASMSTART
	v_dot2_f32_f16 v95, v114, v21, v95
	;;#ASMEND
	;; [unrolled: 3-line block ×16, first 2 shown]
	s_wait_dscnt 0x0
	;;#ASMSTART
	v_dot2_f32_f16 v96, v117, v20, v96
	;;#ASMEND
	;;#ASMSTART
	v_dot2_f32_f16 v96, v118, v21, v96
	;;#ASMEND
	;; [unrolled: 3-line block ×16, first 2 shown]
	ds_load_b128 v[0:3], v54 offset:32
	ds_load_b128 v[20:23], v55 offset:160
	;; [unrolled: 1-line block ×8, first 2 shown]
	s_wait_dscnt 0x6
	;;#ASMSTART
	v_dot2_f32_f16 v93, v0, v20, v93
	;;#ASMEND
	;;#ASMSTART
	v_dot2_f32_f16 v93, v1, v21, v93
	;;#ASMEND
	;;#ASMSTART
	v_dot2_f32_f16 v93, v2, v22, v93
	;;#ASMEND
	;;#ASMSTART
	v_dot2_f32_f16 v93, v3, v23, v93
	;;#ASMEND
	s_wait_dscnt 0x5
	;;#ASMSTART
	v_dot2_f32_f16 v89, v0, v97, v89
	;;#ASMEND
	;;#ASMSTART
	v_dot2_f32_f16 v89, v1, v98, v89
	;;#ASMEND
	;;#ASMSTART
	v_dot2_f32_f16 v89, v2, v99, v89
	;;#ASMEND
	;;#ASMSTART
	v_dot2_f32_f16 v89, v3, v100, v89
	;;#ASMEND
	;; [unrolled: 13-line block ×5, first 2 shown]
	;;#ASMSTART
	v_dot2_f32_f16 v90, v109, v97, v90
	;;#ASMEND
	;;#ASMSTART
	v_dot2_f32_f16 v90, v110, v98, v90
	;;#ASMEND
	;; [unrolled: 3-line block ×12, first 2 shown]
	s_wait_dscnt 0x1
	;;#ASMSTART
	v_dot2_f32_f16 v95, v113, v20, v95
	;;#ASMEND
	;;#ASMSTART
	v_dot2_f32_f16 v95, v114, v21, v95
	;;#ASMEND
	;; [unrolled: 3-line block ×16, first 2 shown]
	s_wait_dscnt 0x0
	;;#ASMSTART
	v_dot2_f32_f16 v96, v117, v20, v96
	;;#ASMEND
	;;#ASMSTART
	v_dot2_f32_f16 v96, v118, v21, v96
	;;#ASMEND
	;; [unrolled: 3-line block ×16, first 2 shown]
	ds_load_b128 v[0:3], v54 offset:48
	ds_load_b128 v[20:23], v55 offset:176
	;; [unrolled: 1-line block ×8, first 2 shown]
	s_wait_dscnt 0x6
	;;#ASMSTART
	v_dot2_f32_f16 v93, v0, v20, v93
	;;#ASMEND
	;;#ASMSTART
	v_dot2_f32_f16 v93, v1, v21, v93
	;;#ASMEND
	;;#ASMSTART
	v_dot2_f32_f16 v93, v2, v22, v93
	;;#ASMEND
	;;#ASMSTART
	v_dot2_f32_f16 v93, v3, v23, v93
	;;#ASMEND
	s_wait_dscnt 0x5
	;;#ASMSTART
	v_dot2_f32_f16 v89, v0, v97, v89
	;;#ASMEND
	;;#ASMSTART
	v_dot2_f32_f16 v89, v1, v98, v89
	;;#ASMEND
	;;#ASMSTART
	v_dot2_f32_f16 v89, v2, v99, v89
	;;#ASMEND
	;;#ASMSTART
	v_dot2_f32_f16 v89, v3, v100, v89
	;;#ASMEND
	;; [unrolled: 13-line block ×5, first 2 shown]
	;;#ASMSTART
	v_dot2_f32_f16 v90, v109, v97, v90
	;;#ASMEND
	;;#ASMSTART
	v_dot2_f32_f16 v90, v110, v98, v90
	;;#ASMEND
	;; [unrolled: 3-line block ×12, first 2 shown]
	s_wait_dscnt 0x1
	;;#ASMSTART
	v_dot2_f32_f16 v95, v113, v20, v95
	;;#ASMEND
	;;#ASMSTART
	v_dot2_f32_f16 v95, v114, v21, v95
	;;#ASMEND
	;; [unrolled: 3-line block ×16, first 2 shown]
	s_wait_dscnt 0x0
	;;#ASMSTART
	v_dot2_f32_f16 v96, v117, v20, v96
	;;#ASMEND
	;;#ASMSTART
	v_dot2_f32_f16 v96, v118, v21, v96
	;;#ASMEND
	;;#ASMSTART
	v_dot2_f32_f16 v96, v119, v22, v96
	;;#ASMEND
	;;#ASMSTART
	v_dot2_f32_f16 v96, v120, v23, v96
	;;#ASMEND
	;;#ASMSTART
	v_dot2_f32_f16 v92, v117, v97, v92
	;;#ASMEND
	;;#ASMSTART
	v_dot2_f32_f16 v92, v118, v98, v92
	;;#ASMEND
	;;#ASMSTART
	v_dot2_f32_f16 v92, v119, v99, v92
	;;#ASMEND
	;;#ASMSTART
	v_dot2_f32_f16 v92, v120, v100, v92
	;;#ASMEND
	;;#ASMSTART
	v_dot2_f32_f16 v88, v117, v101, v88
	;;#ASMEND
	;;#ASMSTART
	v_dot2_f32_f16 v88, v118, v102, v88
	;;#ASMEND
	;;#ASMSTART
	v_dot2_f32_f16 v88, v119, v103, v88
	;;#ASMEND
	;;#ASMSTART
	v_dot2_f32_f16 v88, v120, v104, v88
	;;#ASMEND
	;;#ASMSTART
	v_dot2_f32_f16 v84, v117, v105, v84
	;;#ASMEND
	;;#ASMSTART
	v_dot2_f32_f16 v84, v118, v106, v84
	;;#ASMEND
	;;#ASMSTART
	v_dot2_f32_f16 v84, v119, v107, v84
	;;#ASMEND
	;;#ASMSTART
	v_dot2_f32_f16 v84, v120, v108, v84
	;;#ASMEND
	ds_load_b128 v[0:3], v54 offset:64
	ds_load_b128 v[20:23], v55 offset:192
	;; [unrolled: 1-line block ×8, first 2 shown]
	s_wait_dscnt 0x6
	;;#ASMSTART
	v_dot2_f32_f16 v93, v0, v20, v93
	;;#ASMEND
	;;#ASMSTART
	v_dot2_f32_f16 v93, v1, v21, v93
	;;#ASMEND
	;;#ASMSTART
	v_dot2_f32_f16 v93, v2, v22, v93
	;;#ASMEND
	;;#ASMSTART
	v_dot2_f32_f16 v93, v3, v23, v93
	;;#ASMEND
	s_wait_dscnt 0x5
	;;#ASMSTART
	v_dot2_f32_f16 v89, v0, v97, v89
	;;#ASMEND
	;;#ASMSTART
	v_dot2_f32_f16 v89, v1, v98, v89
	;;#ASMEND
	;;#ASMSTART
	v_dot2_f32_f16 v89, v2, v99, v89
	;;#ASMEND
	;;#ASMSTART
	v_dot2_f32_f16 v89, v3, v100, v89
	;;#ASMEND
	;; [unrolled: 13-line block ×5, first 2 shown]
	;;#ASMSTART
	v_dot2_f32_f16 v90, v109, v97, v90
	;;#ASMEND
	;;#ASMSTART
	v_dot2_f32_f16 v90, v110, v98, v90
	;;#ASMEND
	;; [unrolled: 3-line block ×12, first 2 shown]
	s_wait_dscnt 0x1
	;;#ASMSTART
	v_dot2_f32_f16 v95, v113, v20, v95
	;;#ASMEND
	;;#ASMSTART
	v_dot2_f32_f16 v95, v114, v21, v95
	;;#ASMEND
	;;#ASMSTART
	v_dot2_f32_f16 v95, v115, v22, v95
	;;#ASMEND
	;;#ASMSTART
	v_dot2_f32_f16 v95, v116, v23, v95
	;;#ASMEND
	;;#ASMSTART
	v_dot2_f32_f16 v91, v113, v97, v91
	;;#ASMEND
	;;#ASMSTART
	v_dot2_f32_f16 v91, v114, v98, v91
	;;#ASMEND
	;;#ASMSTART
	v_dot2_f32_f16 v91, v115, v99, v91
	;;#ASMEND
	;;#ASMSTART
	v_dot2_f32_f16 v91, v116, v100, v91
	;;#ASMEND
	;;#ASMSTART
	v_dot2_f32_f16 v87, v113, v101, v87
	;;#ASMEND
	;;#ASMSTART
	v_dot2_f32_f16 v87, v114, v102, v87
	;;#ASMEND
	;;#ASMSTART
	v_dot2_f32_f16 v87, v115, v103, v87
	;;#ASMEND
	;;#ASMSTART
	v_dot2_f32_f16 v87, v116, v104, v87
	;;#ASMEND
	;;#ASMSTART
	v_dot2_f32_f16 v83, v113, v105, v83
	;;#ASMEND
	;;#ASMSTART
	v_dot2_f32_f16 v83, v114, v106, v83
	;;#ASMEND
	;;#ASMSTART
	v_dot2_f32_f16 v83, v115, v107, v83
	;;#ASMEND
	;;#ASMSTART
	v_dot2_f32_f16 v83, v116, v108, v83
	;;#ASMEND
	s_wait_dscnt 0x0
	;;#ASMSTART
	v_dot2_f32_f16 v96, v117, v20, v96
	;;#ASMEND
	;;#ASMSTART
	v_dot2_f32_f16 v96, v118, v21, v96
	;;#ASMEND
	;; [unrolled: 3-line block ×16, first 2 shown]
	ds_load_b128 v[0:3], v54 offset:80
	ds_load_b128 v[20:23], v55 offset:208
	;; [unrolled: 1-line block ×8, first 2 shown]
	s_wait_dscnt 0x6
	;;#ASMSTART
	v_dot2_f32_f16 v93, v0, v20, v93
	;;#ASMEND
	;;#ASMSTART
	v_dot2_f32_f16 v93, v1, v21, v93
	;;#ASMEND
	;;#ASMSTART
	v_dot2_f32_f16 v93, v2, v22, v93
	;;#ASMEND
	;;#ASMSTART
	v_dot2_f32_f16 v93, v3, v23, v93
	;;#ASMEND
	s_wait_dscnt 0x5
	;;#ASMSTART
	v_dot2_f32_f16 v89, v0, v97, v89
	;;#ASMEND
	;;#ASMSTART
	v_dot2_f32_f16 v89, v1, v98, v89
	;;#ASMEND
	;;#ASMSTART
	v_dot2_f32_f16 v89, v2, v99, v89
	;;#ASMEND
	;;#ASMSTART
	v_dot2_f32_f16 v89, v3, v100, v89
	;;#ASMEND
	;; [unrolled: 13-line block ×5, first 2 shown]
	;;#ASMSTART
	v_dot2_f32_f16 v90, v109, v97, v90
	;;#ASMEND
	;;#ASMSTART
	v_dot2_f32_f16 v90, v110, v98, v90
	;;#ASMEND
	;; [unrolled: 3-line block ×12, first 2 shown]
	s_wait_dscnt 0x1
	;;#ASMSTART
	v_dot2_f32_f16 v95, v113, v20, v95
	;;#ASMEND
	;;#ASMSTART
	v_dot2_f32_f16 v95, v114, v21, v95
	;;#ASMEND
	;; [unrolled: 3-line block ×16, first 2 shown]
	s_wait_dscnt 0x0
	;;#ASMSTART
	v_dot2_f32_f16 v96, v117, v20, v96
	;;#ASMEND
	;;#ASMSTART
	v_dot2_f32_f16 v96, v118, v21, v96
	;;#ASMEND
	;; [unrolled: 3-line block ×16, first 2 shown]
	ds_load_b128 v[0:3], v54 offset:96
	ds_load_b128 v[20:23], v55 offset:224
	;; [unrolled: 1-line block ×8, first 2 shown]
	s_wait_dscnt 0x6
	;;#ASMSTART
	v_dot2_f32_f16 v93, v0, v20, v93
	;;#ASMEND
	;;#ASMSTART
	v_dot2_f32_f16 v93, v1, v21, v93
	;;#ASMEND
	;;#ASMSTART
	v_dot2_f32_f16 v93, v2, v22, v93
	;;#ASMEND
	;;#ASMSTART
	v_dot2_f32_f16 v93, v3, v23, v93
	;;#ASMEND
	s_wait_dscnt 0x5
	;;#ASMSTART
	v_dot2_f32_f16 v89, v0, v97, v89
	;;#ASMEND
	;;#ASMSTART
	v_dot2_f32_f16 v89, v1, v98, v89
	;;#ASMEND
	;;#ASMSTART
	v_dot2_f32_f16 v89, v2, v99, v89
	;;#ASMEND
	;;#ASMSTART
	v_dot2_f32_f16 v89, v3, v100, v89
	;;#ASMEND
	;; [unrolled: 13-line block ×5, first 2 shown]
	;;#ASMSTART
	v_dot2_f32_f16 v90, v109, v97, v90
	;;#ASMEND
	;;#ASMSTART
	v_dot2_f32_f16 v90, v110, v98, v90
	;;#ASMEND
	;; [unrolled: 3-line block ×12, first 2 shown]
	s_wait_dscnt 0x1
	;;#ASMSTART
	v_dot2_f32_f16 v95, v113, v20, v95
	;;#ASMEND
	;;#ASMSTART
	v_dot2_f32_f16 v95, v114, v21, v95
	;;#ASMEND
	;; [unrolled: 3-line block ×16, first 2 shown]
	s_wait_dscnt 0x0
	;;#ASMSTART
	v_dot2_f32_f16 v96, v117, v20, v96
	;;#ASMEND
	;;#ASMSTART
	v_dot2_f32_f16 v96, v118, v21, v96
	;;#ASMEND
	;; [unrolled: 3-line block ×16, first 2 shown]
	ds_load_b128 v[0:3], v54 offset:112
	ds_load_b128 v[20:23], v55 offset:240
	;; [unrolled: 1-line block ×8, first 2 shown]
	s_wait_dscnt 0x6
	;;#ASMSTART
	v_dot2_f32_f16 v93, v0, v20, v93
	;;#ASMEND
	;;#ASMSTART
	v_dot2_f32_f16 v93, v1, v21, v93
	;;#ASMEND
	;;#ASMSTART
	v_dot2_f32_f16 v93, v2, v22, v93
	;;#ASMEND
	;;#ASMSTART
	v_dot2_f32_f16 v93, v3, v23, v93
	;;#ASMEND
	s_wait_dscnt 0x5
	;;#ASMSTART
	v_dot2_f32_f16 v89, v0, v97, v89
	;;#ASMEND
	;;#ASMSTART
	v_dot2_f32_f16 v89, v1, v98, v89
	;;#ASMEND
	;;#ASMSTART
	v_dot2_f32_f16 v89, v2, v99, v89
	;;#ASMEND
	;;#ASMSTART
	v_dot2_f32_f16 v89, v3, v100, v89
	;;#ASMEND
	;; [unrolled: 13-line block ×5, first 2 shown]
	;;#ASMSTART
	v_dot2_f32_f16 v90, v109, v97, v90
	;;#ASMEND
	;;#ASMSTART
	v_dot2_f32_f16 v90, v110, v98, v90
	;;#ASMEND
	;; [unrolled: 3-line block ×12, first 2 shown]
	s_wait_dscnt 0x1
	;;#ASMSTART
	v_dot2_f32_f16 v95, v113, v20, v95
	;;#ASMEND
	;;#ASMSTART
	v_dot2_f32_f16 v95, v114, v21, v95
	;;#ASMEND
	;; [unrolled: 3-line block ×16, first 2 shown]
	s_wait_dscnt 0x0
	;;#ASMSTART
	v_dot2_f32_f16 v96, v117, v20, v96
	;;#ASMEND
	;;#ASMSTART
	v_dot2_f32_f16 v96, v118, v21, v96
	;;#ASMEND
	;; [unrolled: 3-line block ×9, first 2 shown]
	v_cmp_ngt_f32_e64 s31, 0x3f200000, |v93|
	;;#ASMSTART
	v_dot2_f32_f16 v88, v118, v102, v88
	;;#ASMEND
	;;#ASMSTART
	v_dot2_f32_f16 v88, v119, v103, v88
	;;#ASMEND
	;; [unrolled: 3-line block ×7, first 2 shown]
                                        ; implicit-def: $vgpr2
	s_and_saveexec_b32 s37, s31
	s_delay_alu instid0(SALU_CYCLE_1)
	s_xor_b32 s31, exec_lo, s37
	s_cbranch_execz .LBB87_10
; %bb.9:                                ;   in Loop: Header=BB87_8 Depth=1
	v_add_f32_e64 v0, |v93|, |v93|
	s_delay_alu instid0(VALU_DEP_1) | instskip(SKIP_1) | instid1(VALU_DEP_2)
	v_mul_f32_e32 v1, 0x3fb8aa3b, v0
	v_cmp_ngt_f32_e32 vcc_lo, 0xc2ce8ed0, v0
	v_rndne_f32_e32 v2, v1
	v_fma_f32 v3, 0x3fb8aa3b, v0, -v1
	s_delay_alu instid0(VALU_DEP_2) | instskip(NEXT) | instid1(VALU_DEP_2)
	v_sub_f32_e32 v1, v1, v2
	v_fmac_f32_e32 v3, 0x32a5705f, v0
	v_cvt_i32_f32_e32 v2, v2
	s_delay_alu instid0(VALU_DEP_2) | instskip(NEXT) | instid1(VALU_DEP_1)
	v_add_f32_e32 v1, v1, v3
	v_exp_f32_e32 v1, v1
	s_delay_alu instid0(TRANS32_DEP_1) | instskip(SKIP_1) | instid1(VALU_DEP_1)
	v_ldexp_f32 v1, v1, v2
	s_wait_alu 0xfffd
	v_cndmask_b32_e32 v1, 0, v1, vcc_lo
	v_cmp_nlt_f32_e32 vcc_lo, 0x42b17218, v0
	s_wait_alu 0xfffd
	s_delay_alu instid0(VALU_DEP_2) | instskip(NEXT) | instid1(VALU_DEP_1)
	v_cndmask_b32_e32 v0, 0x7f800000, v1, vcc_lo
	v_add_f32_e32 v0, 1.0, v0
	s_delay_alu instid0(VALU_DEP_1) | instskip(NEXT) | instid1(TRANS32_DEP_1)
	v_rcp_f32_e32 v0, v0
	v_fma_f32 v2, v0, -2.0, 1.0
.LBB87_10:                              ;   in Loop: Header=BB87_8 Depth=1
	s_wait_alu 0xfffe
	s_and_not1_saveexec_b32 s31, s31
	s_cbranch_execz .LBB87_12
; %bb.11:                               ;   in Loop: Header=BB87_8 Depth=1
	v_mul_f32_e32 v0, v93, v93
	s_delay_alu instid0(VALU_DEP_1) | instskip(NEXT) | instid1(VALU_DEP_1)
	v_fmaak_f32 v1, s9, v0, 0x3ca908c9
	v_fmaak_f32 v1, v0, v1, 0xbd5c1c4e
	s_delay_alu instid0(VALU_DEP_1) | instskip(NEXT) | instid1(VALU_DEP_1)
	v_fmaak_f32 v1, v0, v1, 0x3e088382
	v_fmaak_f32 v1, v0, v1, 0xbeaaaa99
	s_delay_alu instid0(VALU_DEP_1) | instskip(NEXT) | instid1(VALU_DEP_1)
	v_mul_f32_e64 v1, |v93|, v1
	v_fma_f32 v2, v0, v1, |v93|
.LBB87_12:                              ;   in Loop: Header=BB87_8 Depth=1
	s_wait_alu 0xfffe
	s_or_b32 exec_lo, exec_lo, s31
	v_add_nc_u32_e32 v100, s24, v33
	s_and_not1_b32 vcc_lo, exec_lo, s8
	s_delay_alu instid0(VALU_DEP_1) | instskip(NEXT) | instid1(VALU_DEP_1)
	v_add_nc_u32_e32 v0, v100, v62
	v_ashrrev_i32_e32 v1, 31, v0
	s_wait_alu 0xfffe
	s_cbranch_vccnz .LBB87_106
; %bb.13:                               ;   in Loop: Header=BB87_8 Depth=1
	s_delay_alu instid0(VALU_DEP_1) | instskip(NEXT) | instid1(VALU_DEP_1)
	v_lshlrev_b64_e32 v[20:21], 1, v[0:1]
	v_add_co_u32 v20, vcc_lo, s38, v20
	s_wait_alu 0xfffd
	s_delay_alu instid0(VALU_DEP_2) | instskip(SKIP_3) | instid1(VALU_DEP_1)
	v_add_co_ci_u32_e64 v21, null, s39, v21, vcc_lo
	global_load_u16 v3, v[20:21], off
	s_wait_loadcnt 0x0
	v_cvt_f32_f16_e32 v3, v3
	v_mul_f32_e32 v3, v48, v3
	v_cmp_ngt_f32_e64 s31, 0x3f200000, |v94|
                                        ; implicit-def: $vgpr22
	s_and_saveexec_b32 s37, s31
	s_delay_alu instid0(SALU_CYCLE_1)
	s_xor_b32 s31, exec_lo, s37
	s_cbranch_execz .LBB87_15
.LBB87_14:                              ;   in Loop: Header=BB87_8 Depth=1
	v_add_f32_e64 v20, |v94|, |v94|
	s_delay_alu instid0(VALU_DEP_1) | instskip(SKIP_1) | instid1(VALU_DEP_2)
	v_mul_f32_e32 v21, 0x3fb8aa3b, v20
	v_cmp_ngt_f32_e32 vcc_lo, 0xc2ce8ed0, v20
	v_rndne_f32_e32 v22, v21
	v_fma_f32 v23, 0x3fb8aa3b, v20, -v21
	s_delay_alu instid0(VALU_DEP_2) | instskip(NEXT) | instid1(VALU_DEP_2)
	v_sub_f32_e32 v21, v21, v22
	v_fmac_f32_e32 v23, 0x32a5705f, v20
	v_cvt_i32_f32_e32 v22, v22
	s_delay_alu instid0(VALU_DEP_2) | instskip(NEXT) | instid1(VALU_DEP_1)
	v_add_f32_e32 v21, v21, v23
	v_exp_f32_e32 v21, v21
	s_delay_alu instid0(TRANS32_DEP_1) | instskip(SKIP_1) | instid1(VALU_DEP_1)
	v_ldexp_f32 v21, v21, v22
	s_wait_alu 0xfffd
	v_cndmask_b32_e32 v21, 0, v21, vcc_lo
	v_cmp_nlt_f32_e32 vcc_lo, 0x42b17218, v20
	s_wait_alu 0xfffd
	s_delay_alu instid0(VALU_DEP_2) | instskip(NEXT) | instid1(VALU_DEP_1)
	v_cndmask_b32_e32 v20, 0x7f800000, v21, vcc_lo
	v_add_f32_e32 v20, 1.0, v20
	s_delay_alu instid0(VALU_DEP_1) | instskip(NEXT) | instid1(TRANS32_DEP_1)
	v_rcp_f32_e32 v20, v20
	v_fma_f32 v22, v20, -2.0, 1.0
.LBB87_15:                              ;   in Loop: Header=BB87_8 Depth=1
	s_wait_alu 0xfffe
	s_and_not1_saveexec_b32 s31, s31
	s_cbranch_execz .LBB87_18
; %bb.16:                               ;   in Loop: Header=BB87_8 Depth=1
	v_mul_f32_e32 v20, v94, v94
	s_delay_alu instid0(VALU_DEP_1) | instskip(NEXT) | instid1(VALU_DEP_1)
	v_fmaak_f32 v21, s9, v20, 0x3ca908c9
	v_fmaak_f32 v21, v20, v21, 0xbd5c1c4e
	s_delay_alu instid0(VALU_DEP_1) | instskip(NEXT) | instid1(VALU_DEP_1)
	v_fmaak_f32 v21, v20, v21, 0x3e088382
	v_fmaak_f32 v21, v20, v21, 0xbeaaaa99
	s_delay_alu instid0(VALU_DEP_1) | instskip(NEXT) | instid1(VALU_DEP_1)
	v_mul_f32_e64 v21, |v94|, v21
	v_fma_f32 v22, v20, v21, |v94|
	s_wait_alu 0xfffe
	s_or_b32 exec_lo, exec_lo, s31
	s_delay_alu instid0(SALU_CYCLE_1)
	s_and_not1_b32 vcc_lo, exec_lo, s8
	s_wait_alu 0xfffe
	s_cbranch_vccz .LBB87_19
.LBB87_17:                              ;   in Loop: Header=BB87_8 Depth=1
	v_mov_b32_e32 v20, 0
	v_cmp_ngt_f32_e64 s31, 0x3f200000, |v95|
                                        ; implicit-def: $vgpr97
	s_and_saveexec_b32 s37, s31
	s_delay_alu instid0(SALU_CYCLE_1)
	s_xor_b32 s31, exec_lo, s37
	s_cbranch_execz .LBB87_21
	s_branch .LBB87_20
.LBB87_18:                              ;   in Loop: Header=BB87_8 Depth=1
	s_wait_alu 0xfffe
	s_or_b32 exec_lo, exec_lo, s31
	s_delay_alu instid0(SALU_CYCLE_1)
	s_and_not1_b32 vcc_lo, exec_lo, s8
	s_wait_alu 0xfffe
	s_cbranch_vccnz .LBB87_17
.LBB87_19:                              ;   in Loop: Header=BB87_8 Depth=1
	v_lshlrev_b64_e32 v[20:21], 1, v[0:1]
	s_delay_alu instid0(VALU_DEP_1) | instskip(SKIP_1) | instid1(VALU_DEP_2)
	v_add_co_u32 v20, vcc_lo, s38, v20
	s_wait_alu 0xfffd
	v_add_co_ci_u32_e64 v21, null, s39, v21, vcc_lo
	global_load_u16 v20, v[20:21], off offset:64
	s_wait_loadcnt 0x0
	v_cvt_f32_f16_e32 v20, v20
	s_delay_alu instid0(VALU_DEP_1) | instskip(SKIP_2) | instid1(SALU_CYCLE_1)
	v_mul_f32_e32 v20, v48, v20
	v_cmp_ngt_f32_e64 s31, 0x3f200000, |v95|
                                        ; implicit-def: $vgpr97
	s_and_saveexec_b32 s37, s31
	s_xor_b32 s31, exec_lo, s37
	s_cbranch_execz .LBB87_21
.LBB87_20:                              ;   in Loop: Header=BB87_8 Depth=1
	v_add_f32_e64 v21, |v95|, |v95|
	s_delay_alu instid0(VALU_DEP_1) | instskip(SKIP_1) | instid1(VALU_DEP_2)
	v_mul_f32_e32 v23, 0x3fb8aa3b, v21
	v_cmp_ngt_f32_e32 vcc_lo, 0xc2ce8ed0, v21
	v_rndne_f32_e32 v97, v23
	v_fma_f32 v98, 0x3fb8aa3b, v21, -v23
	s_delay_alu instid0(VALU_DEP_2) | instskip(NEXT) | instid1(VALU_DEP_2)
	v_sub_f32_e32 v23, v23, v97
	v_fmac_f32_e32 v98, 0x32a5705f, v21
	v_cvt_i32_f32_e32 v97, v97
	s_delay_alu instid0(VALU_DEP_2) | instskip(NEXT) | instid1(VALU_DEP_1)
	v_add_f32_e32 v23, v23, v98
	v_exp_f32_e32 v23, v23
	s_delay_alu instid0(TRANS32_DEP_1) | instskip(SKIP_1) | instid1(VALU_DEP_1)
	v_ldexp_f32 v23, v23, v97
	s_wait_alu 0xfffd
	v_cndmask_b32_e32 v23, 0, v23, vcc_lo
	v_cmp_nlt_f32_e32 vcc_lo, 0x42b17218, v21
	s_wait_alu 0xfffd
	s_delay_alu instid0(VALU_DEP_2) | instskip(NEXT) | instid1(VALU_DEP_1)
	v_cndmask_b32_e32 v21, 0x7f800000, v23, vcc_lo
	v_add_f32_e32 v21, 1.0, v21
	s_delay_alu instid0(VALU_DEP_1) | instskip(NEXT) | instid1(TRANS32_DEP_1)
	v_rcp_f32_e32 v21, v21
	v_fma_f32 v97, v21, -2.0, 1.0
.LBB87_21:                              ;   in Loop: Header=BB87_8 Depth=1
	s_wait_alu 0xfffe
	s_and_not1_saveexec_b32 s31, s31
	s_cbranch_execz .LBB87_24
; %bb.22:                               ;   in Loop: Header=BB87_8 Depth=1
	v_mul_f32_e32 v21, v95, v95
	s_delay_alu instid0(VALU_DEP_1) | instskip(NEXT) | instid1(VALU_DEP_1)
	v_fmaak_f32 v23, s9, v21, 0x3ca908c9
	v_fmaak_f32 v23, v21, v23, 0xbd5c1c4e
	s_delay_alu instid0(VALU_DEP_1) | instskip(NEXT) | instid1(VALU_DEP_1)
	v_fmaak_f32 v23, v21, v23, 0x3e088382
	v_fmaak_f32 v23, v21, v23, 0xbeaaaa99
	s_delay_alu instid0(VALU_DEP_1) | instskip(NEXT) | instid1(VALU_DEP_1)
	v_mul_f32_e64 v23, |v95|, v23
	v_fma_f32 v97, v21, v23, |v95|
	s_wait_alu 0xfffe
	s_or_b32 exec_lo, exec_lo, s31
	s_delay_alu instid0(SALU_CYCLE_1)
	s_and_not1_b32 vcc_lo, exec_lo, s8
	s_wait_alu 0xfffe
	s_cbranch_vccz .LBB87_25
.LBB87_23:                              ;   in Loop: Header=BB87_8 Depth=1
	v_mov_b32_e32 v21, 0
	v_cmp_ngt_f32_e64 s31, 0x3f200000, |v96|
                                        ; implicit-def: $vgpr98
	s_and_saveexec_b32 s37, s31
	s_delay_alu instid0(SALU_CYCLE_1)
	s_xor_b32 s31, exec_lo, s37
	s_cbranch_execz .LBB87_27
	s_branch .LBB87_26
.LBB87_24:                              ;   in Loop: Header=BB87_8 Depth=1
	s_wait_alu 0xfffe
	s_or_b32 exec_lo, exec_lo, s31
	s_delay_alu instid0(SALU_CYCLE_1)
	s_and_not1_b32 vcc_lo, exec_lo, s8
	s_wait_alu 0xfffe
	s_cbranch_vccnz .LBB87_23
.LBB87_25:                              ;   in Loop: Header=BB87_8 Depth=1
	v_lshlrev_b64_e32 v[98:99], 1, v[0:1]
	s_delay_alu instid0(VALU_DEP_1) | instskip(SKIP_1) | instid1(VALU_DEP_2)
	v_add_co_u32 v98, vcc_lo, s38, v98
	s_wait_alu 0xfffd
	v_add_co_ci_u32_e64 v99, null, s39, v99, vcc_lo
	global_load_u16 v21, v[98:99], off offset:128
	s_wait_loadcnt 0x0
	v_cvt_f32_f16_e32 v21, v21
	s_delay_alu instid0(VALU_DEP_1) | instskip(SKIP_2) | instid1(SALU_CYCLE_1)
	v_mul_f32_e32 v21, v48, v21
	v_cmp_ngt_f32_e64 s31, 0x3f200000, |v96|
                                        ; implicit-def: $vgpr98
	s_and_saveexec_b32 s37, s31
	s_xor_b32 s31, exec_lo, s37
	s_cbranch_execz .LBB87_27
.LBB87_26:                              ;   in Loop: Header=BB87_8 Depth=1
	v_add_f32_e64 v23, |v96|, |v96|
	s_delay_alu instid0(VALU_DEP_1) | instskip(SKIP_1) | instid1(VALU_DEP_2)
	v_mul_f32_e32 v98, 0x3fb8aa3b, v23
	v_cmp_ngt_f32_e32 vcc_lo, 0xc2ce8ed0, v23
	v_rndne_f32_e32 v99, v98
	v_fma_f32 v101, 0x3fb8aa3b, v23, -v98
	s_delay_alu instid0(VALU_DEP_2) | instskip(NEXT) | instid1(VALU_DEP_2)
	v_sub_f32_e32 v98, v98, v99
	v_fmac_f32_e32 v101, 0x32a5705f, v23
	v_cvt_i32_f32_e32 v99, v99
	s_delay_alu instid0(VALU_DEP_2) | instskip(NEXT) | instid1(VALU_DEP_1)
	v_add_f32_e32 v98, v98, v101
	v_exp_f32_e32 v98, v98
	s_delay_alu instid0(TRANS32_DEP_1) | instskip(SKIP_1) | instid1(VALU_DEP_1)
	v_ldexp_f32 v98, v98, v99
	s_wait_alu 0xfffd
	v_cndmask_b32_e32 v98, 0, v98, vcc_lo
	v_cmp_nlt_f32_e32 vcc_lo, 0x42b17218, v23
	s_wait_alu 0xfffd
	s_delay_alu instid0(VALU_DEP_2) | instskip(NEXT) | instid1(VALU_DEP_1)
	v_cndmask_b32_e32 v23, 0x7f800000, v98, vcc_lo
	v_add_f32_e32 v23, 1.0, v23
	s_delay_alu instid0(VALU_DEP_1) | instskip(NEXT) | instid1(TRANS32_DEP_1)
	v_rcp_f32_e32 v23, v23
	v_fma_f32 v98, v23, -2.0, 1.0
.LBB87_27:                              ;   in Loop: Header=BB87_8 Depth=1
	s_wait_alu 0xfffe
	s_and_not1_saveexec_b32 s31, s31
	s_cbranch_execz .LBB87_30
; %bb.28:                               ;   in Loop: Header=BB87_8 Depth=1
	v_mul_f32_e32 v23, v96, v96
	s_delay_alu instid0(VALU_DEP_1) | instskip(NEXT) | instid1(VALU_DEP_1)
	v_fmaak_f32 v98, s9, v23, 0x3ca908c9
	v_fmaak_f32 v98, v23, v98, 0xbd5c1c4e
	s_delay_alu instid0(VALU_DEP_1) | instskip(NEXT) | instid1(VALU_DEP_1)
	v_fmaak_f32 v98, v23, v98, 0x3e088382
	v_fmaak_f32 v98, v23, v98, 0xbeaaaa99
	s_delay_alu instid0(VALU_DEP_1) | instskip(NEXT) | instid1(VALU_DEP_1)
	v_mul_f32_e64 v98, |v96|, v98
	v_fma_f32 v98, v23, v98, |v96|
	s_wait_alu 0xfffe
	s_or_b32 exec_lo, exec_lo, s31
	s_delay_alu instid0(SALU_CYCLE_1)
	s_and_not1_b32 vcc_lo, exec_lo, s8
	s_wait_alu 0xfffe
	s_cbranch_vccz .LBB87_31
.LBB87_29:                              ;   in Loop: Header=BB87_8 Depth=1
	v_mov_b32_e32 v23, 0
	s_branch .LBB87_32
.LBB87_30:                              ;   in Loop: Header=BB87_8 Depth=1
	s_wait_alu 0xfffe
	s_or_b32 exec_lo, exec_lo, s31
	s_delay_alu instid0(SALU_CYCLE_1)
	s_and_not1_b32 vcc_lo, exec_lo, s8
	s_wait_alu 0xfffe
	s_cbranch_vccnz .LBB87_29
.LBB87_31:                              ;   in Loop: Header=BB87_8 Depth=1
	v_lshlrev_b64_e32 v[0:1], 1, v[0:1]
	s_delay_alu instid0(VALU_DEP_1) | instskip(SKIP_1) | instid1(VALU_DEP_2)
	v_add_co_u32 v0, vcc_lo, s38, v0
	s_wait_alu 0xfffd
	v_add_co_ci_u32_e64 v1, null, s39, v1, vcc_lo
	global_load_u16 v0, v[0:1], off offset:192
	s_wait_loadcnt 0x0
	v_cvt_f32_f16_e32 v0, v0
	s_delay_alu instid0(VALU_DEP_1)
	v_mul_f32_e32 v23, v48, v0
.LBB87_32:                              ;   in Loop: Header=BB87_8 Depth=1
	v_bfi_b32 v0, 0x7fffffff, v2, v93
	v_bfi_b32 v1, 0x7fffffff, v22, v94
	;; [unrolled: 1-line block ×3, first 2 shown]
	v_cmp_ngt_f32_e64 s31, 0x3f200000, |v89|
                                        ; implicit-def: $vgpr103
	s_delay_alu instid0(VALU_DEP_3) | instskip(SKIP_2) | instid1(VALU_DEP_3)
	v_dual_fmac_f32 v3, s11, v0 :: v_dual_fmac_f32 v20, s11, v1
	v_bfi_b32 v0, 0x7fffffff, v98, v96
	v_xor_b32_e32 v1, 16, v72
	v_dual_fmac_f32 v21, s11, v2 :: v_dual_add_f32 v2, 0x40051340, v3
	s_delay_alu instid0(VALU_DEP_4) | instskip(NEXT) | instid1(VALU_DEP_3)
	v_add_f32_e32 v22, 0x40051340, v20
	v_cmp_gt_i32_e32 vcc_lo, 32, v1
	s_wait_alu 0xfffd
	v_dual_fmac_f32 v23, s11, v0 :: v_dual_cndmask_b32 v0, v72, v1
	v_add_f32_e32 v1, 0x40051340, v21
	v_max3_num_f32 v22, v80, v2, v22
	s_delay_alu instid0(VALU_DEP_3) | instskip(NEXT) | instid1(VALU_DEP_1)
	v_dual_add_f32 v93, 0x40051340, v23 :: v_dual_lshlrev_b32 v2, 2, v0
	v_max3_num_f32 v0, v22, v1, v93
	v_xor_b32_e32 v22, 8, v72
	ds_bpermute_b32 v1, v2, v0
	v_cmp_gt_i32_e32 vcc_lo, 32, v22
	s_wait_dscnt 0x0
	s_wait_alu 0xfffd
	v_dual_cndmask_b32 v22, v72, v22 :: v_dual_max_num_f32 v1, v1, v1
	s_delay_alu instid0(VALU_DEP_1) | instskip(SKIP_1) | instid1(VALU_DEP_3)
	v_lshlrev_b32_e32 v95, 2, v22
	v_xor_b32_e32 v22, 4, v72
	v_max_num_f32_e32 v0, v0, v1
	s_delay_alu instid0(VALU_DEP_2) | instskip(SKIP_4) | instid1(VALU_DEP_1)
	v_cmp_gt_i32_e32 vcc_lo, 32, v22
	ds_bpermute_b32 v1, v95, v0
	s_wait_dscnt 0x0
	s_wait_alu 0xfffd
	v_dual_cndmask_b32 v22, v72, v22 :: v_dual_max_num_f32 v1, v1, v1
	v_lshlrev_b32_e32 v94, 2, v22
	v_xor_b32_e32 v22, 2, v72
	s_delay_alu instid0(VALU_DEP_1) | instskip(SKIP_2) | instid1(VALU_DEP_1)
	v_cmp_gt_i32_e32 vcc_lo, 32, v22
	s_wait_alu 0xfffd
	v_cndmask_b32_e32 v22, v72, v22, vcc_lo
	v_dual_max_num_f32 v0, v0, v1 :: v_dual_lshlrev_b32 v93, 2, v22
	ds_bpermute_b32 v1, v94, v0
	v_xor_b32_e32 v22, 1, v72
	s_delay_alu instid0(VALU_DEP_1) | instskip(SKIP_3) | instid1(VALU_DEP_1)
	v_cmp_gt_i32_e32 vcc_lo, 32, v22
	s_wait_dscnt 0x0
	s_wait_alu 0xfffd
	v_dual_cndmask_b32 v22, v72, v22 :: v_dual_max_num_f32 v1, v1, v1
	v_max_num_f32_e32 v0, v0, v1
	ds_bpermute_b32 v1, v93, v0
	s_wait_dscnt 0x0
	v_dual_max_num_f32 v1, v1, v1 :: v_dual_lshlrev_b32 v22, 2, v22
	s_delay_alu instid0(VALU_DEP_1) | instskip(SKIP_2) | instid1(SALU_CYCLE_1)
	v_max_num_f32_e32 v101, v0, v1
	ds_bpermute_b32 v102, v22, v101
	s_and_saveexec_b32 s37, s31
	s_xor_b32 s31, exec_lo, s37
	s_cbranch_execz .LBB87_34
; %bb.33:                               ;   in Loop: Header=BB87_8 Depth=1
	v_add_f32_e64 v0, |v89|, |v89|
	s_delay_alu instid0(VALU_DEP_1) | instskip(SKIP_1) | instid1(VALU_DEP_2)
	v_mul_f32_e32 v1, 0x3fb8aa3b, v0
	v_cmp_ngt_f32_e32 vcc_lo, 0xc2ce8ed0, v0
	v_rndne_f32_e32 v96, v1
	v_fma_f32 v97, 0x3fb8aa3b, v0, -v1
	s_delay_alu instid0(VALU_DEP_2) | instskip(NEXT) | instid1(VALU_DEP_2)
	v_sub_f32_e32 v1, v1, v96
	v_fmac_f32_e32 v97, 0x32a5705f, v0
	v_cvt_i32_f32_e32 v96, v96
	s_delay_alu instid0(VALU_DEP_2) | instskip(NEXT) | instid1(VALU_DEP_1)
	v_add_f32_e32 v1, v1, v97
	v_exp_f32_e32 v1, v1
	s_delay_alu instid0(TRANS32_DEP_1) | instskip(SKIP_1) | instid1(VALU_DEP_1)
	v_ldexp_f32 v1, v1, v96
	s_wait_alu 0xfffd
	v_cndmask_b32_e32 v1, 0, v1, vcc_lo
	v_cmp_nlt_f32_e32 vcc_lo, 0x42b17218, v0
	s_wait_alu 0xfffd
	s_delay_alu instid0(VALU_DEP_2) | instskip(NEXT) | instid1(VALU_DEP_1)
	v_cndmask_b32_e32 v0, 0x7f800000, v1, vcc_lo
	v_add_f32_e32 v0, 1.0, v0
	s_delay_alu instid0(VALU_DEP_1) | instskip(NEXT) | instid1(TRANS32_DEP_1)
	v_rcp_f32_e32 v0, v0
	v_fma_f32 v103, v0, -2.0, 1.0
.LBB87_34:                              ;   in Loop: Header=BB87_8 Depth=1
	s_wait_alu 0xfffe
	s_and_not1_saveexec_b32 s31, s31
	s_cbranch_execz .LBB87_36
; %bb.35:                               ;   in Loop: Header=BB87_8 Depth=1
	v_mul_f32_e32 v0, v89, v89
	s_delay_alu instid0(VALU_DEP_1) | instskip(NEXT) | instid1(VALU_DEP_1)
	v_fmaak_f32 v1, s9, v0, 0x3ca908c9
	v_fmaak_f32 v1, v0, v1, 0xbd5c1c4e
	s_delay_alu instid0(VALU_DEP_1) | instskip(NEXT) | instid1(VALU_DEP_1)
	v_fmaak_f32 v1, v0, v1, 0x3e088382
	v_fmaak_f32 v1, v0, v1, 0xbeaaaa99
	s_delay_alu instid0(VALU_DEP_1) | instskip(NEXT) | instid1(VALU_DEP_1)
	v_mul_f32_e64 v1, |v89|, v1
	v_fma_f32 v103, v0, v1, |v89|
.LBB87_36:                              ;   in Loop: Header=BB87_8 Depth=1
	s_wait_alu 0xfffe
	s_or_b32 exec_lo, exec_lo, s31
	v_add_nc_u32_e32 v0, v100, v63
	s_and_not1_b32 vcc_lo, exec_lo, s8
	s_delay_alu instid0(VALU_DEP_1)
	v_ashrrev_i32_e32 v1, 31, v0
	s_wait_alu 0xfffe
	s_cbranch_vccnz .LBB87_107
; %bb.37:                               ;   in Loop: Header=BB87_8 Depth=1
	s_delay_alu instid0(VALU_DEP_1) | instskip(NEXT) | instid1(VALU_DEP_1)
	v_lshlrev_b64_e32 v[96:97], 1, v[0:1]
	v_add_co_u32 v96, vcc_lo, s38, v96
	s_wait_alu 0xfffd
	s_delay_alu instid0(VALU_DEP_2) | instskip(SKIP_3) | instid1(VALU_DEP_1)
	v_add_co_ci_u32_e64 v97, null, s39, v97, vcc_lo
	global_load_u16 v96, v[96:97], off
	s_wait_loadcnt 0x0
	v_cvt_f32_f16_e32 v96, v96
	v_mul_f32_e32 v96, v48, v96
	v_cmp_ngt_f32_e64 s31, 0x3f200000, |v90|
                                        ; implicit-def: $vgpr104
	s_and_saveexec_b32 s37, s31
	s_delay_alu instid0(SALU_CYCLE_1)
	s_xor_b32 s31, exec_lo, s37
	s_cbranch_execz .LBB87_39
.LBB87_38:                              ;   in Loop: Header=BB87_8 Depth=1
	v_add_f32_e64 v97, |v90|, |v90|
	s_delay_alu instid0(VALU_DEP_1) | instskip(SKIP_1) | instid1(VALU_DEP_2)
	v_mul_f32_e32 v98, 0x3fb8aa3b, v97
	v_cmp_ngt_f32_e32 vcc_lo, 0xc2ce8ed0, v97
	v_rndne_f32_e32 v99, v98
	v_fma_f32 v104, 0x3fb8aa3b, v97, -v98
	s_delay_alu instid0(VALU_DEP_2) | instskip(NEXT) | instid1(VALU_DEP_2)
	v_sub_f32_e32 v98, v98, v99
	v_fmac_f32_e32 v104, 0x32a5705f, v97
	v_cvt_i32_f32_e32 v99, v99
	s_delay_alu instid0(VALU_DEP_2) | instskip(NEXT) | instid1(VALU_DEP_1)
	v_add_f32_e32 v98, v98, v104
	v_exp_f32_e32 v98, v98
	s_delay_alu instid0(TRANS32_DEP_1) | instskip(SKIP_1) | instid1(VALU_DEP_1)
	v_ldexp_f32 v98, v98, v99
	s_wait_alu 0xfffd
	v_cndmask_b32_e32 v98, 0, v98, vcc_lo
	v_cmp_nlt_f32_e32 vcc_lo, 0x42b17218, v97
	s_wait_alu 0xfffd
	s_delay_alu instid0(VALU_DEP_2) | instskip(NEXT) | instid1(VALU_DEP_1)
	v_cndmask_b32_e32 v97, 0x7f800000, v98, vcc_lo
	v_add_f32_e32 v97, 1.0, v97
	s_delay_alu instid0(VALU_DEP_1) | instskip(NEXT) | instid1(TRANS32_DEP_1)
	v_rcp_f32_e32 v97, v97
	v_fma_f32 v104, v97, -2.0, 1.0
.LBB87_39:                              ;   in Loop: Header=BB87_8 Depth=1
	s_wait_alu 0xfffe
	s_and_not1_saveexec_b32 s31, s31
	s_cbranch_execz .LBB87_42
; %bb.40:                               ;   in Loop: Header=BB87_8 Depth=1
	v_mul_f32_e32 v97, v90, v90
	s_delay_alu instid0(VALU_DEP_1) | instskip(NEXT) | instid1(VALU_DEP_1)
	v_fmaak_f32 v98, s9, v97, 0x3ca908c9
	v_fmaak_f32 v98, v97, v98, 0xbd5c1c4e
	s_delay_alu instid0(VALU_DEP_1) | instskip(NEXT) | instid1(VALU_DEP_1)
	v_fmaak_f32 v98, v97, v98, 0x3e088382
	v_fmaak_f32 v98, v97, v98, 0xbeaaaa99
	s_delay_alu instid0(VALU_DEP_1) | instskip(NEXT) | instid1(VALU_DEP_1)
	v_mul_f32_e64 v98, |v90|, v98
	v_fma_f32 v104, v97, v98, |v90|
	s_wait_alu 0xfffe
	s_or_b32 exec_lo, exec_lo, s31
	s_delay_alu instid0(SALU_CYCLE_1)
	s_and_not1_b32 vcc_lo, exec_lo, s8
	s_wait_alu 0xfffe
	s_cbranch_vccz .LBB87_43
.LBB87_41:                              ;   in Loop: Header=BB87_8 Depth=1
	v_mov_b32_e32 v98, 0
	v_cmp_ngt_f32_e64 s31, 0x3f200000, |v91|
                                        ; implicit-def: $vgpr105
	s_and_saveexec_b32 s37, s31
	s_delay_alu instid0(SALU_CYCLE_1)
	s_xor_b32 s31, exec_lo, s37
	s_cbranch_execz .LBB87_45
	s_branch .LBB87_44
.LBB87_42:                              ;   in Loop: Header=BB87_8 Depth=1
	s_wait_alu 0xfffe
	s_or_b32 exec_lo, exec_lo, s31
	s_delay_alu instid0(SALU_CYCLE_1)
	s_and_not1_b32 vcc_lo, exec_lo, s8
	s_wait_alu 0xfffe
	s_cbranch_vccnz .LBB87_41
.LBB87_43:                              ;   in Loop: Header=BB87_8 Depth=1
	v_lshlrev_b64_e32 v[97:98], 1, v[0:1]
	s_delay_alu instid0(VALU_DEP_1) | instskip(SKIP_1) | instid1(VALU_DEP_2)
	v_add_co_u32 v97, vcc_lo, s38, v97
	s_wait_alu 0xfffd
	v_add_co_ci_u32_e64 v98, null, s39, v98, vcc_lo
	global_load_u16 v97, v[97:98], off offset:64
	s_wait_loadcnt 0x0
	v_cvt_f32_f16_e32 v97, v97
	s_delay_alu instid0(VALU_DEP_1) | instskip(SKIP_2) | instid1(SALU_CYCLE_1)
	v_mul_f32_e32 v98, v48, v97
	v_cmp_ngt_f32_e64 s31, 0x3f200000, |v91|
                                        ; implicit-def: $vgpr105
	s_and_saveexec_b32 s37, s31
	s_xor_b32 s31, exec_lo, s37
	s_cbranch_execz .LBB87_45
.LBB87_44:                              ;   in Loop: Header=BB87_8 Depth=1
	v_add_f32_e64 v97, |v91|, |v91|
	s_delay_alu instid0(VALU_DEP_1) | instskip(SKIP_1) | instid1(VALU_DEP_2)
	v_mul_f32_e32 v99, 0x3fb8aa3b, v97
	v_cmp_ngt_f32_e32 vcc_lo, 0xc2ce8ed0, v97
	v_rndne_f32_e32 v105, v99
	v_fma_f32 v106, 0x3fb8aa3b, v97, -v99
	s_delay_alu instid0(VALU_DEP_2) | instskip(NEXT) | instid1(VALU_DEP_2)
	v_sub_f32_e32 v99, v99, v105
	v_fmac_f32_e32 v106, 0x32a5705f, v97
	v_cvt_i32_f32_e32 v105, v105
	s_delay_alu instid0(VALU_DEP_2) | instskip(NEXT) | instid1(VALU_DEP_1)
	v_add_f32_e32 v99, v99, v106
	v_exp_f32_e32 v99, v99
	s_delay_alu instid0(TRANS32_DEP_1) | instskip(SKIP_1) | instid1(VALU_DEP_1)
	v_ldexp_f32 v99, v99, v105
	s_wait_alu 0xfffd
	v_cndmask_b32_e32 v99, 0, v99, vcc_lo
	v_cmp_nlt_f32_e32 vcc_lo, 0x42b17218, v97
	s_wait_alu 0xfffd
	s_delay_alu instid0(VALU_DEP_2) | instskip(NEXT) | instid1(VALU_DEP_1)
	v_cndmask_b32_e32 v97, 0x7f800000, v99, vcc_lo
	v_add_f32_e32 v97, 1.0, v97
	s_delay_alu instid0(VALU_DEP_1) | instskip(NEXT) | instid1(TRANS32_DEP_1)
	v_rcp_f32_e32 v97, v97
	v_fma_f32 v105, v97, -2.0, 1.0
.LBB87_45:                              ;   in Loop: Header=BB87_8 Depth=1
	s_wait_alu 0xfffe
	s_and_not1_saveexec_b32 s31, s31
	s_cbranch_execz .LBB87_48
; %bb.46:                               ;   in Loop: Header=BB87_8 Depth=1
	v_mul_f32_e32 v97, v91, v91
	s_delay_alu instid0(VALU_DEP_1) | instskip(NEXT) | instid1(VALU_DEP_1)
	v_fmaak_f32 v99, s9, v97, 0x3ca908c9
	v_fmaak_f32 v99, v97, v99, 0xbd5c1c4e
	s_delay_alu instid0(VALU_DEP_1) | instskip(NEXT) | instid1(VALU_DEP_1)
	v_fmaak_f32 v99, v97, v99, 0x3e088382
	v_fmaak_f32 v99, v97, v99, 0xbeaaaa99
	s_delay_alu instid0(VALU_DEP_1) | instskip(NEXT) | instid1(VALU_DEP_1)
	v_mul_f32_e64 v99, |v91|, v99
	v_fma_f32 v105, v97, v99, |v91|
	s_wait_alu 0xfffe
	s_or_b32 exec_lo, exec_lo, s31
	s_delay_alu instid0(SALU_CYCLE_1)
	s_and_not1_b32 vcc_lo, exec_lo, s8
	s_wait_alu 0xfffe
	s_cbranch_vccz .LBB87_49
.LBB87_47:                              ;   in Loop: Header=BB87_8 Depth=1
	v_mov_b32_e32 v97, 0
	v_cmp_ngt_f32_e64 s31, 0x3f200000, |v92|
                                        ; implicit-def: $vgpr106
	s_and_saveexec_b32 s37, s31
	s_delay_alu instid0(SALU_CYCLE_1)
	s_xor_b32 s31, exec_lo, s37
	s_cbranch_execz .LBB87_51
	s_branch .LBB87_50
.LBB87_48:                              ;   in Loop: Header=BB87_8 Depth=1
	s_wait_alu 0xfffe
	s_or_b32 exec_lo, exec_lo, s31
	s_delay_alu instid0(SALU_CYCLE_1)
	s_and_not1_b32 vcc_lo, exec_lo, s8
	s_wait_alu 0xfffe
	s_cbranch_vccnz .LBB87_47
.LBB87_49:                              ;   in Loop: Header=BB87_8 Depth=1
	v_lshlrev_b64_e32 v[106:107], 1, v[0:1]
	s_delay_alu instid0(VALU_DEP_1) | instskip(SKIP_1) | instid1(VALU_DEP_2)
	v_add_co_u32 v106, vcc_lo, s38, v106
	s_wait_alu 0xfffd
	v_add_co_ci_u32_e64 v107, null, s39, v107, vcc_lo
	global_load_u16 v97, v[106:107], off offset:128
	s_wait_loadcnt 0x0
	v_cvt_f32_f16_e32 v97, v97
	s_delay_alu instid0(VALU_DEP_1) | instskip(SKIP_2) | instid1(SALU_CYCLE_1)
	v_mul_f32_e32 v97, v48, v97
	v_cmp_ngt_f32_e64 s31, 0x3f200000, |v92|
                                        ; implicit-def: $vgpr106
	s_and_saveexec_b32 s37, s31
	s_xor_b32 s31, exec_lo, s37
	s_cbranch_execz .LBB87_51
.LBB87_50:                              ;   in Loop: Header=BB87_8 Depth=1
	v_add_f32_e64 v99, |v92|, |v92|
	s_delay_alu instid0(VALU_DEP_1) | instskip(SKIP_1) | instid1(VALU_DEP_2)
	v_mul_f32_e32 v106, 0x3fb8aa3b, v99
	v_cmp_ngt_f32_e32 vcc_lo, 0xc2ce8ed0, v99
	v_rndne_f32_e32 v107, v106
	v_fma_f32 v108, 0x3fb8aa3b, v99, -v106
	s_delay_alu instid0(VALU_DEP_2) | instskip(NEXT) | instid1(VALU_DEP_2)
	v_sub_f32_e32 v106, v106, v107
	v_fmac_f32_e32 v108, 0x32a5705f, v99
	v_cvt_i32_f32_e32 v107, v107
	s_delay_alu instid0(VALU_DEP_2) | instskip(NEXT) | instid1(VALU_DEP_1)
	v_add_f32_e32 v106, v106, v108
	v_exp_f32_e32 v106, v106
	s_delay_alu instid0(TRANS32_DEP_1) | instskip(SKIP_1) | instid1(VALU_DEP_1)
	v_ldexp_f32 v106, v106, v107
	s_wait_alu 0xfffd
	v_cndmask_b32_e32 v106, 0, v106, vcc_lo
	v_cmp_nlt_f32_e32 vcc_lo, 0x42b17218, v99
	s_wait_alu 0xfffd
	s_delay_alu instid0(VALU_DEP_2) | instskip(NEXT) | instid1(VALU_DEP_1)
	v_cndmask_b32_e32 v99, 0x7f800000, v106, vcc_lo
	v_add_f32_e32 v99, 1.0, v99
	s_delay_alu instid0(VALU_DEP_1) | instskip(NEXT) | instid1(TRANS32_DEP_1)
	v_rcp_f32_e32 v99, v99
	v_fma_f32 v106, v99, -2.0, 1.0
.LBB87_51:                              ;   in Loop: Header=BB87_8 Depth=1
	s_wait_alu 0xfffe
	s_and_not1_saveexec_b32 s31, s31
	s_cbranch_execz .LBB87_54
; %bb.52:                               ;   in Loop: Header=BB87_8 Depth=1
	v_mul_f32_e32 v99, v92, v92
	s_delay_alu instid0(VALU_DEP_1) | instskip(NEXT) | instid1(VALU_DEP_1)
	v_fmaak_f32 v106, s9, v99, 0x3ca908c9
	v_fmaak_f32 v106, v99, v106, 0xbd5c1c4e
	s_delay_alu instid0(VALU_DEP_1) | instskip(NEXT) | instid1(VALU_DEP_1)
	v_fmaak_f32 v106, v99, v106, 0x3e088382
	v_fmaak_f32 v106, v99, v106, 0xbeaaaa99
	s_delay_alu instid0(VALU_DEP_1) | instskip(NEXT) | instid1(VALU_DEP_1)
	v_mul_f32_e64 v106, |v92|, v106
	v_fma_f32 v106, v99, v106, |v92|
	s_wait_alu 0xfffe
	s_or_b32 exec_lo, exec_lo, s31
	s_delay_alu instid0(SALU_CYCLE_1)
	s_and_not1_b32 vcc_lo, exec_lo, s8
	s_wait_alu 0xfffe
	s_cbranch_vccz .LBB87_55
.LBB87_53:                              ;   in Loop: Header=BB87_8 Depth=1
	v_mov_b32_e32 v99, 0
	s_branch .LBB87_56
.LBB87_54:                              ;   in Loop: Header=BB87_8 Depth=1
	s_wait_alu 0xfffe
	s_or_b32 exec_lo, exec_lo, s31
	s_delay_alu instid0(SALU_CYCLE_1)
	s_and_not1_b32 vcc_lo, exec_lo, s8
	s_wait_alu 0xfffe
	s_cbranch_vccnz .LBB87_53
.LBB87_55:                              ;   in Loop: Header=BB87_8 Depth=1
	v_lshlrev_b64_e32 v[0:1], 1, v[0:1]
	s_delay_alu instid0(VALU_DEP_1) | instskip(SKIP_1) | instid1(VALU_DEP_2)
	v_add_co_u32 v0, vcc_lo, s38, v0
	s_wait_alu 0xfffd
	v_add_co_ci_u32_e64 v1, null, s39, v1, vcc_lo
	global_load_u16 v0, v[0:1], off offset:192
	s_wait_loadcnt 0x0
	v_cvt_f32_f16_e32 v0, v0
	s_delay_alu instid0(VALU_DEP_1)
	v_mul_f32_e32 v99, v48, v0
.LBB87_56:                              ;   in Loop: Header=BB87_8 Depth=1
	v_bfi_b32 v0, 0x7fffffff, v103, v89
	v_bfi_b32 v1, 0x7fffffff, v104, v90
	;; [unrolled: 1-line block ×3, first 2 shown]
	v_cmp_ngt_f32_e64 s31, 0x3f200000, |v85|
                                        ; implicit-def: $vgpr105
	s_delay_alu instid0(VALU_DEP_4) | instskip(SKIP_1) | instid1(VALU_DEP_4)
	v_fmac_f32_e32 v96, s11, v0
	v_bfi_b32 v0, 0x7fffffff, v106, v92
	v_fmac_f32_e32 v97, s11, v89
	s_delay_alu instid0(VALU_DEP_3) | instskip(NEXT) | instid1(VALU_DEP_2)
	v_dual_fmac_f32 v98, s11, v1 :: v_dual_add_f32 v1, 0x40051340, v96
	v_dual_fmac_f32 v99, s11, v0 :: v_dual_add_f32 v0, 0x40051340, v97
	s_delay_alu instid0(VALU_DEP_2) | instskip(NEXT) | instid1(VALU_DEP_1)
	v_add_f32_e32 v89, 0x40051340, v98
	v_max3_num_f32 v1, v78, v1, v89
	s_delay_alu instid0(VALU_DEP_3) | instskip(NEXT) | instid1(VALU_DEP_1)
	v_add_f32_e32 v89, 0x40051340, v99
	v_max3_num_f32 v0, v1, v0, v89
	ds_bpermute_b32 v1, v2, v0
	s_wait_dscnt 0x0
	v_max_num_f32_e32 v1, v1, v1
	s_delay_alu instid0(VALU_DEP_1) | instskip(SKIP_3) | instid1(VALU_DEP_1)
	v_max_num_f32_e32 v0, v0, v1
	ds_bpermute_b32 v1, v95, v0
	s_wait_dscnt 0x0
	v_max_num_f32_e32 v1, v1, v1
	v_max_num_f32_e32 v0, v0, v1
	ds_bpermute_b32 v1, v94, v0
	s_wait_dscnt 0x0
	v_max_num_f32_e32 v1, v1, v1
	s_delay_alu instid0(VALU_DEP_1) | instskip(SKIP_3) | instid1(VALU_DEP_1)
	v_max_num_f32_e32 v0, v0, v1
	ds_bpermute_b32 v1, v93, v0
	s_wait_dscnt 0x0
	v_max_num_f32_e32 v1, v1, v1
	v_max_num_f32_e32 v103, v0, v1
	ds_bpermute_b32 v104, v22, v103
	s_and_saveexec_b32 s37, s31
	s_delay_alu instid0(SALU_CYCLE_1)
	s_xor_b32 s31, exec_lo, s37
	s_cbranch_execz .LBB87_58
; %bb.57:                               ;   in Loop: Header=BB87_8 Depth=1
	v_add_f32_e64 v0, |v85|, |v85|
	s_delay_alu instid0(VALU_DEP_1) | instskip(SKIP_1) | instid1(VALU_DEP_2)
	v_mul_f32_e32 v1, 0x3fb8aa3b, v0
	v_cmp_ngt_f32_e32 vcc_lo, 0xc2ce8ed0, v0
	v_rndne_f32_e32 v89, v1
	v_fma_f32 v90, 0x3fb8aa3b, v0, -v1
	s_delay_alu instid0(VALU_DEP_1) | instskip(SKIP_1) | instid1(VALU_DEP_2)
	v_dual_sub_f32 v1, v1, v89 :: v_dual_fmac_f32 v90, 0x32a5705f, v0
	v_cvt_i32_f32_e32 v89, v89
	v_add_f32_e32 v1, v1, v90
	s_delay_alu instid0(VALU_DEP_1) | instskip(NEXT) | instid1(TRANS32_DEP_1)
	v_exp_f32_e32 v1, v1
	v_ldexp_f32 v1, v1, v89
	s_wait_alu 0xfffd
	s_delay_alu instid0(VALU_DEP_1) | instskip(SKIP_2) | instid1(VALU_DEP_2)
	v_cndmask_b32_e32 v1, 0, v1, vcc_lo
	v_cmp_nlt_f32_e32 vcc_lo, 0x42b17218, v0
	s_wait_alu 0xfffd
	v_cndmask_b32_e32 v0, 0x7f800000, v1, vcc_lo
	s_delay_alu instid0(VALU_DEP_1) | instskip(NEXT) | instid1(VALU_DEP_1)
	v_add_f32_e32 v0, 1.0, v0
	v_rcp_f32_e32 v0, v0
	s_delay_alu instid0(TRANS32_DEP_1)
	v_fma_f32 v105, v0, -2.0, 1.0
.LBB87_58:                              ;   in Loop: Header=BB87_8 Depth=1
	s_wait_alu 0xfffe
	s_and_not1_saveexec_b32 s31, s31
	s_cbranch_execz .LBB87_60
; %bb.59:                               ;   in Loop: Header=BB87_8 Depth=1
	v_mul_f32_e32 v0, v85, v85
	s_delay_alu instid0(VALU_DEP_1) | instskip(NEXT) | instid1(VALU_DEP_1)
	v_fmaak_f32 v1, s9, v0, 0x3ca908c9
	v_fmaak_f32 v1, v0, v1, 0xbd5c1c4e
	s_delay_alu instid0(VALU_DEP_1) | instskip(NEXT) | instid1(VALU_DEP_1)
	v_fmaak_f32 v1, v0, v1, 0x3e088382
	v_fmaak_f32 v1, v0, v1, 0xbeaaaa99
	s_delay_alu instid0(VALU_DEP_1) | instskip(NEXT) | instid1(VALU_DEP_1)
	v_mul_f32_e64 v1, |v85|, v1
	v_fma_f32 v105, v0, v1, |v85|
.LBB87_60:                              ;   in Loop: Header=BB87_8 Depth=1
	s_wait_alu 0xfffe
	s_or_b32 exec_lo, exec_lo, s31
	v_add_nc_u32_e32 v0, v100, v65
	s_and_not1_b32 vcc_lo, exec_lo, s8
	s_delay_alu instid0(VALU_DEP_1)
	v_ashrrev_i32_e32 v1, 31, v0
	s_wait_alu 0xfffe
	s_cbranch_vccnz .LBB87_108
; %bb.61:                               ;   in Loop: Header=BB87_8 Depth=1
	s_delay_alu instid0(VALU_DEP_1) | instskip(NEXT) | instid1(VALU_DEP_1)
	v_lshlrev_b64_e32 v[89:90], 1, v[0:1]
	v_add_co_u32 v89, vcc_lo, s38, v89
	s_wait_alu 0xfffd
	s_delay_alu instid0(VALU_DEP_2) | instskip(SKIP_3) | instid1(VALU_DEP_1)
	v_add_co_ci_u32_e64 v90, null, s39, v90, vcc_lo
	global_load_u16 v89, v[89:90], off
	s_wait_loadcnt 0x0
	v_cvt_f32_f16_e32 v89, v89
	v_mul_f32_e32 v89, v48, v89
	v_cmp_ngt_f32_e64 s31, 0x3f200000, |v86|
                                        ; implicit-def: $vgpr106
	s_and_saveexec_b32 s37, s31
	s_delay_alu instid0(SALU_CYCLE_1)
	s_xor_b32 s31, exec_lo, s37
	s_cbranch_execz .LBB87_63
.LBB87_62:                              ;   in Loop: Header=BB87_8 Depth=1
	v_add_f32_e64 v90, |v86|, |v86|
	s_delay_alu instid0(VALU_DEP_1) | instskip(SKIP_1) | instid1(VALU_DEP_2)
	v_mul_f32_e32 v91, 0x3fb8aa3b, v90
	v_cmp_ngt_f32_e32 vcc_lo, 0xc2ce8ed0, v90
	v_rndne_f32_e32 v92, v91
	v_fma_f32 v106, 0x3fb8aa3b, v90, -v91
	s_delay_alu instid0(VALU_DEP_1) | instskip(SKIP_1) | instid1(VALU_DEP_2)
	v_dual_sub_f32 v91, v91, v92 :: v_dual_fmac_f32 v106, 0x32a5705f, v90
	v_cvt_i32_f32_e32 v92, v92
	v_add_f32_e32 v91, v91, v106
	s_delay_alu instid0(VALU_DEP_1) | instskip(NEXT) | instid1(TRANS32_DEP_1)
	v_exp_f32_e32 v91, v91
	v_ldexp_f32 v91, v91, v92
	s_wait_alu 0xfffd
	s_delay_alu instid0(VALU_DEP_1) | instskip(SKIP_2) | instid1(VALU_DEP_2)
	v_cndmask_b32_e32 v91, 0, v91, vcc_lo
	v_cmp_nlt_f32_e32 vcc_lo, 0x42b17218, v90
	s_wait_alu 0xfffd
	v_cndmask_b32_e32 v90, 0x7f800000, v91, vcc_lo
	s_delay_alu instid0(VALU_DEP_1) | instskip(NEXT) | instid1(VALU_DEP_1)
	v_add_f32_e32 v90, 1.0, v90
	v_rcp_f32_e32 v90, v90
	s_delay_alu instid0(TRANS32_DEP_1)
	v_fma_f32 v106, v90, -2.0, 1.0
.LBB87_63:                              ;   in Loop: Header=BB87_8 Depth=1
	s_wait_alu 0xfffe
	s_and_not1_saveexec_b32 s31, s31
	s_cbranch_execz .LBB87_66
; %bb.64:                               ;   in Loop: Header=BB87_8 Depth=1
	v_mul_f32_e32 v90, v86, v86
	s_delay_alu instid0(VALU_DEP_1) | instskip(NEXT) | instid1(VALU_DEP_1)
	v_fmaak_f32 v91, s9, v90, 0x3ca908c9
	v_fmaak_f32 v91, v90, v91, 0xbd5c1c4e
	s_delay_alu instid0(VALU_DEP_1) | instskip(NEXT) | instid1(VALU_DEP_1)
	v_fmaak_f32 v91, v90, v91, 0x3e088382
	v_fmaak_f32 v91, v90, v91, 0xbeaaaa99
	s_delay_alu instid0(VALU_DEP_1) | instskip(NEXT) | instid1(VALU_DEP_1)
	v_mul_f32_e64 v91, |v86|, v91
	v_fma_f32 v106, v90, v91, |v86|
	s_wait_alu 0xfffe
	s_or_b32 exec_lo, exec_lo, s31
	s_delay_alu instid0(SALU_CYCLE_1)
	s_and_not1_b32 vcc_lo, exec_lo, s8
	s_wait_alu 0xfffe
	s_cbranch_vccz .LBB87_67
.LBB87_65:                              ;   in Loop: Header=BB87_8 Depth=1
	v_mov_b32_e32 v90, 0
	v_cmp_ngt_f32_e64 s31, 0x3f200000, |v87|
                                        ; implicit-def: $vgpr107
	s_and_saveexec_b32 s37, s31
	s_delay_alu instid0(SALU_CYCLE_1)
	s_xor_b32 s31, exec_lo, s37
	s_cbranch_execz .LBB87_69
	s_branch .LBB87_68
.LBB87_66:                              ;   in Loop: Header=BB87_8 Depth=1
	s_wait_alu 0xfffe
	s_or_b32 exec_lo, exec_lo, s31
	s_delay_alu instid0(SALU_CYCLE_1)
	s_and_not1_b32 vcc_lo, exec_lo, s8
	s_wait_alu 0xfffe
	s_cbranch_vccnz .LBB87_65
.LBB87_67:                              ;   in Loop: Header=BB87_8 Depth=1
	v_lshlrev_b64_e32 v[90:91], 1, v[0:1]
	s_delay_alu instid0(VALU_DEP_1) | instskip(SKIP_1) | instid1(VALU_DEP_2)
	v_add_co_u32 v90, vcc_lo, s38, v90
	s_wait_alu 0xfffd
	v_add_co_ci_u32_e64 v91, null, s39, v91, vcc_lo
	global_load_u16 v90, v[90:91], off offset:64
	s_wait_loadcnt 0x0
	v_cvt_f32_f16_e32 v90, v90
	s_delay_alu instid0(VALU_DEP_1) | instskip(SKIP_2) | instid1(SALU_CYCLE_1)
	v_mul_f32_e32 v90, v48, v90
	v_cmp_ngt_f32_e64 s31, 0x3f200000, |v87|
                                        ; implicit-def: $vgpr107
	s_and_saveexec_b32 s37, s31
	s_xor_b32 s31, exec_lo, s37
	s_cbranch_execz .LBB87_69
.LBB87_68:                              ;   in Loop: Header=BB87_8 Depth=1
	v_add_f32_e64 v91, |v87|, |v87|
	s_delay_alu instid0(VALU_DEP_1) | instskip(SKIP_1) | instid1(VALU_DEP_2)
	v_mul_f32_e32 v92, 0x3fb8aa3b, v91
	v_cmp_ngt_f32_e32 vcc_lo, 0xc2ce8ed0, v91
	v_rndne_f32_e32 v107, v92
	v_fma_f32 v108, 0x3fb8aa3b, v91, -v92
	s_delay_alu instid0(VALU_DEP_2) | instskip(NEXT) | instid1(VALU_DEP_2)
	v_sub_f32_e32 v92, v92, v107
	v_fmac_f32_e32 v108, 0x32a5705f, v91
	v_cvt_i32_f32_e32 v107, v107
	s_delay_alu instid0(VALU_DEP_2) | instskip(NEXT) | instid1(VALU_DEP_1)
	v_add_f32_e32 v92, v92, v108
	v_exp_f32_e32 v92, v92
	s_delay_alu instid0(TRANS32_DEP_1) | instskip(SKIP_1) | instid1(VALU_DEP_1)
	v_ldexp_f32 v92, v92, v107
	s_wait_alu 0xfffd
	v_cndmask_b32_e32 v92, 0, v92, vcc_lo
	v_cmp_nlt_f32_e32 vcc_lo, 0x42b17218, v91
	s_wait_alu 0xfffd
	s_delay_alu instid0(VALU_DEP_2) | instskip(NEXT) | instid1(VALU_DEP_1)
	v_cndmask_b32_e32 v91, 0x7f800000, v92, vcc_lo
	v_add_f32_e32 v91, 1.0, v91
	s_delay_alu instid0(VALU_DEP_1) | instskip(NEXT) | instid1(TRANS32_DEP_1)
	v_rcp_f32_e32 v91, v91
	v_fma_f32 v107, v91, -2.0, 1.0
.LBB87_69:                              ;   in Loop: Header=BB87_8 Depth=1
	s_wait_alu 0xfffe
	s_and_not1_saveexec_b32 s31, s31
	s_cbranch_execz .LBB87_72
; %bb.70:                               ;   in Loop: Header=BB87_8 Depth=1
	v_mul_f32_e32 v91, v87, v87
	s_delay_alu instid0(VALU_DEP_1) | instskip(NEXT) | instid1(VALU_DEP_1)
	v_fmaak_f32 v92, s9, v91, 0x3ca908c9
	v_fmaak_f32 v92, v91, v92, 0xbd5c1c4e
	s_delay_alu instid0(VALU_DEP_1) | instskip(NEXT) | instid1(VALU_DEP_1)
	v_fmaak_f32 v92, v91, v92, 0x3e088382
	v_fmaak_f32 v92, v91, v92, 0xbeaaaa99
	s_delay_alu instid0(VALU_DEP_1) | instskip(NEXT) | instid1(VALU_DEP_1)
	v_mul_f32_e64 v92, |v87|, v92
	v_fma_f32 v107, v91, v92, |v87|
	s_wait_alu 0xfffe
	s_or_b32 exec_lo, exec_lo, s31
	s_delay_alu instid0(SALU_CYCLE_1)
	s_and_not1_b32 vcc_lo, exec_lo, s8
	s_wait_alu 0xfffe
	s_cbranch_vccz .LBB87_73
.LBB87_71:                              ;   in Loop: Header=BB87_8 Depth=1
	v_mov_b32_e32 v91, 0
	v_cmp_ngt_f32_e64 s31, 0x3f200000, |v88|
                                        ; implicit-def: $vgpr108
	s_and_saveexec_b32 s37, s31
	s_delay_alu instid0(SALU_CYCLE_1)
	s_xor_b32 s31, exec_lo, s37
	s_cbranch_execz .LBB87_75
	s_branch .LBB87_74
.LBB87_72:                              ;   in Loop: Header=BB87_8 Depth=1
	s_wait_alu 0xfffe
	s_or_b32 exec_lo, exec_lo, s31
	s_delay_alu instid0(SALU_CYCLE_1)
	s_and_not1_b32 vcc_lo, exec_lo, s8
	s_wait_alu 0xfffe
	s_cbranch_vccnz .LBB87_71
.LBB87_73:                              ;   in Loop: Header=BB87_8 Depth=1
	v_lshlrev_b64_e32 v[91:92], 1, v[0:1]
	s_delay_alu instid0(VALU_DEP_1) | instskip(SKIP_1) | instid1(VALU_DEP_2)
	v_add_co_u32 v91, vcc_lo, s38, v91
	s_wait_alu 0xfffd
	v_add_co_ci_u32_e64 v92, null, s39, v92, vcc_lo
	global_load_u16 v91, v[91:92], off offset:128
	s_wait_loadcnt 0x0
	v_cvt_f32_f16_e32 v91, v91
	s_delay_alu instid0(VALU_DEP_1) | instskip(SKIP_2) | instid1(SALU_CYCLE_1)
	v_mul_f32_e32 v91, v48, v91
	v_cmp_ngt_f32_e64 s31, 0x3f200000, |v88|
                                        ; implicit-def: $vgpr108
	s_and_saveexec_b32 s37, s31
	s_xor_b32 s31, exec_lo, s37
	s_cbranch_execz .LBB87_75
.LBB87_74:                              ;   in Loop: Header=BB87_8 Depth=1
	v_add_f32_e64 v92, |v88|, |v88|
	s_delay_alu instid0(VALU_DEP_1) | instskip(SKIP_1) | instid1(VALU_DEP_2)
	v_mul_f32_e32 v108, 0x3fb8aa3b, v92
	v_cmp_ngt_f32_e32 vcc_lo, 0xc2ce8ed0, v92
	v_rndne_f32_e32 v109, v108
	v_fma_f32 v110, 0x3fb8aa3b, v92, -v108
	s_delay_alu instid0(VALU_DEP_2) | instskip(NEXT) | instid1(VALU_DEP_2)
	v_sub_f32_e32 v108, v108, v109
	v_fmac_f32_e32 v110, 0x32a5705f, v92
	v_cvt_i32_f32_e32 v109, v109
	s_delay_alu instid0(VALU_DEP_2) | instskip(NEXT) | instid1(VALU_DEP_1)
	v_add_f32_e32 v108, v108, v110
	v_exp_f32_e32 v108, v108
	s_delay_alu instid0(TRANS32_DEP_1) | instskip(SKIP_1) | instid1(VALU_DEP_1)
	v_ldexp_f32 v108, v108, v109
	s_wait_alu 0xfffd
	v_cndmask_b32_e32 v108, 0, v108, vcc_lo
	v_cmp_nlt_f32_e32 vcc_lo, 0x42b17218, v92
	s_wait_alu 0xfffd
	s_delay_alu instid0(VALU_DEP_2) | instskip(NEXT) | instid1(VALU_DEP_1)
	v_cndmask_b32_e32 v92, 0x7f800000, v108, vcc_lo
	v_add_f32_e32 v92, 1.0, v92
	s_delay_alu instid0(VALU_DEP_1) | instskip(NEXT) | instid1(TRANS32_DEP_1)
	v_rcp_f32_e32 v92, v92
	v_fma_f32 v108, v92, -2.0, 1.0
.LBB87_75:                              ;   in Loop: Header=BB87_8 Depth=1
	s_wait_alu 0xfffe
	s_and_not1_saveexec_b32 s31, s31
	s_cbranch_execz .LBB87_78
; %bb.76:                               ;   in Loop: Header=BB87_8 Depth=1
	v_mul_f32_e32 v92, v88, v88
	s_delay_alu instid0(VALU_DEP_1) | instskip(NEXT) | instid1(VALU_DEP_1)
	v_fmaak_f32 v108, s9, v92, 0x3ca908c9
	v_fmaak_f32 v108, v92, v108, 0xbd5c1c4e
	s_delay_alu instid0(VALU_DEP_1) | instskip(NEXT) | instid1(VALU_DEP_1)
	v_fmaak_f32 v108, v92, v108, 0x3e088382
	v_fmaak_f32 v108, v92, v108, 0xbeaaaa99
	s_delay_alu instid0(VALU_DEP_1) | instskip(NEXT) | instid1(VALU_DEP_1)
	v_mul_f32_e64 v108, |v88|, v108
	v_fma_f32 v108, v92, v108, |v88|
	s_wait_alu 0xfffe
	s_or_b32 exec_lo, exec_lo, s31
	s_delay_alu instid0(SALU_CYCLE_1)
	s_and_not1_b32 vcc_lo, exec_lo, s8
	s_wait_alu 0xfffe
	s_cbranch_vccz .LBB87_79
.LBB87_77:                              ;   in Loop: Header=BB87_8 Depth=1
	v_mov_b32_e32 v92, 0
	s_branch .LBB87_80
.LBB87_78:                              ;   in Loop: Header=BB87_8 Depth=1
	s_wait_alu 0xfffe
	s_or_b32 exec_lo, exec_lo, s31
	s_delay_alu instid0(SALU_CYCLE_1)
	s_and_not1_b32 vcc_lo, exec_lo, s8
	s_wait_alu 0xfffe
	s_cbranch_vccnz .LBB87_77
.LBB87_79:                              ;   in Loop: Header=BB87_8 Depth=1
	v_lshlrev_b64_e32 v[0:1], 1, v[0:1]
	s_delay_alu instid0(VALU_DEP_1) | instskip(SKIP_1) | instid1(VALU_DEP_2)
	v_add_co_u32 v0, vcc_lo, s38, v0
	s_wait_alu 0xfffd
	v_add_co_ci_u32_e64 v1, null, s39, v1, vcc_lo
	global_load_u16 v0, v[0:1], off offset:192
	s_wait_loadcnt 0x0
	v_cvt_f32_f16_e32 v0, v0
	s_delay_alu instid0(VALU_DEP_1)
	v_mul_f32_e32 v92, v48, v0
.LBB87_80:                              ;   in Loop: Header=BB87_8 Depth=1
	v_bfi_b32 v0, 0x7fffffff, v105, v85
	v_bfi_b32 v1, 0x7fffffff, v106, v86
	v_bfi_b32 v85, 0x7fffffff, v107, v87
	v_cmp_ngt_f32_e64 s31, 0x3f200000, |v81|
                                        ; implicit-def: $vgpr107
	s_delay_alu instid0(VALU_DEP_3) | instskip(SKIP_1) | instid1(VALU_DEP_4)
	v_dual_fmac_f32 v89, s11, v0 :: v_dual_fmac_f32 v90, s11, v1
	v_bfi_b32 v0, 0x7fffffff, v108, v88
	v_fmac_f32_e32 v91, s11, v85
	s_delay_alu instid0(VALU_DEP_3) | instskip(NEXT) | instid1(VALU_DEP_3)
	v_add_f32_e32 v1, 0x40051340, v89
	v_dual_add_f32 v85, 0x40051340, v90 :: v_dual_fmac_f32 v92, s11, v0
	s_delay_alu instid0(VALU_DEP_3) | instskip(NEXT) | instid1(VALU_DEP_2)
	v_add_f32_e32 v0, 0x40051340, v91
	v_max3_num_f32 v1, v76, v1, v85
	s_delay_alu instid0(VALU_DEP_3) | instskip(NEXT) | instid1(VALU_DEP_1)
	v_add_f32_e32 v85, 0x40051340, v92
	v_max3_num_f32 v0, v1, v0, v85
	ds_bpermute_b32 v1, v2, v0
	s_wait_dscnt 0x0
	v_max_num_f32_e32 v1, v1, v1
	s_delay_alu instid0(VALU_DEP_1) | instskip(SKIP_3) | instid1(VALU_DEP_1)
	v_max_num_f32_e32 v0, v0, v1
	ds_bpermute_b32 v1, v95, v0
	s_wait_dscnt 0x0
	v_max_num_f32_e32 v1, v1, v1
	v_max_num_f32_e32 v0, v0, v1
	ds_bpermute_b32 v1, v94, v0
	s_wait_dscnt 0x0
	v_max_num_f32_e32 v1, v1, v1
	s_delay_alu instid0(VALU_DEP_1) | instskip(SKIP_3) | instid1(VALU_DEP_1)
	v_max_num_f32_e32 v0, v0, v1
	ds_bpermute_b32 v1, v93, v0
	s_wait_dscnt 0x0
	v_max_num_f32_e32 v1, v1, v1
	v_max_num_f32_e32 v105, v0, v1
	ds_bpermute_b32 v106, v22, v105
	s_and_saveexec_b32 s37, s31
	s_delay_alu instid0(SALU_CYCLE_1)
	s_xor_b32 s31, exec_lo, s37
	s_cbranch_execz .LBB87_82
; %bb.81:                               ;   in Loop: Header=BB87_8 Depth=1
	v_add_f32_e64 v0, |v81|, |v81|
	s_delay_alu instid0(VALU_DEP_1) | instskip(SKIP_1) | instid1(VALU_DEP_2)
	v_mul_f32_e32 v1, 0x3fb8aa3b, v0
	v_cmp_ngt_f32_e32 vcc_lo, 0xc2ce8ed0, v0
	v_rndne_f32_e32 v85, v1
	v_fma_f32 v86, 0x3fb8aa3b, v0, -v1
	s_delay_alu instid0(VALU_DEP_1) | instskip(SKIP_1) | instid1(VALU_DEP_2)
	v_dual_sub_f32 v1, v1, v85 :: v_dual_fmac_f32 v86, 0x32a5705f, v0
	v_cvt_i32_f32_e32 v85, v85
	v_add_f32_e32 v1, v1, v86
	s_delay_alu instid0(VALU_DEP_1) | instskip(NEXT) | instid1(TRANS32_DEP_1)
	v_exp_f32_e32 v1, v1
	v_ldexp_f32 v1, v1, v85
	s_wait_alu 0xfffd
	s_delay_alu instid0(VALU_DEP_1) | instskip(SKIP_2) | instid1(VALU_DEP_2)
	v_cndmask_b32_e32 v1, 0, v1, vcc_lo
	v_cmp_nlt_f32_e32 vcc_lo, 0x42b17218, v0
	s_wait_alu 0xfffd
	v_cndmask_b32_e32 v0, 0x7f800000, v1, vcc_lo
	s_delay_alu instid0(VALU_DEP_1) | instskip(NEXT) | instid1(VALU_DEP_1)
	v_add_f32_e32 v0, 1.0, v0
	v_rcp_f32_e32 v0, v0
	s_delay_alu instid0(TRANS32_DEP_1)
	v_fma_f32 v107, v0, -2.0, 1.0
.LBB87_82:                              ;   in Loop: Header=BB87_8 Depth=1
	s_wait_alu 0xfffe
	s_and_not1_saveexec_b32 s31, s31
	s_cbranch_execz .LBB87_84
; %bb.83:                               ;   in Loop: Header=BB87_8 Depth=1
	v_mul_f32_e32 v0, v81, v81
	s_delay_alu instid0(VALU_DEP_1) | instskip(NEXT) | instid1(VALU_DEP_1)
	v_fmaak_f32 v1, s9, v0, 0x3ca908c9
	v_fmaak_f32 v1, v0, v1, 0xbd5c1c4e
	s_delay_alu instid0(VALU_DEP_1) | instskip(NEXT) | instid1(VALU_DEP_1)
	v_fmaak_f32 v1, v0, v1, 0x3e088382
	v_fmaak_f32 v1, v0, v1, 0xbeaaaa99
	s_delay_alu instid0(VALU_DEP_1) | instskip(NEXT) | instid1(VALU_DEP_1)
	v_mul_f32_e64 v1, |v81|, v1
	v_fma_f32 v107, v0, v1, |v81|
.LBB87_84:                              ;   in Loop: Header=BB87_8 Depth=1
	s_wait_alu 0xfffe
	s_or_b32 exec_lo, exec_lo, s31
	v_add_nc_u32_e32 v0, v100, v66
	s_and_not1_b32 vcc_lo, exec_lo, s8
	s_delay_alu instid0(VALU_DEP_1)
	v_ashrrev_i32_e32 v1, 31, v0
	s_wait_alu 0xfffe
	s_cbranch_vccnz .LBB87_109
; %bb.85:                               ;   in Loop: Header=BB87_8 Depth=1
	s_delay_alu instid0(VALU_DEP_1) | instskip(NEXT) | instid1(VALU_DEP_1)
	v_lshlrev_b64_e32 v[85:86], 1, v[0:1]
	v_add_co_u32 v85, vcc_lo, s38, v85
	s_wait_alu 0xfffd
	s_delay_alu instid0(VALU_DEP_2) | instskip(SKIP_3) | instid1(VALU_DEP_1)
	v_add_co_ci_u32_e64 v86, null, s39, v86, vcc_lo
	global_load_u16 v85, v[85:86], off
	s_wait_loadcnt 0x0
	v_cvt_f32_f16_e32 v85, v85
	v_mul_f32_e32 v85, v48, v85
	v_cmp_ngt_f32_e64 s31, 0x3f200000, |v82|
                                        ; implicit-def: $vgpr100
	s_and_saveexec_b32 s37, s31
	s_delay_alu instid0(SALU_CYCLE_1)
	s_xor_b32 s31, exec_lo, s37
	s_cbranch_execz .LBB87_87
.LBB87_86:                              ;   in Loop: Header=BB87_8 Depth=1
	v_add_f32_e64 v86, |v82|, |v82|
	s_delay_alu instid0(VALU_DEP_1) | instskip(SKIP_1) | instid1(VALU_DEP_2)
	v_mul_f32_e32 v87, 0x3fb8aa3b, v86
	v_cmp_ngt_f32_e32 vcc_lo, 0xc2ce8ed0, v86
	v_rndne_f32_e32 v88, v87
	v_fma_f32 v100, 0x3fb8aa3b, v86, -v87
	s_delay_alu instid0(VALU_DEP_1) | instskip(SKIP_1) | instid1(VALU_DEP_2)
	v_dual_sub_f32 v87, v87, v88 :: v_dual_fmac_f32 v100, 0x32a5705f, v86
	v_cvt_i32_f32_e32 v88, v88
	v_add_f32_e32 v87, v87, v100
	s_delay_alu instid0(VALU_DEP_1) | instskip(NEXT) | instid1(TRANS32_DEP_1)
	v_exp_f32_e32 v87, v87
	v_ldexp_f32 v87, v87, v88
	s_wait_alu 0xfffd
	s_delay_alu instid0(VALU_DEP_1) | instskip(SKIP_2) | instid1(VALU_DEP_2)
	v_cndmask_b32_e32 v87, 0, v87, vcc_lo
	v_cmp_nlt_f32_e32 vcc_lo, 0x42b17218, v86
	s_wait_alu 0xfffd
	v_cndmask_b32_e32 v86, 0x7f800000, v87, vcc_lo
	s_delay_alu instid0(VALU_DEP_1) | instskip(NEXT) | instid1(VALU_DEP_1)
	v_add_f32_e32 v86, 1.0, v86
	v_rcp_f32_e32 v86, v86
	s_delay_alu instid0(TRANS32_DEP_1)
	v_fma_f32 v100, v86, -2.0, 1.0
.LBB87_87:                              ;   in Loop: Header=BB87_8 Depth=1
	s_wait_alu 0xfffe
	s_and_not1_saveexec_b32 s31, s31
	s_cbranch_execz .LBB87_90
; %bb.88:                               ;   in Loop: Header=BB87_8 Depth=1
	v_mul_f32_e32 v86, v82, v82
	s_delay_alu instid0(VALU_DEP_1) | instskip(NEXT) | instid1(VALU_DEP_1)
	v_fmaak_f32 v87, s9, v86, 0x3ca908c9
	v_fmaak_f32 v87, v86, v87, 0xbd5c1c4e
	s_delay_alu instid0(VALU_DEP_1) | instskip(NEXT) | instid1(VALU_DEP_1)
	v_fmaak_f32 v87, v86, v87, 0x3e088382
	v_fmaak_f32 v87, v86, v87, 0xbeaaaa99
	s_delay_alu instid0(VALU_DEP_1) | instskip(NEXT) | instid1(VALU_DEP_1)
	v_mul_f32_e64 v87, |v82|, v87
	v_fma_f32 v100, v86, v87, |v82|
	s_wait_alu 0xfffe
	s_or_b32 exec_lo, exec_lo, s31
	s_delay_alu instid0(SALU_CYCLE_1)
	s_and_not1_b32 vcc_lo, exec_lo, s8
	s_wait_alu 0xfffe
	s_cbranch_vccz .LBB87_91
.LBB87_89:                              ;   in Loop: Header=BB87_8 Depth=1
	v_mov_b32_e32 v86, 0
	v_cmp_ngt_f32_e64 s31, 0x3f200000, |v83|
                                        ; implicit-def: $vgpr108
	s_and_saveexec_b32 s37, s31
	s_delay_alu instid0(SALU_CYCLE_1)
	s_xor_b32 s31, exec_lo, s37
	s_cbranch_execz .LBB87_93
	s_branch .LBB87_92
.LBB87_90:                              ;   in Loop: Header=BB87_8 Depth=1
	s_wait_alu 0xfffe
	s_or_b32 exec_lo, exec_lo, s31
	s_delay_alu instid0(SALU_CYCLE_1)
	s_and_not1_b32 vcc_lo, exec_lo, s8
	s_wait_alu 0xfffe
	s_cbranch_vccnz .LBB87_89
.LBB87_91:                              ;   in Loop: Header=BB87_8 Depth=1
	v_lshlrev_b64_e32 v[86:87], 1, v[0:1]
	s_delay_alu instid0(VALU_DEP_1) | instskip(SKIP_1) | instid1(VALU_DEP_2)
	v_add_co_u32 v86, vcc_lo, s38, v86
	s_wait_alu 0xfffd
	v_add_co_ci_u32_e64 v87, null, s39, v87, vcc_lo
	global_load_u16 v86, v[86:87], off offset:64
	s_wait_loadcnt 0x0
	v_cvt_f32_f16_e32 v86, v86
	s_delay_alu instid0(VALU_DEP_1) | instskip(SKIP_2) | instid1(SALU_CYCLE_1)
	v_mul_f32_e32 v86, v48, v86
	v_cmp_ngt_f32_e64 s31, 0x3f200000, |v83|
                                        ; implicit-def: $vgpr108
	s_and_saveexec_b32 s37, s31
	s_xor_b32 s31, exec_lo, s37
	s_cbranch_execz .LBB87_93
.LBB87_92:                              ;   in Loop: Header=BB87_8 Depth=1
	v_add_f32_e64 v87, |v83|, |v83|
	s_delay_alu instid0(VALU_DEP_1) | instskip(SKIP_1) | instid1(VALU_DEP_2)
	v_mul_f32_e32 v88, 0x3fb8aa3b, v87
	v_cmp_ngt_f32_e32 vcc_lo, 0xc2ce8ed0, v87
	v_rndne_f32_e32 v108, v88
	v_fma_f32 v109, 0x3fb8aa3b, v87, -v88
	s_delay_alu instid0(VALU_DEP_1) | instskip(SKIP_1) | instid1(VALU_DEP_2)
	v_dual_sub_f32 v88, v88, v108 :: v_dual_fmac_f32 v109, 0x32a5705f, v87
	v_cvt_i32_f32_e32 v108, v108
	v_add_f32_e32 v88, v88, v109
	s_delay_alu instid0(VALU_DEP_1) | instskip(NEXT) | instid1(TRANS32_DEP_1)
	v_exp_f32_e32 v88, v88
	v_ldexp_f32 v88, v88, v108
	s_wait_alu 0xfffd
	s_delay_alu instid0(VALU_DEP_1) | instskip(SKIP_2) | instid1(VALU_DEP_2)
	v_cndmask_b32_e32 v88, 0, v88, vcc_lo
	v_cmp_nlt_f32_e32 vcc_lo, 0x42b17218, v87
	s_wait_alu 0xfffd
	v_cndmask_b32_e32 v87, 0x7f800000, v88, vcc_lo
	s_delay_alu instid0(VALU_DEP_1) | instskip(NEXT) | instid1(VALU_DEP_1)
	v_add_f32_e32 v87, 1.0, v87
	v_rcp_f32_e32 v87, v87
	s_delay_alu instid0(TRANS32_DEP_1)
	v_fma_f32 v108, v87, -2.0, 1.0
.LBB87_93:                              ;   in Loop: Header=BB87_8 Depth=1
	s_wait_alu 0xfffe
	s_and_not1_saveexec_b32 s31, s31
	s_cbranch_execz .LBB87_96
; %bb.94:                               ;   in Loop: Header=BB87_8 Depth=1
	v_mul_f32_e32 v87, v83, v83
	s_delay_alu instid0(VALU_DEP_1) | instskip(NEXT) | instid1(VALU_DEP_1)
	v_fmaak_f32 v88, s9, v87, 0x3ca908c9
	v_fmaak_f32 v88, v87, v88, 0xbd5c1c4e
	s_delay_alu instid0(VALU_DEP_1) | instskip(NEXT) | instid1(VALU_DEP_1)
	v_fmaak_f32 v88, v87, v88, 0x3e088382
	v_fmaak_f32 v88, v87, v88, 0xbeaaaa99
	s_delay_alu instid0(VALU_DEP_1) | instskip(NEXT) | instid1(VALU_DEP_1)
	v_mul_f32_e64 v88, |v83|, v88
	v_fma_f32 v108, v87, v88, |v83|
	s_wait_alu 0xfffe
	s_or_b32 exec_lo, exec_lo, s31
	s_delay_alu instid0(SALU_CYCLE_1)
	s_and_not1_b32 vcc_lo, exec_lo, s8
	s_wait_alu 0xfffe
	s_cbranch_vccz .LBB87_97
.LBB87_95:                              ;   in Loop: Header=BB87_8 Depth=1
	v_mov_b32_e32 v87, 0
	v_cmp_ngt_f32_e64 s31, 0x3f200000, |v84|
                                        ; implicit-def: $vgpr109
	s_and_saveexec_b32 s37, s31
	s_delay_alu instid0(SALU_CYCLE_1)
	s_xor_b32 s31, exec_lo, s37
	s_cbranch_execz .LBB87_99
	s_branch .LBB87_98
.LBB87_96:                              ;   in Loop: Header=BB87_8 Depth=1
	s_wait_alu 0xfffe
	s_or_b32 exec_lo, exec_lo, s31
	s_delay_alu instid0(SALU_CYCLE_1)
	s_and_not1_b32 vcc_lo, exec_lo, s8
	s_wait_alu 0xfffe
	s_cbranch_vccnz .LBB87_95
.LBB87_97:                              ;   in Loop: Header=BB87_8 Depth=1
	v_lshlrev_b64_e32 v[87:88], 1, v[0:1]
	s_delay_alu instid0(VALU_DEP_1) | instskip(SKIP_1) | instid1(VALU_DEP_2)
	v_add_co_u32 v87, vcc_lo, s38, v87
	s_wait_alu 0xfffd
	v_add_co_ci_u32_e64 v88, null, s39, v88, vcc_lo
	global_load_u16 v87, v[87:88], off offset:128
	s_wait_loadcnt 0x0
	v_cvt_f32_f16_e32 v87, v87
	s_delay_alu instid0(VALU_DEP_1) | instskip(SKIP_2) | instid1(SALU_CYCLE_1)
	v_mul_f32_e32 v87, v48, v87
	v_cmp_ngt_f32_e64 s31, 0x3f200000, |v84|
                                        ; implicit-def: $vgpr109
	s_and_saveexec_b32 s37, s31
	s_xor_b32 s31, exec_lo, s37
	s_cbranch_execz .LBB87_99
.LBB87_98:                              ;   in Loop: Header=BB87_8 Depth=1
	v_add_f32_e64 v88, |v84|, |v84|
	s_delay_alu instid0(VALU_DEP_1) | instskip(SKIP_1) | instid1(VALU_DEP_2)
	v_mul_f32_e32 v109, 0x3fb8aa3b, v88
	v_cmp_ngt_f32_e32 vcc_lo, 0xc2ce8ed0, v88
	v_rndne_f32_e32 v110, v109
	v_fma_f32 v111, 0x3fb8aa3b, v88, -v109
	s_delay_alu instid0(VALU_DEP_2) | instskip(NEXT) | instid1(VALU_DEP_2)
	v_sub_f32_e32 v109, v109, v110
	v_fmac_f32_e32 v111, 0x32a5705f, v88
	v_cvt_i32_f32_e32 v110, v110
	s_delay_alu instid0(VALU_DEP_2) | instskip(NEXT) | instid1(VALU_DEP_1)
	v_add_f32_e32 v109, v109, v111
	v_exp_f32_e32 v109, v109
	s_delay_alu instid0(TRANS32_DEP_1) | instskip(SKIP_1) | instid1(VALU_DEP_1)
	v_ldexp_f32 v109, v109, v110
	s_wait_alu 0xfffd
	v_cndmask_b32_e32 v109, 0, v109, vcc_lo
	v_cmp_nlt_f32_e32 vcc_lo, 0x42b17218, v88
	s_wait_alu 0xfffd
	s_delay_alu instid0(VALU_DEP_2) | instskip(NEXT) | instid1(VALU_DEP_1)
	v_cndmask_b32_e32 v88, 0x7f800000, v109, vcc_lo
	v_add_f32_e32 v88, 1.0, v88
	s_delay_alu instid0(VALU_DEP_1) | instskip(NEXT) | instid1(TRANS32_DEP_1)
	v_rcp_f32_e32 v88, v88
	v_fma_f32 v109, v88, -2.0, 1.0
.LBB87_99:                              ;   in Loop: Header=BB87_8 Depth=1
	s_wait_alu 0xfffe
	s_and_not1_saveexec_b32 s31, s31
	s_cbranch_execz .LBB87_102
; %bb.100:                              ;   in Loop: Header=BB87_8 Depth=1
	v_mul_f32_e32 v88, v84, v84
	s_delay_alu instid0(VALU_DEP_1) | instskip(NEXT) | instid1(VALU_DEP_1)
	v_fmaak_f32 v109, s9, v88, 0x3ca908c9
	v_fmaak_f32 v109, v88, v109, 0xbd5c1c4e
	s_delay_alu instid0(VALU_DEP_1) | instskip(NEXT) | instid1(VALU_DEP_1)
	v_fmaak_f32 v109, v88, v109, 0x3e088382
	v_fmaak_f32 v109, v88, v109, 0xbeaaaa99
	s_delay_alu instid0(VALU_DEP_1) | instskip(NEXT) | instid1(VALU_DEP_1)
	v_mul_f32_e64 v109, |v84|, v109
	v_fma_f32 v109, v88, v109, |v84|
	s_wait_alu 0xfffe
	s_or_b32 exec_lo, exec_lo, s31
	s_delay_alu instid0(SALU_CYCLE_1)
	s_and_not1_b32 vcc_lo, exec_lo, s8
	s_wait_alu 0xfffe
	s_cbranch_vccz .LBB87_103
.LBB87_101:                             ;   in Loop: Header=BB87_8 Depth=1
	v_mov_b32_e32 v88, 0
	s_branch .LBB87_104
.LBB87_102:                             ;   in Loop: Header=BB87_8 Depth=1
	s_wait_alu 0xfffe
	s_or_b32 exec_lo, exec_lo, s31
	s_delay_alu instid0(SALU_CYCLE_1)
	s_and_not1_b32 vcc_lo, exec_lo, s8
	s_wait_alu 0xfffe
	s_cbranch_vccnz .LBB87_101
.LBB87_103:                             ;   in Loop: Header=BB87_8 Depth=1
	v_lshlrev_b64_e32 v[0:1], 1, v[0:1]
	s_delay_alu instid0(VALU_DEP_1) | instskip(SKIP_1) | instid1(VALU_DEP_2)
	v_add_co_u32 v0, vcc_lo, s38, v0
	s_wait_alu 0xfffd
	v_add_co_ci_u32_e64 v1, null, s39, v1, vcc_lo
	global_load_u16 v0, v[0:1], off offset:192
	s_wait_loadcnt 0x0
	v_cvt_f32_f16_e32 v0, v0
	s_delay_alu instid0(VALU_DEP_1)
	v_mul_f32_e32 v88, v48, v0
.LBB87_104:                             ;   in Loop: Header=BB87_8 Depth=1
	v_bfi_b32 v0, 0x7fffffff, v107, v81
	v_bfi_b32 v1, 0x7fffffff, v100, v82
	;; [unrolled: 1-line block ×4, first 2 shown]
	s_mul_u64 s[40:41], s[24:25], s[14:15]
	s_delay_alu instid0(VALU_DEP_3) | instskip(NEXT) | instid1(VALU_DEP_2)
	v_dual_fmac_f32 v85, s11, v0 :: v_dual_fmac_f32 v86, s11, v1
	v_dual_fmac_f32 v87, s11, v81 :: v_dual_fmac_f32 v88, s11, v82
	s_wait_dscnt 0x0
	s_delay_alu instid0(VALU_DEP_2) | instskip(NEXT) | instid1(VALU_DEP_2)
	v_dual_max_num_f32 v81, v106, v106 :: v_dual_add_f32 v0, 0x40051340, v85
	v_dual_add_f32 v1, 0x40051340, v86 :: v_dual_add_f32 v82, 0x40051340, v87
	s_delay_alu instid0(VALU_DEP_3) | instskip(SKIP_1) | instid1(VALU_DEP_3)
	v_dual_add_f32 v83, 0x40051340, v88 :: v_dual_max_num_f32 v100, v103, v103
	v_max_num_f32_e32 v84, v104, v104
	v_max3_num_f32 v0, v75, v0, v1
	v_dual_max_num_f32 v1, v105, v105 :: v_dual_max_num_f32 v102, v102, v102
	s_wait_alu 0xfffe
	s_lshl_b64 s[40:41], s[40:41], 2
	s_wait_loadcnt 0x0
	v_max3_num_f32 v82, v0, v82, v83
	s_wait_alu 0xfffe
	s_add_nc_u64 s[40:41], s[26:27], s[40:41]
	s_barrier_signal -1
	s_barrier_wait -1
	global_inv scope:SCOPE_SE
	ds_bpermute_b32 v83, v2, v82
	v_max_num_f32_e32 v0, v101, v101
	v_dual_max_num_f32 v2, v1, v81 :: v_dual_max_num_f32 v1, v100, v84
	s_wait_alu 0xfffe
	v_add_co_u32 v81, vcc_lo, s40, v12
	s_wait_alu 0xfffd
	v_add_co_ci_u32_e64 v84, null, s41, v13, vcc_lo
	v_add_co_u32 v100, vcc_lo, s40, v14
	s_wait_alu 0xfffd
	v_add_co_ci_u32_e64 v101, null, s41, v15, vcc_lo
	v_sub_f32_e32 v78, v78, v1
	v_sub_f32_e32 v115, v96, v1
	;; [unrolled: 1-line block ×4, first 2 shown]
	s_wait_dscnt 0x0
	v_dual_max_num_f32 v83, v83, v83 :: v_dual_max_num_f32 v0, v0, v102
	v_add_co_u32 v102, vcc_lo, s40, v16
	s_wait_alu 0xfffd
	v_add_co_ci_u32_e64 v103, null, s41, v17, vcc_lo
	s_delay_alu instid0(VALU_DEP_3) | instskip(SKIP_3) | instid1(VALU_DEP_3)
	v_sub_f32_e32 v112, v80, v0
	v_add_co_u32 v106, vcc_lo, s40, v18
	s_wait_alu 0xfffd
	v_add_co_ci_u32_e64 v107, null, s41, v19, vcc_lo
	v_dual_mul_f32 v119, 0x3fb8aa3b, v112 :: v_dual_max_num_f32 v80, v82, v83
	v_sub_f32_e32 v113, v20, v0
	v_sub_f32_e32 v23, v23, v0
	v_add_co_u32 v20, vcc_lo, v81, v71
	ds_bpermute_b32 v82, v95, v80
	v_sub_f32_e32 v114, v21, v0
	s_wait_alu 0xfffd
	v_add_co_ci_u32_e64 v21, null, 0, v84, vcc_lo
	v_add_co_u32 v95, vcc_lo, v100, v71
	s_wait_alu 0xfffd
	v_add_co_ci_u32_e64 v96, null, 0, v101, vcc_lo
	v_add_co_u32 v104, vcc_lo, v102, v71
	;; [unrolled: 3-line block ×3, first 2 shown]
	s_wait_alu 0xfffd
	v_add_co_ci_u32_e64 v109, null, 0, v107, vcc_lo
	v_sub_f32_e32 v3, v3, v0
	v_dual_mul_f32 v117, 0x3fb8aa3b, v114 :: v_dual_mul_f32 v116, 0x3fb8aa3b, v113
	v_rndne_f32_e32 v128, v119
	s_wait_dscnt 0x0
	v_dual_max_num_f32 v81, v82, v82 :: v_dual_mul_f32 v118, 0x3fb8aa3b, v23
	v_mul_f32_e32 v84, 0x3fb8aa3b, v3
	v_rndne_f32_e32 v124, v117
	s_delay_alu instid0(VALU_DEP_3)
	v_dual_mul_f32 v120, 0x3fb8aa3b, v115 :: v_dual_max_num_f32 v121, v80, v81
	s_clause 0x3
	global_load_b128 v[80:83], v[20:21], off
	global_load_b128 v[100:103], v[95:96], off
	;; [unrolled: 1-line block ×4, first 2 shown]
	v_fma_f32 v123, 0x3fb8aa3b, v114, -v117
	v_sub_f32_e32 v117, v117, v124
	v_fma_f32 v129, 0x3fb8aa3b, v115, -v120
	ds_bpermute_b32 v20, v94, v121
	v_fma_f32 v94, 0x3fb8aa3b, v3, -v84
	v_rndne_f32_e32 v95, v84
	v_fma_f32 v127, 0x3fb8aa3b, v112, -v119
	v_fmac_f32_e32 v129, 0x32a5705f, v115
	v_mul_f32_e32 v21, 0x3fb8aa3b, v98
	v_dual_fmac_f32 v94, 0x32a5705f, v3 :: v_dual_fmac_f32 v123, 0x32a5705f, v114
	s_delay_alu instid0(VALU_DEP_4) | instskip(SKIP_3) | instid1(VALU_DEP_4)
	v_dual_sub_f32 v84, v84, v95 :: v_dual_fmac_f32 v127, 0x32a5705f, v112
	v_fma_f32 v96, 0x3fb8aa3b, v113, -v116
	v_rndne_f32_e32 v122, v116
	v_fma_f32 v125, 0x3fb8aa3b, v23, -v118
	v_add_f32_e32 v84, v84, v94
	v_rndne_f32_e32 v126, v118
	v_fmac_f32_e32 v96, 0x32a5705f, v113
	v_dual_sub_f32 v116, v116, v122 :: v_dual_sub_f32 v119, v119, v128
	s_delay_alu instid0(VALU_DEP_4)
	v_exp_f32_e32 v84, v84
	v_rndne_f32_e32 v130, v120
	s_wait_dscnt 0x0
	v_max_num_f32_e32 v20, v20, v20
	v_cvt_i32_f32_e32 v95, v95
	v_dual_fmac_f32 v125, 0x32a5705f, v23 :: v_dual_add_f32 v94, v116, v96
	v_sub_f32_e32 v118, v118, v126
	s_delay_alu instid0(VALU_DEP_4)
	v_max_num_f32_e32 v20, v121, v20
	v_cmp_ngt_f32_e32 vcc_lo, 0xc2ce8ed0, v3
	v_cvt_i32_f32_e32 v121, v126
	v_exp_f32_e32 v94, v94
	v_ldexp_f32 v84, v84, v95
	ds_bpermute_b32 v93, v93, v20
	v_sub_f32_e32 v120, v120, v130
	v_sub_f32_e32 v92, v92, v2
	s_wait_alu 0xfffd
	v_dual_sub_f32 v91, v91, v2 :: v_dual_cndmask_b32 v84, 0, v84
	v_cmp_ngt_f32_e32 vcc_lo, 0xc2ce8ed0, v113
	s_or_b32 s40, s24, 64
	v_sub_f32_e32 v89, v89, v2
	s_wait_alu 0xfffe
	s_ashr_i32 s41, s40, 31
	s_wait_alu 0xfffe
	s_mul_u64 s[40:41], s[40:41], s[14:15]
	s_wait_alu 0xfffe
	s_lshl_b64 s[40:41], s[40:41], 2
	s_wait_alu 0xfffe
	s_add_nc_u64 s[40:41], s[26:27], s[40:41]
	s_wait_dscnt 0x0
	v_max_num_f32_e32 v93, v93, v93
	v_add_f32_e32 v96, v117, v123
	v_dual_add_f32 v117, v119, v127 :: v_dual_add_f32 v116, v118, v125
	v_cvt_i32_f32_e32 v118, v122
	s_delay_alu instid0(VALU_DEP_4) | instskip(NEXT) | instid1(VALU_DEP_4)
	v_max_num_f32_e32 v93, v20, v93
	v_exp_f32_e32 v96, v96
	v_cvt_i32_f32_e32 v119, v124
	v_exp_f32_e32 v116, v116
	v_ldexp_f32 v94, v94, v118
	v_exp_f32_e32 v117, v117
	v_cvt_i32_f32_e32 v122, v128
	ds_bpermute_b32 v22, v22, v93
	s_wait_alu 0xfffd
	v_cndmask_b32_e32 v94, 0, v94, vcc_lo
	v_cmp_ngt_f32_e32 vcc_lo, 0xc2ce8ed0, v114
	v_ldexp_f32 v95, v96, v119
	v_ldexp_f32 v96, v116, v121
	;; [unrolled: 1-line block ×3, first 2 shown]
	s_wait_alu 0xfffd
	s_delay_alu instid0(VALU_DEP_3)
	v_cndmask_b32_e32 v20, 0, v95, vcc_lo
	v_cmp_ngt_f32_e32 vcc_lo, 0xc2ce8ed0, v23
	s_wait_alu 0xfffd
	v_cndmask_b32_e32 v95, 0, v96, vcc_lo
	v_cmp_nlt_f32_e32 vcc_lo, 0x42b17218, v3
	s_wait_dscnt 0x0
	s_wait_alu 0xfffd
	v_dual_max_num_f32 v22, v22, v22 :: v_dual_cndmask_b32 v3, 0x7f800000, v84
	v_cmp_nlt_f32_e32 vcc_lo, 0x42b17218, v113
	v_add_f32_e32 v120, v120, v129
	s_wait_alu 0xfffd
	v_cndmask_b32_e32 v84, 0x7f800000, v94, vcc_lo
	v_cmp_ngt_f32_e32 vcc_lo, 0xc2ce8ed0, v112
	s_wait_alu 0xfffd
	v_cndmask_b32_e32 v94, 0, v116, vcc_lo
	v_cmp_nlt_f32_e32 vcc_lo, 0x42b17218, v114
	v_mul_f32_e32 v114, 0x3fb8aa3b, v99
	v_mul_f32_e32 v116, 0x3fb8aa3b, v78
	s_wait_alu 0xfffd
	v_cndmask_b32_e32 v96, 0x7f800000, v20, vcc_lo
	v_cmp_nlt_f32_e32 vcc_lo, 0x42b17218, v23
	s_delay_alu instid0(VALU_DEP_3)
	v_rndne_f32_e32 v117, v116
	s_wait_alu 0xfffd
	v_cndmask_b32_e32 v23, 0x7f800000, v95, vcc_lo
	v_cmp_nlt_f32_e32 vcc_lo, 0x42b17218, v112
	v_cvt_f16_f32_e32 v112, v3
	s_wait_alu 0xfffd
	v_cndmask_b32_e32 v94, 0x7f800000, v94, vcc_lo
	v_cmp_ngt_f32_e32 vcc_lo, 0xc2ce8ed0, v115
	v_add_f32_e32 v20, v3, v84
	v_cvt_f16_f32_e32 v84, v84
	s_delay_alu instid0(VALU_DEP_4) | instskip(NEXT) | instid1(VALU_DEP_1)
	v_cvt_f16_f32_e32 v3, v94
	v_and_b32_e32 v113, 0xffff, v3
	v_max_num_f32_e32 v3, v93, v22
	v_exp_f32_e32 v95, v120
	v_sub_f32_e32 v93, v97, v1
	v_cvt_i32_f32_e32 v97, v130
	v_fma_f32 v22, 0x3fb8aa3b, v98, -v21
	v_sub_f32_e32 v87, v87, v3
	v_sub_f32_e32 v86, v86, v3
	;; [unrolled: 1-line block ×3, first 2 shown]
	s_delay_alu instid0(VALU_DEP_4) | instskip(NEXT) | instid1(TRANS32_DEP_1)
	v_fmac_f32_e32 v22, 0x32a5705f, v98
	v_ldexp_f32 v95, v95, v97
	s_wait_alu 0xfffd
	s_delay_alu instid0(VALU_DEP_1) | instskip(SKIP_2) | instid1(VALU_DEP_2)
	v_cndmask_b32_e32 v95, 0, v95, vcc_lo
	v_cmp_nlt_f32_e32 vcc_lo, 0x42b17218, v115
	s_wait_alu 0xfffd
	v_dual_add_f32 v20, v96, v20 :: v_dual_cndmask_b32 v95, 0x7f800000, v95
	s_delay_alu instid0(VALU_DEP_1) | instskip(SKIP_2) | instid1(VALU_DEP_3)
	v_add_f32_e32 v20, v23, v20
	v_cmp_ngt_f32_e32 vcc_lo, 0xc2ce8ed0, v98
	v_cvt_f16_f32_e32 v23, v23
	v_fmac_f32_e32 v20, v79, v94
	v_rndne_f32_e32 v79, v21
	v_mul_u32_u24_e32 v94, 0x10001, v113
	v_mul_f32_e32 v113, 0x3fb8aa3b, v93
	s_delay_alu instid0(VALU_DEP_3) | instskip(SKIP_1) | instid1(VALU_DEP_3)
	v_sub_f32_e32 v21, v21, v79
	v_cvt_i32_f32_e32 v79, v79
	v_rndne_f32_e32 v97, v113
	v_pk_mul_f16 v49, v49, v94
	s_delay_alu instid0(VALU_DEP_4) | instskip(SKIP_1) | instid1(VALU_DEP_4)
	v_add_f32_e32 v21, v21, v22
	v_fma_f32 v22, 0x3fb8aa3b, v93, -v113
	v_sub_f32_e32 v113, v113, v97
	v_cvt_i32_f32_e32 v97, v97
	v_cvt_f16_f32_e32 v96, v96
	v_exp_f32_e32 v21, v21
	v_fmac_f32_e32 v22, 0x32a5705f, v93
	s_delay_alu instid0(TRANS32_DEP_1) | instskip(SKIP_1) | instid1(VALU_DEP_1)
	v_ldexp_f32 v21, v21, v79
	s_wait_alu 0xfffd
	v_cndmask_b32_e32 v21, 0, v21, vcc_lo
	v_cmp_nlt_f32_e32 vcc_lo, 0x42b17218, v98
	v_add_f32_e32 v22, v113, v22
	v_cvt_f16_f32_e32 v98, v95
	s_wait_alu 0xfffd
	v_cndmask_b32_e32 v21, 0x7f800000, v21, vcc_lo
	s_delay_alu instid0(VALU_DEP_3) | instskip(SKIP_1) | instid1(VALU_DEP_2)
	v_exp_f32_e32 v22, v22
	v_cmp_ngt_f32_e32 vcc_lo, 0xc2ce8ed0, v93
	v_add_f32_e32 v95, v95, v21
	v_fma_f32 v113, 0x3fb8aa3b, v99, -v114
	v_rndne_f32_e32 v115, v114
	v_cvt_f16_f32_e32 v21, v21
	s_delay_alu instid0(TRANS32_DEP_1) | instskip(NEXT) | instid1(VALU_DEP_4)
	v_ldexp_f32 v22, v22, v97
	v_fmac_f32_e32 v113, 0x32a5705f, v99
	s_delay_alu instid0(VALU_DEP_4)
	v_sub_f32_e32 v79, v114, v115
	v_fma_f32 v114, 0x3fb8aa3b, v78, -v116
	s_wait_alu 0xfffd
	v_cndmask_b32_e32 v22, 0, v22, vcc_lo
	v_cmp_nlt_f32_e32 vcc_lo, 0x42b17218, v93
	v_add_f32_e32 v79, v79, v113
	v_sub_f32_e32 v113, v116, v117
	s_wait_alu 0xfffd
	v_cndmask_b32_e32 v93, 0x7f800000, v22, vcc_lo
	v_fmac_f32_e32 v114, 0x32a5705f, v78
	v_exp_f32_e32 v79, v79
	v_cmp_ngt_f32_e32 vcc_lo, 0xc2ce8ed0, v99
	s_delay_alu instid0(VALU_DEP_3) | instskip(NEXT) | instid1(VALU_DEP_3)
	v_add_f32_e32 v95, v93, v95
	v_add_f32_e32 v97, v113, v114
	v_cvt_i32_f32_e32 v113, v115
	s_delay_alu instid0(VALU_DEP_2)
	v_exp_f32_e32 v97, v97
	s_delay_alu instid0(TRANS32_DEP_2) | instid1(VALU_DEP_1)
	v_ldexp_f32 v22, v79, v113
	v_cvt_i32_f32_e32 v79, v117
	v_mul_f32_e32 v113, 0x3fb8aa3b, v89
	s_delay_alu instid0(VALU_DEP_1)
	v_rndne_f32_e32 v114, v113
	s_delay_alu instid0(TRANS32_DEP_1) | instid1(VALU_DEP_3)
	v_ldexp_f32 v79, v97, v79
	v_fma_f32 v97, 0x3fb8aa3b, v89, -v113
	s_wait_alu 0xfffd
	v_cndmask_b32_e32 v22, 0, v22, vcc_lo
	v_cmp_nlt_f32_e32 vcc_lo, 0x42b17218, v99
	s_delay_alu instid0(VALU_DEP_3) | instskip(SKIP_1) | instid1(VALU_DEP_3)
	v_fmac_f32_e32 v97, 0x32a5705f, v89
	s_wait_alu 0xfffd
	v_cndmask_b32_e32 v99, 0x7f800000, v22, vcc_lo
	v_cmp_ngt_f32_e32 vcc_lo, 0xc2ce8ed0, v78
	s_delay_alu instid0(VALU_DEP_2)
	v_add_f32_e32 v22, v99, v95
	s_wait_alu 0xfffd
	v_cndmask_b32_e32 v79, 0, v79, vcc_lo
	v_cmp_nlt_f32_e32 vcc_lo, 0x42b17218, v78
	v_sub_f32_e32 v113, v113, v114
	v_sub_f32_e32 v90, v90, v2
	v_cvt_f16_f32_e32 v93, v93
	s_wait_alu 0xfffd
	s_delay_alu instid0(VALU_DEP_3) | instskip(NEXT) | instid1(VALU_DEP_3)
	v_dual_cndmask_b32 v78, 0x7f800000, v79 :: v_dual_add_f32 v79, v113, v97
	v_mul_f32_e32 v95, 0x3fb8aa3b, v90
	v_cvt_f16_f32_e32 v97, v99
	v_cvt_i32_f32_e32 v113, v114
	v_mul_f32_e32 v114, 0x3fb8aa3b, v91
	v_cmp_ngt_f32_e32 vcc_lo, 0xc2ce8ed0, v89
	v_rndne_f32_e32 v99, v95
	v_fmac_f32_e32 v22, v77, v78
	v_exp_f32_e32 v77, v79
	v_fma_f32 v79, 0x3fb8aa3b, v90, -v95
	v_cvt_f16_f32_e32 v78, v78
	v_sub_f32_e32 v95, v95, v99
	s_delay_alu instid0(VALU_DEP_3) | instskip(NEXT) | instid1(VALU_DEP_3)
	v_fmac_f32_e32 v79, 0x32a5705f, v90
	v_and_b32_e32 v115, 0xffff, v78
	s_delay_alu instid0(TRANS32_DEP_1) | instskip(NEXT) | instid1(VALU_DEP_3)
	v_ldexp_f32 v77, v77, v113
	v_add_f32_e32 v78, v95, v79
	v_fma_f32 v79, 0x3fb8aa3b, v91, -v114
	v_rndne_f32_e32 v95, v114
	s_wait_alu 0xfffd
	v_dual_sub_f32 v76, v76, v2 :: v_dual_cndmask_b32 v77, 0, v77
	v_exp_f32_e32 v78, v78
	v_cmp_nlt_f32_e32 vcc_lo, 0x42b17218, v89
	v_dual_sub_f32 v113, v114, v95 :: v_dual_mul_f32 v114, 0x3fb8aa3b, v92
	v_fmac_f32_e32 v79, 0x32a5705f, v91
	v_cvt_i32_f32_e32 v89, v99
	s_wait_alu 0xfffd
	v_cndmask_b32_e32 v77, 0x7f800000, v77, vcc_lo
	v_cmp_ngt_f32_e32 vcc_lo, 0xc2ce8ed0, v90
	v_cvt_i32_f32_e32 v95, v95
	v_fma_f32 v99, 0x3fb8aa3b, v92, -v114
	v_ldexp_f32 v78, v78, v89
	v_add_f32_e32 v79, v113, v79
	v_rndne_f32_e32 v113, v114
	v_cvt_f16_f32_e32 v116, v77
	s_wait_alu 0xfffd
	v_cndmask_b32_e32 v78, 0, v78, vcc_lo
	v_exp_f32_e32 v79, v79
	v_cmp_nlt_f32_e32 vcc_lo, 0x42b17218, v90
	v_dual_sub_f32 v89, v114, v113 :: v_dual_mul_f32 v114, 0x3fb8aa3b, v76
	s_wait_alu 0xfffd
	v_cndmask_b32_e32 v78, 0x7f800000, v78, vcc_lo
	v_cmp_ngt_f32_e32 vcc_lo, 0xc2ce8ed0, v91
	s_delay_alu instid0(VALU_DEP_3) | instskip(NEXT) | instid1(TRANS32_DEP_1)
	v_rndne_f32_e32 v117, v114
	v_ldexp_f32 v79, v79, v95
	s_delay_alu instid0(VALU_DEP_2) | instskip(SKIP_1) | instid1(VALU_DEP_2)
	v_dual_add_f32 v95, v77, v78 :: v_dual_sub_f32 v90, v114, v117
	s_wait_alu 0xfffd
	v_cndmask_b32_e32 v77, 0, v79, vcc_lo
	v_cmp_nlt_f32_e32 vcc_lo, 0x42b17218, v91
	v_cvt_i32_f32_e32 v79, v113
	s_wait_alu 0xfffd
	s_delay_alu instid0(VALU_DEP_3) | instskip(SKIP_3) | instid1(VALU_DEP_2)
	v_cndmask_b32_e32 v91, 0x7f800000, v77, vcc_lo
	v_cmp_ngt_f32_e32 vcc_lo, 0xc2ce8ed0, v92
	v_fmac_f32_e32 v99, 0x32a5705f, v92
	v_cvt_f16_f32_e32 v77, v78
	v_add_f32_e32 v89, v89, v99
	v_fma_f32 v99, 0x3fb8aa3b, v76, -v114
	s_delay_alu instid0(VALU_DEP_2) | instskip(NEXT) | instid1(TRANS32_DEP_1)
	v_exp_f32_e32 v89, v89
	v_ldexp_f32 v78, v89, v79
	s_wait_alu 0xfffd
	s_delay_alu instid0(VALU_DEP_1) | instskip(SKIP_2) | instid1(VALU_DEP_2)
	v_cndmask_b32_e32 v78, 0, v78, vcc_lo
	v_cmp_nlt_f32_e32 vcc_lo, 0x42b17218, v92
	s_wait_alu 0xfffd
	v_cndmask_b32_e32 v92, 0x7f800000, v78, vcc_lo
	v_cmp_ngt_f32_e32 vcc_lo, 0xc2ce8ed0, v76
	v_fmac_f32_e32 v99, 0x32a5705f, v76
	s_delay_alu instid0(VALU_DEP_1) | instskip(SKIP_1) | instid1(VALU_DEP_2)
	v_add_f32_e32 v90, v90, v99
	v_cvt_i32_f32_e32 v99, v117
	v_exp_f32_e32 v79, v90
	s_delay_alu instid0(TRANS32_DEP_1) | instskip(SKIP_2) | instid1(VALU_DEP_2)
	v_ldexp_f32 v78, v79, v99
	v_cvt_f16_f32_e32 v99, v92
	s_wait_alu 0xfffd
	v_cndmask_b32_e32 v78, 0, v78, vcc_lo
	v_cmp_nlt_f32_e32 vcc_lo, 0x42b17218, v76
	s_wait_alu 0xfffd
	s_delay_alu instid0(VALU_DEP_2) | instskip(NEXT) | instid1(VALU_DEP_1)
	v_dual_sub_f32 v85, v85, v3 :: v_dual_cndmask_b32 v118, 0x7f800000, v78
	v_cmp_ngt_f32_e32 vcc_lo, 0xc2ce8ed0, v85
	v_mul_f32_e32 v89, 0x3fb8aa3b, v85
	s_delay_alu instid0(VALU_DEP_1) | instskip(SKIP_1) | instid1(VALU_DEP_2)
	v_fma_f32 v113, 0x3fb8aa3b, v85, -v89
	v_rndne_f32_e32 v114, v89
	v_fmac_f32_e32 v113, 0x32a5705f, v85
	s_delay_alu instid0(VALU_DEP_2) | instskip(SKIP_1) | instid1(VALU_DEP_2)
	v_sub_f32_e32 v79, v89, v114
	v_mul_f32_e32 v89, 0x3fb8aa3b, v86
	v_add_f32_e32 v79, v79, v113
	s_delay_alu instid0(VALU_DEP_2) | instskip(SKIP_1) | instid1(VALU_DEP_3)
	v_fma_f32 v113, 0x3fb8aa3b, v86, -v89
	v_rndne_f32_e32 v117, v89
	v_exp_f32_e32 v76, v79
	s_delay_alu instid0(VALU_DEP_1)
	v_dual_fmac_f32 v113, 0x32a5705f, v86 :: v_dual_sub_f32 v78, v89, v117
	v_mul_f32_e32 v79, 0x3fb8aa3b, v87
	v_cvt_i32_f32_e32 v89, v114
	v_sub_f32_e32 v114, v75, v3
	v_cvt_i32_f32_e32 v117, v117
	v_add_f32_e32 v75, v78, v113
	v_fma_f32 v78, 0x3fb8aa3b, v87, -v79
	v_mul_f32_e32 v113, 0x3fb8aa3b, v88
	s_delay_alu instid0(TRANS32_DEP_1)
	v_ldexp_f32 v76, v76, v89
	v_rndne_f32_e32 v89, v79
	v_cvt_f16_f32_e32 v90, v91
	v_fmac_f32_e32 v78, 0x32a5705f, v87
	v_fma_f32 v119, 0x3fb8aa3b, v88, -v113
	v_rndne_f32_e32 v120, v113
	s_wait_alu 0xfffd
	v_dual_sub_f32 v79, v79, v89 :: v_dual_cndmask_b32 v76, 0, v76
	v_cmp_nlt_f32_e32 vcc_lo, 0x42b17218, v85
	v_fmac_f32_e32 v119, 0x32a5705f, v88
	s_delay_alu instid0(VALU_DEP_3) | instskip(SKIP_3) | instid1(VALU_DEP_2)
	v_dual_sub_f32 v113, v113, v120 :: v_dual_add_f32 v78, v79, v78
	v_exp_f32_e32 v75, v75
	s_wait_alu 0xfffd
	v_cndmask_b32_e32 v79, 0x7f800000, v76, vcc_lo
	v_dual_mul_f32 v85, 0x3fb8aa3b, v114 :: v_dual_add_f32 v76, v113, v119
	v_exp_f32_e32 v78, v78
	v_cmp_ngt_f32_e32 vcc_lo, 0xc2ce8ed0, v86
	v_cvt_i32_f32_e32 v89, v89
	s_delay_alu instid0(VALU_DEP_3)
	v_fma_f32 v113, 0x3fb8aa3b, v114, -v85
	v_exp_f32_e32 v76, v76
	v_cvt_i32_f32_e32 v119, v120
	v_ldexp_f32 v75, v75, v117
	v_rndne_f32_e32 v117, v85
	v_fmac_f32_e32 v113, 0x32a5705f, v114
	s_delay_alu instid0(TRANS32_DEP_2)
	v_ldexp_f32 v78, v78, v89
	s_wait_alu 0xfffd
	v_cndmask_b32_e32 v75, 0, v75, vcc_lo
	v_sub_f32_e32 v85, v85, v117
	v_cmp_nlt_f32_e32 vcc_lo, 0x42b17218, v86
	s_wait_alu 0xfffd
	s_delay_alu instid0(VALU_DEP_3)
	v_cndmask_b32_e32 v89, 0x7f800000, v75, vcc_lo
	v_ldexp_f32 v75, v76, v119
	v_add_f32_e32 v76, v85, v113
	v_cmp_ngt_f32_e32 vcc_lo, 0xc2ce8ed0, v87
	v_add_nc_u32_e32 v119, v44, v36
	v_cvt_f16_f32_e32 v85, v89
	s_delay_alu instid0(VALU_DEP_4)
	v_exp_f32_e32 v76, v76
	s_wait_alu 0xfffd
	v_cndmask_b32_e32 v78, 0, v78, vcc_lo
	v_cmp_ngt_f32_e32 vcc_lo, 0xc2ce8ed0, v88
	s_wait_alu 0xfffd
	v_cndmask_b32_e32 v75, 0, v75, vcc_lo
	v_cmp_nlt_f32_e32 vcc_lo, 0x42b17218, v87
	s_wait_alu 0xfffd
	v_cndmask_b32_e32 v113, 0x7f800000, v78, vcc_lo
	v_cmp_nlt_f32_e32 vcc_lo, 0x42b17218, v88
	v_cvt_f16_f32_e32 v78, v79
	v_add_f32_e32 v79, v79, v89
	s_delay_alu instid0(VALU_DEP_4) | instskip(SKIP_4) | instid1(VALU_DEP_3)
	v_cvt_f16_f32_e32 v86, v113
	s_wait_alu 0xfffd
	v_cndmask_b32_e32 v88, 0x7f800000, v75, vcc_lo
	v_cvt_i32_f32_e32 v75, v117
	v_cmp_ngt_f32_e32 vcc_lo, 0xc2ce8ed0, v114
	v_cvt_f16_f32_e32 v87, v88
	s_delay_alu instid0(VALU_DEP_3)
	v_ldexp_f32 v117, v76, v75
	v_pack_b32_f16 v76, v116, v78
	v_pack_b32_f16 v75, v112, v98
	;; [unrolled: 1-line block ×8, first 2 shown]
	s_wait_alu 0xfffd
	v_cndmask_b32_e32 v23, 0, v117, vcc_lo
	ds_store_2addr_b64 v119, v[75:76], v[77:78] offset1:32
	ds_store_2addr_b64 v119, v[84:85], v[86:87] offset0:64 offset1:96
	s_wait_loadcnt 0x3
	ds_store_b128 v64, v[80:83]
	s_wait_loadcnt 0x2
	ds_store_b128 v67, v[100:103]
	;; [unrolled: 2-line block ×4, first 2 shown]
	s_wait_dscnt 0x0
	s_barrier_signal -1
	s_barrier_wait -1
	global_inv scope:SCOPE_SE
	ds_load_b128 v[75:78], v44
	v_cmp_nlt_f32_e32 vcc_lo, 0x42b17218, v114
	v_cvt_f16_f32_e32 v21, v118
	v_add_f32_e32 v84, v113, v79
	ds_load_2addr_b64 v[79:82], v36 offset1:32
	s_wait_alu 0xfffd
	v_cndmask_b32_e32 v83, 0x7f800000, v23, vcc_lo
	v_add_f32_e32 v23, v91, v95
	v_and_b32_e32 v21, 0xffff, v21
	v_mul_u32_u24_e32 v91, 0x10001, v115
	s_wait_alu 0xfffe
	v_add_co_u32 v157, vcc_lo, s40, v12
	v_cvt_f16_f32_e32 v85, v83
	v_add_f32_e32 v23, v92, v23
	v_mul_u32_u24_e32 v92, 0x10001, v21
	v_add_f32_e32 v21, v88, v84
	v_pk_mul_f16 v46, v46, v91
	s_delay_alu instid0(VALU_DEP_4) | instskip(NEXT) | instid1(VALU_DEP_4)
	v_dual_fmac_f32 v23, v73, v118 :: v_dual_and_b32 v84, 0xffff, v85
	v_pk_mul_f16 v43, v43, v92
	s_delay_alu instid0(VALU_DEP_4)
	v_fmac_f32_e32 v21, v74, v83
	s_wait_alu 0xfffd
	v_add_co_ci_u32_e64 v158, null, s41, v13, vcc_lo
	v_mul_u32_u24_e32 v73, 0x10001, v84
	ds_load_b128 v[83:86], v44 offset:16
	s_wait_dscnt 0x2
	v_and_b32_e32 v74, 0xffff, v75
	v_lshrrev_b32_e32 v75, 16, v75
	v_and_b32_e32 v87, 0xffff, v76
	v_lshrrev_b32_e32 v76, 16, v76
	v_pk_mul_f16 v41, v41, v73
	v_mul_u32_u24_e32 v93, 0x10001, v74
	v_mul_u32_u24_e32 v95, 0x10001, v75
	;; [unrolled: 1-line block ×3, first 2 shown]
	v_pk_mul_f16 v97, v40, v73
	v_mul_u32_u24_e32 v98, 0x10001, v76
	s_wait_dscnt 0x1
	v_pk_mul_f16 v40, v79, v93
	v_pk_mul_f16 v99, v79, v95
	;; [unrolled: 1-line block ×3, first 2 shown]
	ds_load_b128 v[73:76], v44 offset:32
	ds_load_b128 v[87:90], v44 offset:48
	v_pk_fma_f16 v79, v79, v98, v41
	v_pk_fma_f16 v47, v47, v94, v40
	v_and_b32_e32 v40, 0xffff, v77
	v_lshrrev_b32_e32 v41, 16, v77
	v_pk_fma_f16 v45, v45, v91, v99
	v_pk_fma_f16 v91, v42, v92, v100
	v_pk_fma_f16 v49, v80, v93, v49
	v_pk_fma_f16 v77, v80, v96, v43
	v_and_b32_e32 v92, 0xffff, v78
	v_lshrrev_b32_e32 v78, 16, v78
	v_mul_u32_u24_e32 v93, 0x10001, v40
	v_mul_u32_u24_e32 v94, 0x10001, v41
	ds_load_2addr_b64 v[40:43], v36 offset0:64 offset1:96
	v_mul_u32_u24_e32 v92, 0x10001, v92
	v_mul_u32_u24_e32 v78, 0x10001, v78
	v_pk_fma_f16 v47, v81, v93, v47
	v_pk_fma_f16 v45, v81, v94, v45
	;; [unrolled: 1-line block ×5, first 2 shown]
	s_wait_dscnt 0x3
	v_and_b32_e32 v81, 0xffff, v83
	v_lshrrev_b32_e32 v83, 16, v83
	v_and_b32_e32 v93, 0xffff, v84
	v_lshrrev_b32_e32 v84, 16, v84
	v_pk_fma_f16 v46, v80, v95, v46
	v_pk_fma_f16 v80, v80, v98, v97
	;; [unrolled: 1-line block ×3, first 2 shown]
	v_mul_u32_u24_e32 v81, 0x10001, v81
	v_mul_u32_u24_e32 v83, 0x10001, v83
	;; [unrolled: 1-line block ×4, first 2 shown]
	v_pk_fma_f16 v46, v82, v94, v46
	v_pk_fma_f16 v82, v82, v78, v80
	s_wait_dscnt 0x0
	v_pk_fma_f16 v47, v40, v81, v47
	v_pk_fma_f16 v45, v40, v83, v45
	;; [unrolled: 1-line block ×4, first 2 shown]
	v_and_b32_e32 v78, 0xffff, v85
	v_lshrrev_b32_e32 v79, 16, v85
	v_pk_fma_f16 v49, v41, v81, v49
	v_pk_fma_f16 v46, v41, v83, v46
	;; [unrolled: 1-line block ×3, first 2 shown]
	v_and_b32_e32 v83, 0xffff, v86
	v_lshrrev_b32_e32 v85, 16, v86
	v_mul_u32_u24_e32 v86, 0x10001, v78
	v_mul_u32_u24_e32 v92, 0x10001, v79
	ds_load_2addr_b64 v[77:80], v36 offset0:128 offset1:160
	v_mul_u32_u24_e32 v83, 0x10001, v83
	v_mul_u32_u24_e32 v85, 0x10001, v85
	v_pk_fma_f16 v41, v41, v84, v82
	v_pk_fma_f16 v47, v42, v86, v47
	;; [unrolled: 1-line block ×6, first 2 shown]
	v_and_b32_e32 v49, 0xffff, v73
	v_lshrrev_b32_e32 v73, 16, v73
	v_pk_fma_f16 v46, v43, v92, v46
	v_and_b32_e32 v84, 0xffff, v74
	v_lshrrev_b32_e32 v74, 16, v74
	v_pk_fma_f16 v81, v43, v83, v81
	v_mul_u32_u24_e32 v73, 0x10001, v73
	v_mul_u32_u24_e32 v49, 0x10001, v49
	;; [unrolled: 1-line block ×4, first 2 shown]
	v_pk_fma_f16 v41, v43, v85, v41
	s_wait_dscnt 0x0
	v_pk_fma_f16 v45, v77, v73, v45
	v_pk_fma_f16 v46, v78, v73, v46
	v_lshrrev_b32_e32 v73, 16, v75
	v_pk_fma_f16 v43, v77, v49, v47
	v_pk_fma_f16 v47, v77, v83, v82
	;; [unrolled: 1-line block ×4, first 2 shown]
	v_and_b32_e32 v49, 0xffff, v75
	v_pk_fma_f16 v77, v78, v83, v81
	v_and_b32_e32 v81, 0xffff, v76
	v_lshrrev_b32_e32 v82, 16, v76
	v_mul_u32_u24_e32 v83, 0x10001, v73
	ds_load_2addr_b64 v[73:76], v36 offset0:192 offset1:224
	v_mul_u32_u24_e32 v49, 0x10001, v49
	v_mul_u32_u24_e32 v81, 0x10001, v81
	;; [unrolled: 1-line block ×3, first 2 shown]
	v_pk_fma_f16 v41, v78, v84, v41
	v_lshrrev_b32_e32 v78, 16, v87
	v_pk_fma_f16 v43, v79, v49, v43
	v_pk_fma_f16 v45, v79, v83, v45
	;; [unrolled: 1-line block ×6, first 2 shown]
	v_and_b32_e32 v49, 0xffff, v87
	v_and_b32_e32 v79, 0xffff, v88
	v_lshrrev_b32_e32 v83, 16, v88
	v_pk_fma_f16 v81, v80, v81, v77
	v_mul_u32_u24_e32 v77, 0x10001, v78
	v_mul_u32_u24_e32 v49, 0x10001, v49
	;; [unrolled: 1-line block ×4, first 2 shown]
	v_pk_fma_f16 v41, v80, v82, v41
	s_wait_dscnt 0x0
	v_pk_fma_f16 v45, v73, v77, v45
	v_pk_fma_f16 v46, v74, v77, v46
	ds_load_b128 v[77:80], v44 offset:64
	v_pk_fma_f16 v43, v73, v49, v43
	v_pk_fma_f16 v47, v73, v84, v47
	;; [unrolled: 1-line block ×5, first 2 shown]
	v_and_b32_e32 v81, 0xffff, v89
	v_lshrrev_b32_e32 v82, 16, v89
	v_and_b32_e32 v83, 0xffff, v90
	v_add_nc_u32_e32 v42, 0x800, v36
	v_lshrrev_b32_e32 v86, 16, v90
	v_mul_u32_u24_e32 v87, 0x10001, v81
	v_mul_u32_u24_e32 v88, 0x10001, v82
	;; [unrolled: 1-line block ×3, first 2 shown]
	ds_load_2addr_b64 v[81:84], v42 offset1:32
	v_mul_u32_u24_e32 v90, 0x10001, v86
	v_pk_fma_f16 v41, v74, v85, v41
	v_pk_fma_f16 v43, v75, v87, v43
	;; [unrolled: 1-line block ×7, first 2 shown]
	ds_load_b128 v[85:88], v44 offset:80
	s_wait_dscnt 0x2
	v_and_b32_e32 v74, 0xffff, v77
	v_lshrrev_b32_e32 v75, 16, v77
	v_and_b32_e32 v77, 0xffff, v78
	v_lshrrev_b32_e32 v78, 16, v78
	v_pk_fma_f16 v73, v76, v89, v73
	v_mul_u32_u24_e32 v74, 0x10001, v74
	v_mul_u32_u24_e32 v75, 0x10001, v75
	;; [unrolled: 1-line block ×4, first 2 shown]
	v_pk_fma_f16 v41, v76, v90, v41
	s_wait_dscnt 0x1
	v_pk_fma_f16 v43, v81, v74, v43
	v_pk_fma_f16 v45, v81, v75, v45
	;; [unrolled: 1-line block ×4, first 2 shown]
	v_and_b32_e32 v74, 0xffff, v79
	v_lshrrev_b32_e32 v75, 16, v79
	v_pk_fma_f16 v47, v81, v77, v47
	v_pk_fma_f16 v40, v81, v78, v40
	;; [unrolled: 1-line block ×3, first 2 shown]
	v_mul_u32_u24_e32 v81, 0x10001, v74
	v_mul_u32_u24_e32 v89, 0x10001, v75
	ds_load_2addr_b64 v[73:76], v42 offset0:64 offset1:96
	v_and_b32_e32 v79, 0xffff, v80
	v_lshrrev_b32_e32 v80, 16, v80
	v_pk_fma_f16 v41, v82, v78, v41
	s_wait_dscnt 0x1
	v_and_b32_e32 v78, 0xffff, v85
	v_pk_fma_f16 v43, v83, v81, v43
	v_mul_u32_u24_e32 v79, 0x10001, v79
	v_mul_u32_u24_e32 v80, 0x10001, v80
	v_pk_fma_f16 v49, v84, v81, v49
	v_lshrrev_b32_e32 v81, 16, v85
	v_pk_fma_f16 v45, v83, v89, v45
	v_pk_fma_f16 v85, v84, v79, v77
	v_mul_u32_u24_e32 v77, 0x10001, v78
	v_pk_fma_f16 v47, v83, v79, v47
	v_pk_fma_f16 v40, v83, v80, v40
	;; [unrolled: 1-line block ×3, first 2 shown]
	v_and_b32_e32 v82, 0xffff, v86
	v_lshrrev_b32_e32 v83, 16, v86
	v_mul_u32_u24_e32 v81, 0x10001, v81
	v_pk_fma_f16 v41, v84, v80, v41
	s_wait_dscnt 0x0
	v_pk_fma_f16 v43, v73, v77, v43
	v_pk_fma_f16 v49, v74, v77, v49
	ds_load_b128 v[77:80], v44 offset:96
	v_mul_u32_u24_e32 v82, 0x10001, v82
	v_mul_u32_u24_e32 v86, 0x10001, v83
	v_pk_fma_f16 v45, v73, v81, v45
	v_pk_fma_f16 v46, v74, v81, v46
	v_lshrrev_b32_e32 v81, 16, v87
	v_and_b32_e32 v83, 0xffff, v88
	v_pk_fma_f16 v47, v73, v82, v47
	v_pk_fma_f16 v40, v73, v86, v40
	v_and_b32_e32 v73, 0xffff, v87
	v_pk_fma_f16 v89, v74, v82, v85
	v_mul_u32_u24_e32 v87, 0x10001, v81
	v_mul_u32_u24_e32 v90, 0x10001, v83
	ds_load_2addr_b64 v[81:84], v42 offset0:128 offset1:160
	v_lshrrev_b32_e32 v85, 16, v88
	v_mul_u32_u24_e32 v73, 0x10001, v73
	v_pk_fma_f16 v41, v74, v86, v41
	v_pk_fma_f16 v45, v75, v87, v45
	v_pk_fma_f16 v46, v76, v87, v46
	v_mul_u32_u24_e32 v91, 0x10001, v85
	v_pk_fma_f16 v43, v75, v73, v43
	v_pk_fma_f16 v49, v76, v73, v49
	ds_load_b128 v[85:88], v44 offset:112
	s_wait_dscnt 0x2
	v_and_b32_e32 v73, 0xffff, v77
	v_lshrrev_b32_e32 v74, 16, v77
	v_pk_fma_f16 v47, v75, v90, v47
	v_pk_fma_f16 v40, v75, v91, v40
	v_and_b32_e32 v75, 0xffff, v78
	v_lshrrev_b32_e32 v77, 16, v78
	v_mul_u32_u24_e32 v73, 0x10001, v73
	v_mul_u32_u24_e32 v74, 0x10001, v74
	v_pk_fma_f16 v78, v76, v90, v89
	v_mul_u32_u24_e32 v75, 0x10001, v75
	v_mul_u32_u24_e32 v77, 0x10001, v77
	s_wait_dscnt 0x1
	v_pk_fma_f16 v43, v81, v73, v43
	v_pk_fma_f16 v45, v81, v74, v45
	;; [unrolled: 1-line block ×4, first 2 shown]
	v_and_b32_e32 v73, 0xffff, v79
	v_lshrrev_b32_e32 v74, 16, v79
	v_pk_fma_f16 v41, v76, v91, v41
	v_pk_fma_f16 v47, v81, v75, v47
	;; [unrolled: 1-line block ×4, first 2 shown]
	v_mul_u32_u24_e32 v81, 0x10001, v73
	v_mul_u32_u24_e32 v89, 0x10001, v74
	ds_load_2addr_b64 v[73:76], v42 offset0:192 offset1:224
	v_and_b32_e32 v79, 0xffff, v80
	v_lshrrev_b32_e32 v80, 16, v80
	v_pk_fma_f16 v41, v82, v77, v41
	v_pk_fma_f16 v43, v83, v81, v43
	;; [unrolled: 1-line block ×3, first 2 shown]
	v_mul_u32_u24_e32 v79, 0x10001, v79
	v_mul_u32_u24_e32 v80, 0x10001, v80
	s_wait_dscnt 0x1
	v_and_b32_e32 v77, 0xffff, v85
	v_lshrrev_b32_e32 v81, 16, v85
	v_pk_fma_f16 v45, v83, v89, v45
	v_pk_fma_f16 v47, v83, v79, v47
	;; [unrolled: 1-line block ×4, first 2 shown]
	v_and_b32_e32 v82, 0xffff, v86
	v_lshrrev_b32_e32 v83, 16, v86
	v_pk_fma_f16 v85, v84, v79, v78
	v_mul_u32_u24_e32 v77, 0x10001, v77
	v_mul_u32_u24_e32 v78, 0x10001, v81
	;; [unrolled: 1-line block ×4, first 2 shown]
	v_pk_fma_f16 v41, v84, v80, v41
	s_wait_dscnt 0x0
	v_pk_fma_f16 v89, v73, v77, v43
	v_pk_fma_f16 v45, v73, v78, v45
	;; [unrolled: 1-line block ×4, first 2 shown]
	ds_load_b128 v[77:80], v44 offset:128
	v_pk_fma_f16 v47, v73, v81, v47
	v_pk_fma_f16 v40, v73, v86, v40
	;; [unrolled: 1-line block ×3, first 2 shown]
	v_and_b32_e32 v81, 0xffff, v87
	v_lshrrev_b32_e32 v82, 16, v87
	v_and_b32_e32 v83, 0xffff, v88
	v_add_nc_u32_e32 v43, 0x1000, v36
	v_lshrrev_b32_e32 v85, 16, v88
	v_mul_u32_u24_e32 v87, 0x10001, v81
	v_mul_u32_u24_e32 v88, 0x10001, v82
	;; [unrolled: 1-line block ×3, first 2 shown]
	ds_load_2addr_b64 v[81:84], v43 offset1:32
	v_mul_u32_u24_e32 v91, 0x10001, v85
	v_pk_fma_f16 v41, v74, v86, v41
	v_pk_fma_f16 v74, v75, v87, v89
	;; [unrolled: 1-line block ×7, first 2 shown]
	ds_load_b128 v[85:88], v44 offset:144
	s_wait_dscnt 0x2
	v_and_b32_e32 v75, 0xffff, v77
	v_lshrrev_b32_e32 v77, 16, v77
	v_and_b32_e32 v89, 0xffff, v78
	v_lshrrev_b32_e32 v78, 16, v78
	v_pk_fma_f16 v73, v76, v90, v73
	v_mul_u32_u24_e32 v75, 0x10001, v75
	v_mul_u32_u24_e32 v77, 0x10001, v77
	;; [unrolled: 1-line block ×4, first 2 shown]
	v_pk_fma_f16 v41, v76, v91, v41
	s_wait_dscnt 0x1
	v_pk_fma_f16 v90, v81, v75, v74
	v_pk_fma_f16 v49, v82, v75, v49
	v_and_b32_e32 v74, 0xffff, v79
	v_lshrrev_b32_e32 v75, 16, v79
	v_pk_fma_f16 v45, v81, v77, v45
	v_pk_fma_f16 v47, v81, v89, v47
	;; [unrolled: 1-line block ×5, first 2 shown]
	v_mul_u32_u24_e32 v81, 0x10001, v74
	v_mul_u32_u24_e32 v89, 0x10001, v75
	ds_load_2addr_b64 v[73:76], v43 offset0:64 offset1:96
	v_and_b32_e32 v79, 0xffff, v80
	v_lshrrev_b32_e32 v80, 16, v80
	v_pk_fma_f16 v41, v82, v78, v41
	v_pk_fma_f16 v78, v83, v81, v90
	;; [unrolled: 1-line block ×3, first 2 shown]
	v_mul_u32_u24_e32 v79, 0x10001, v79
	v_mul_u32_u24_e32 v80, 0x10001, v80
	s_wait_dscnt 0x1
	v_and_b32_e32 v81, 0xffff, v85
	v_pk_fma_f16 v45, v83, v89, v45
	v_lshrrev_b32_e32 v82, 16, v85
	v_pk_fma_f16 v47, v83, v79, v47
	v_pk_fma_f16 v40, v83, v80, v40
	v_and_b32_e32 v83, 0xffff, v86
	v_lshrrev_b32_e32 v85, 16, v86
	v_pk_fma_f16 v86, v84, v79, v77
	v_mul_u32_u24_e32 v77, 0x10001, v81
	v_pk_fma_f16 v46, v84, v89, v46
	v_mul_u32_u24_e32 v81, 0x10001, v82
	v_pk_fma_f16 v41, v84, v80, v41
	v_mul_u32_u24_e32 v82, 0x10001, v83
	s_wait_dscnt 0x0
	v_pk_fma_f16 v89, v73, v77, v78
	v_pk_fma_f16 v49, v74, v77, v49
	ds_load_b128 v[77:80], v44 offset:160
	v_mul_u32_u24_e32 v85, 0x10001, v85
	v_pk_fma_f16 v45, v73, v81, v45
	v_pk_fma_f16 v46, v74, v81, v46
	v_lshrrev_b32_e32 v81, 16, v87
	v_and_b32_e32 v83, 0xffff, v88
	v_pk_fma_f16 v47, v73, v82, v47
	v_pk_fma_f16 v40, v73, v85, v40
	v_and_b32_e32 v73, 0xffff, v87
	v_pk_fma_f16 v90, v74, v82, v86
	v_mul_u32_u24_e32 v87, 0x10001, v81
	v_mul_u32_u24_e32 v91, 0x10001, v83
	ds_load_2addr_b64 v[81:84], v43 offset0:128 offset1:160
	v_lshrrev_b32_e32 v86, 16, v88
	v_mul_u32_u24_e32 v73, 0x10001, v73
	v_pk_fma_f16 v41, v74, v85, v41
	v_pk_fma_f16 v45, v75, v87, v45
	;; [unrolled: 1-line block ×3, first 2 shown]
	v_mul_u32_u24_e32 v92, 0x10001, v86
	v_pk_fma_f16 v74, v75, v73, v89
	v_pk_fma_f16 v49, v76, v73, v49
	ds_load_b128 v[85:88], v44 offset:176
	s_wait_dscnt 0x2
	v_and_b32_e32 v73, 0xffff, v77
	v_pk_fma_f16 v47, v75, v91, v47
	v_pk_fma_f16 v40, v75, v92, v40
	v_lshrrev_b32_e32 v75, 16, v77
	v_and_b32_e32 v77, 0xffff, v78
	v_lshrrev_b32_e32 v78, 16, v78
	v_mul_u32_u24_e32 v73, 0x10001, v73
	v_pk_fma_f16 v89, v76, v91, v90
	v_mul_u32_u24_e32 v75, 0x10001, v75
	v_mul_u32_u24_e32 v77, 0x10001, v77
	;; [unrolled: 1-line block ×3, first 2 shown]
	s_wait_dscnt 0x1
	v_pk_fma_f16 v90, v81, v73, v74
	v_pk_fma_f16 v49, v82, v73, v49
	v_and_b32_e32 v73, 0xffff, v79
	v_lshrrev_b32_e32 v74, 16, v79
	v_pk_fma_f16 v41, v76, v92, v41
	v_pk_fma_f16 v45, v81, v75, v45
	;; [unrolled: 1-line block ×6, first 2 shown]
	v_mul_u32_u24_e32 v81, 0x10001, v73
	v_mul_u32_u24_e32 v89, 0x10001, v74
	ds_load_2addr_b64 v[73:76], v43 offset0:192 offset1:224
	v_and_b32_e32 v79, 0xffff, v80
	v_lshrrev_b32_e32 v80, 16, v80
	v_pk_fma_f16 v41, v82, v78, v41
	v_pk_fma_f16 v78, v83, v81, v90
	;; [unrolled: 1-line block ×3, first 2 shown]
	v_mul_u32_u24_e32 v79, 0x10001, v79
	v_mul_u32_u24_e32 v80, 0x10001, v80
	s_wait_dscnt 0x1
	v_and_b32_e32 v81, 0xffff, v85
	v_lshrrev_b32_e32 v82, 16, v85
	v_pk_fma_f16 v45, v83, v89, v45
	v_pk_fma_f16 v47, v83, v79, v47
	;; [unrolled: 1-line block ×4, first 2 shown]
	v_and_b32_e32 v83, 0xffff, v86
	v_lshrrev_b32_e32 v85, 16, v86
	v_pk_fma_f16 v86, v84, v79, v77
	v_mul_u32_u24_e32 v77, 0x10001, v81
	v_mul_u32_u24_e32 v79, 0x10001, v82
	;; [unrolled: 1-line block ×4, first 2 shown]
	v_pk_fma_f16 v41, v84, v80, v41
	s_wait_dscnt 0x0
	v_pk_fma_f16 v89, v73, v77, v78
	v_pk_fma_f16 v90, v73, v79, v45
	;; [unrolled: 1-line block ×4, first 2 shown]
	ds_load_b128 v[77:80], v44 offset:192
	v_pk_fma_f16 v47, v73, v81, v47
	v_pk_fma_f16 v40, v73, v85, v40
	;; [unrolled: 1-line block ×3, first 2 shown]
	v_and_b32_e32 v81, 0xffff, v87
	v_lshrrev_b32_e32 v82, 16, v87
	v_and_b32_e32 v83, 0xffff, v88
	v_add_nc_u32_e32 v45, 0x1800, v36
	v_lshrrev_b32_e32 v86, 16, v88
	v_mul_u32_u24_e32 v87, 0x10001, v81
	v_mul_u32_u24_e32 v88, 0x10001, v82
	;; [unrolled: 1-line block ×3, first 2 shown]
	ds_load_2addr_b64 v[81:84], v45 offset1:32
	v_mul_u32_u24_e32 v92, 0x10001, v86
	v_pk_fma_f16 v41, v74, v85, v41
	v_pk_fma_f16 v74, v75, v87, v89
	;; [unrolled: 1-line block ×7, first 2 shown]
	ds_load_b128 v[85:88], v44 offset:208
	s_wait_dscnt 0x2
	v_and_b32_e32 v75, 0xffff, v77
	v_lshrrev_b32_e32 v77, 16, v77
	v_and_b32_e32 v90, 0xffff, v78
	v_lshrrev_b32_e32 v78, 16, v78
	v_pk_fma_f16 v73, v76, v91, v73
	v_mul_u32_u24_e32 v75, 0x10001, v75
	v_mul_u32_u24_e32 v77, 0x10001, v77
	v_mul_u32_u24_e32 v90, 0x10001, v90
	v_mul_u32_u24_e32 v78, 0x10001, v78
	v_pk_fma_f16 v41, v76, v92, v41
	s_wait_dscnt 0x1
	v_pk_fma_f16 v91, v81, v75, v74
	v_pk_fma_f16 v49, v82, v75, v49
	v_and_b32_e32 v74, 0xffff, v79
	v_lshrrev_b32_e32 v75, 16, v79
	v_pk_fma_f16 v89, v81, v77, v89
	v_pk_fma_f16 v47, v81, v90, v47
	;; [unrolled: 1-line block ×5, first 2 shown]
	v_mul_u32_u24_e32 v81, 0x10001, v74
	v_mul_u32_u24_e32 v90, 0x10001, v75
	ds_load_2addr_b64 v[73:76], v45 offset0:64 offset1:96
	v_and_b32_e32 v79, 0xffff, v80
	v_lshrrev_b32_e32 v80, 16, v80
	v_pk_fma_f16 v41, v82, v78, v41
	v_pk_fma_f16 v78, v83, v81, v91
	;; [unrolled: 1-line block ×3, first 2 shown]
	v_mul_u32_u24_e32 v79, 0x10001, v79
	v_mul_u32_u24_e32 v80, 0x10001, v80
	s_wait_dscnt 0x1
	v_and_b32_e32 v81, 0xffff, v85
	v_pk_fma_f16 v82, v83, v90, v89
	v_pk_fma_f16 v46, v84, v90, v46
	;; [unrolled: 1-line block ×4, first 2 shown]
	v_lshrrev_b32_e32 v83, 16, v85
	v_and_b32_e32 v85, 0xffff, v86
	v_lshrrev_b32_e32 v86, 16, v86
	v_pk_fma_f16 v89, v84, v79, v77
	v_mul_u32_u24_e32 v77, 0x10001, v81
	v_mul_u32_u24_e32 v81, 0x10001, v83
	;; [unrolled: 1-line block ×4, first 2 shown]
	v_pk_fma_f16 v41, v84, v80, v41
	s_wait_dscnt 0x0
	v_pk_fma_f16 v86, v73, v77, v78
	v_pk_fma_f16 v49, v74, v77, v49
	ds_load_b128 v[77:80], v44 offset:224
	v_pk_fma_f16 v90, v73, v81, v82
	v_pk_fma_f16 v46, v74, v81, v46
	v_lshrrev_b32_e32 v81, 16, v87
	v_and_b32_e32 v82, 0xffff, v88
	v_pk_fma_f16 v47, v73, v83, v47
	v_pk_fma_f16 v40, v73, v85, v40
	v_and_b32_e32 v73, 0xffff, v87
	v_pk_fma_f16 v89, v74, v83, v89
	v_lshrrev_b32_e32 v87, 16, v88
	v_mul_u32_u24_e32 v88, 0x10001, v81
	v_mul_u32_u24_e32 v91, 0x10001, v82
	ds_load_2addr_b64 v[81:84], v45 offset0:128 offset1:160
	v_mul_u32_u24_e32 v73, 0x10001, v73
	v_mul_u32_u24_e32 v92, 0x10001, v87
	v_pk_fma_f16 v41, v74, v85, v41
	v_pk_fma_f16 v90, v75, v88, v90
	;; [unrolled: 1-line block ×5, first 2 shown]
	ds_load_b128 v[85:88], v44 offset:240
	s_wait_dscnt 0x2
	v_and_b32_e32 v73, 0xffff, v77
	v_pk_fma_f16 v47, v75, v91, v47
	v_pk_fma_f16 v40, v75, v92, v40
	v_lshrrev_b32_e32 v75, 16, v77
	v_and_b32_e32 v77, 0xffff, v78
	v_lshrrev_b32_e32 v78, 16, v78
	v_mul_u32_u24_e32 v73, 0x10001, v73
	v_pk_fma_f16 v89, v76, v91, v89
	v_mul_u32_u24_e32 v75, 0x10001, v75
	v_mul_u32_u24_e32 v77, 0x10001, v77
	v_mul_u32_u24_e32 v78, 0x10001, v78
	s_wait_dscnt 0x1
	v_pk_fma_f16 v91, v81, v73, v74
	v_pk_fma_f16 v49, v82, v73, v49
	v_and_b32_e32 v73, 0xffff, v79
	v_lshrrev_b32_e32 v74, 16, v79
	v_pk_fma_f16 v41, v76, v92, v41
	v_pk_fma_f16 v90, v81, v75, v90
	;; [unrolled: 1-line block ×6, first 2 shown]
	v_and_b32_e32 v79, 0xffff, v80
	v_lshrrev_b32_e32 v80, 16, v80
	v_mul_u32_u24_e32 v81, 0x10001, v73
	v_mul_u32_u24_e32 v89, 0x10001, v74
	ds_load_2addr_b64 v[73:76], v45 offset0:192 offset1:224
	v_mul_u32_u24_e32 v79, 0x10001, v79
	v_mul_u32_u24_e32 v80, 0x10001, v80
	v_pk_fma_f16 v41, v82, v78, v41
	v_pk_fma_f16 v78, v83, v81, v91
	;; [unrolled: 1-line block ×6, first 2 shown]
	s_wait_dscnt 0x1
	v_and_b32_e32 v81, 0xffff, v85
	v_lshrrev_b32_e32 v83, 16, v85
	v_and_b32_e32 v85, 0xffff, v86
	v_lshrrev_b32_e32 v86, 16, v86
	v_pk_fma_f16 v46, v84, v89, v46
	v_pk_fma_f16 v89, v84, v79, v77
	v_mul_u32_u24_e32 v77, 0x10001, v81
	v_mul_u32_u24_e32 v79, 0x10001, v83
	v_mul_u32_u24_e32 v81, 0x10001, v85
	v_mul_u32_u24_e32 v85, 0x10001, v86
	v_pk_fma_f16 v41, v84, v80, v41
	s_wait_dscnt 0x0
	v_pk_fma_f16 v86, v73, v77, v78
	v_pk_fma_f16 v90, v73, v79, v82
	;; [unrolled: 1-line block ×6, first 2 shown]
	ds_load_b128 v[77:80], v44 offset:256
	v_pk_fma_f16 v89, v74, v81, v89
	v_and_b32_e32 v81, 0xffff, v87
	v_lshrrev_b32_e32 v82, 16, v87
	v_and_b32_e32 v83, 0xffff, v88
	v_add_nc_u32_e32 v46, 0x2000, v36
	v_lshrrev_b32_e32 v87, 16, v88
	v_mul_u32_u24_e32 v88, 0x10001, v81
	v_mul_u32_u24_e32 v91, 0x10001, v82
	;; [unrolled: 1-line block ×3, first 2 shown]
	ds_load_2addr_b64 v[81:84], v46 offset1:32
	v_mul_u32_u24_e32 v93, 0x10001, v87
	v_pk_fma_f16 v41, v74, v85, v41
	v_pk_fma_f16 v74, v75, v88, v86
	;; [unrolled: 1-line block ×6, first 2 shown]
	ds_load_b128 v[85:88], v44 offset:272
	v_pk_fma_f16 v73, v76, v91, v73
	s_wait_dscnt 0x2
	v_and_b32_e32 v75, 0xffff, v77
	v_lshrrev_b32_e32 v77, 16, v77
	v_and_b32_e32 v91, 0xffff, v78
	v_lshrrev_b32_e32 v78, 16, v78
	v_pk_fma_f16 v89, v76, v92, v89
	v_mul_u32_u24_e32 v75, 0x10001, v75
	v_mul_u32_u24_e32 v77, 0x10001, v77
	;; [unrolled: 1-line block ×4, first 2 shown]
	v_pk_fma_f16 v41, v76, v93, v41
	s_wait_dscnt 0x1
	v_pk_fma_f16 v92, v81, v75, v74
	v_pk_fma_f16 v90, v81, v77, v90
	;; [unrolled: 1-line block ×3, first 2 shown]
	v_and_b32_e32 v73, 0xffff, v79
	v_lshrrev_b32_e32 v74, 16, v79
	v_pk_fma_f16 v47, v81, v91, v47
	v_pk_fma_f16 v40, v81, v78, v40
	;; [unrolled: 1-line block ×4, first 2 shown]
	v_and_b32_e32 v81, 0xffff, v80
	v_lshrrev_b32_e32 v80, 16, v80
	v_mul_u32_u24_e32 v89, 0x10001, v73
	v_mul_u32_u24_e32 v91, 0x10001, v74
	ds_load_2addr_b64 v[73:76], v46 offset0:64 offset1:96
	v_mul_u32_u24_e32 v81, 0x10001, v81
	v_mul_u32_u24_e32 v80, 0x10001, v80
	v_pk_fma_f16 v41, v82, v78, v41
	v_pk_fma_f16 v78, v83, v89, v92
	v_pk_fma_f16 v82, v83, v91, v90
	v_pk_fma_f16 v47, v83, v81, v47
	v_pk_fma_f16 v40, v83, v80, v40
	v_pk_fma_f16 v83, v84, v91, v77
	s_wait_dscnt 0x1
	v_and_b32_e32 v77, 0xffff, v85
	v_pk_fma_f16 v49, v84, v89, v49
	v_lshrrev_b32_e32 v85, 16, v85
	v_and_b32_e32 v89, 0xffff, v86
	v_lshrrev_b32_e32 v86, 16, v86
	v_mul_u32_u24_e32 v77, 0x10001, v77
	v_pk_fma_f16 v81, v84, v81, v79
	v_mul_u32_u24_e32 v85, 0x10001, v85
	v_mul_u32_u24_e32 v89, 0x10001, v89
	;; [unrolled: 1-line block ×3, first 2 shown]
	v_pk_fma_f16 v41, v84, v80, v41
	s_wait_dscnt 0x0
	v_pk_fma_f16 v90, v73, v77, v78
	v_pk_fma_f16 v49, v74, v77, v49
	ds_load_b128 v[77:80], v44 offset:288
	v_pk_fma_f16 v91, v73, v85, v82
	v_pk_fma_f16 v47, v73, v89, v47
	;; [unrolled: 1-line block ×4, first 2 shown]
	v_and_b32_e32 v82, 0xffff, v87
	v_lshrrev_b32_e32 v83, 16, v87
	v_and_b32_e32 v84, 0xffff, v88
	v_pk_fma_f16 v89, v74, v89, v81
	v_lshrrev_b32_e32 v85, 16, v88
	v_mul_u32_u24_e32 v87, 0x10001, v82
	v_mul_u32_u24_e32 v88, 0x10001, v83
	;; [unrolled: 1-line block ×3, first 2 shown]
	ds_load_2addr_b64 v[81:84], v46 offset0:128 offset1:160
	v_mul_u32_u24_e32 v93, 0x10001, v85
	v_pk_fma_f16 v41, v74, v86, v41
	v_pk_fma_f16 v74, v75, v87, v90
	;; [unrolled: 1-line block ×7, first 2 shown]
	ds_load_b128 v[85:88], v44 offset:304
	s_wait_dscnt 0x2
	v_and_b32_e32 v75, 0xffff, v77
	v_lshrrev_b32_e32 v77, 16, v77
	v_and_b32_e32 v91, 0xffff, v78
	v_lshrrev_b32_e32 v78, 16, v78
	v_pk_fma_f16 v89, v76, v92, v89
	v_mul_u32_u24_e32 v75, 0x10001, v75
	v_mul_u32_u24_e32 v77, 0x10001, v77
	;; [unrolled: 1-line block ×4, first 2 shown]
	v_pk_fma_f16 v41, v76, v93, v41
	s_wait_dscnt 0x1
	v_pk_fma_f16 v92, v81, v75, v74
	v_pk_fma_f16 v90, v81, v77, v90
	;; [unrolled: 1-line block ×3, first 2 shown]
	v_and_b32_e32 v73, 0xffff, v79
	v_lshrrev_b32_e32 v74, 16, v79
	v_pk_fma_f16 v47, v81, v91, v47
	v_pk_fma_f16 v40, v81, v78, v40
	;; [unrolled: 1-line block ×4, first 2 shown]
	v_and_b32_e32 v81, 0xffff, v80
	v_lshrrev_b32_e32 v80, 16, v80
	v_mul_u32_u24_e32 v89, 0x10001, v73
	v_mul_u32_u24_e32 v91, 0x10001, v74
	ds_load_2addr_b64 v[73:76], v46 offset0:192 offset1:224
	v_mul_u32_u24_e32 v81, 0x10001, v81
	v_mul_u32_u24_e32 v80, 0x10001, v80
	v_pk_fma_f16 v41, v82, v78, v41
	v_pk_fma_f16 v78, v83, v89, v92
	;; [unrolled: 1-line block ×6, first 2 shown]
	s_wait_dscnt 0x1
	v_and_b32_e32 v83, 0xffff, v85
	v_lshrrev_b32_e32 v85, 16, v85
	v_and_b32_e32 v89, 0xffff, v86
	v_lshrrev_b32_e32 v86, 16, v86
	v_pk_fma_f16 v77, v84, v91, v77
	v_pk_fma_f16 v81, v84, v81, v79
	v_mul_u32_u24_e32 v79, 0x10001, v83
	v_mul_u32_u24_e32 v83, 0x10001, v85
	;; [unrolled: 1-line block ×4, first 2 shown]
	v_pk_fma_f16 v41, v84, v80, v41
	s_wait_dscnt 0x0
	v_pk_fma_f16 v89, v73, v79, v78
	v_pk_fma_f16 v90, v73, v83, v82
	;; [unrolled: 1-line block ×6, first 2 shown]
	ds_load_b128 v[77:80], v44 offset:320
	v_pk_fma_f16 v92, v74, v85, v81
	v_and_b32_e32 v81, 0xffff, v87
	v_lshrrev_b32_e32 v82, 16, v87
	v_and_b32_e32 v83, 0xffff, v88
	v_add_nc_u32_e32 v47, 0x2800, v36
	v_lshrrev_b32_e32 v85, 16, v88
	v_mul_u32_u24_e32 v87, 0x10001, v81
	v_mul_u32_u24_e32 v88, 0x10001, v82
	;; [unrolled: 1-line block ×3, first 2 shown]
	ds_load_2addr_b64 v[81:84], v47 offset1:32
	v_mul_u32_u24_e32 v94, 0x10001, v85
	v_pk_fma_f16 v41, v74, v86, v41
	v_pk_fma_f16 v74, v75, v87, v89
	;; [unrolled: 1-line block ×7, first 2 shown]
	ds_load_b128 v[85:88], v44 offset:336
	s_wait_dscnt 0x2
	v_and_b32_e32 v75, 0xffff, v77
	v_lshrrev_b32_e32 v77, 16, v77
	v_and_b32_e32 v91, 0xffff, v78
	v_lshrrev_b32_e32 v78, 16, v78
	v_pk_fma_f16 v92, v76, v93, v92
	v_mul_u32_u24_e32 v75, 0x10001, v75
	v_mul_u32_u24_e32 v77, 0x10001, v77
	;; [unrolled: 1-line block ×4, first 2 shown]
	v_pk_fma_f16 v41, v76, v94, v41
	s_wait_dscnt 0x1
	v_pk_fma_f16 v93, v81, v75, v74
	v_pk_fma_f16 v89, v81, v77, v89
	;; [unrolled: 1-line block ×3, first 2 shown]
	v_and_b32_e32 v73, 0xffff, v79
	v_lshrrev_b32_e32 v74, 16, v79
	v_pk_fma_f16 v90, v81, v91, v90
	v_pk_fma_f16 v40, v81, v78, v40
	;; [unrolled: 1-line block ×4, first 2 shown]
	v_and_b32_e32 v81, 0xffff, v80
	v_lshrrev_b32_e32 v80, 16, v80
	v_mul_u32_u24_e32 v91, 0x10001, v73
	v_mul_u32_u24_e32 v92, 0x10001, v74
	ds_load_2addr_b64 v[73:76], v47 offset0:64 offset1:96
	v_mul_u32_u24_e32 v81, 0x10001, v81
	v_mul_u32_u24_e32 v80, 0x10001, v80
	v_add_co_u32 v159, vcc_lo, s40, v14
	s_wait_alu 0xfffd
	v_add_co_ci_u32_e64 v160, null, s41, v15, vcc_lo
	v_pk_fma_f16 v41, v82, v78, v41
	v_pk_fma_f16 v78, v83, v91, v93
	;; [unrolled: 1-line block ×5, first 2 shown]
	s_wait_dscnt 0x1
	v_and_b32_e32 v83, 0xffff, v85
	v_lshrrev_b32_e32 v85, 16, v85
	v_and_b32_e32 v90, 0xffff, v86
	v_lshrrev_b32_e32 v86, 16, v86
	v_add_co_u32 v157, vcc_lo, v157, v71
	s_wait_alu 0xfffd
	v_add_co_ci_u32_e64 v158, null, 0, v158, vcc_lo
	v_add_co_u32 v161, vcc_lo, v159, v71
	s_wait_alu 0xfffd
	v_add_co_ci_u32_e64 v162, null, 0, v160, vcc_lo
	v_add_co_u32 v159, vcc_lo, s40, v16
	v_pk_fma_f16 v173, v84, v81, v79
	v_mul_u32_u24_e32 v79, 0x10001, v83
	v_mul_u32_u24_e32 v81, 0x10001, v85
	;; [unrolled: 1-line block ×4, first 2 shown]
	s_wait_alu 0xfffd
	v_add_co_ci_u32_e64 v160, null, s41, v17, vcc_lo
	v_add_co_u32 v163, vcc_lo, s40, v18
	s_wait_alu 0xfffd
	v_add_co_ci_u32_e64 v164, null, s41, v19, vcc_lo
	v_add_co_u32 v165, vcc_lo, v159, v71
	v_pk_fma_f16 v49, v84, v91, v49
	v_pk_fma_f16 v77, v84, v92, v77
	;; [unrolled: 1-line block ×3, first 2 shown]
	s_wait_dscnt 0x0
	v_pk_fma_f16 v177, v73, v79, v78
	v_pk_fma_f16 v178, v73, v81, v82
	v_pk_fma_f16 v179, v73, v174, v89
	v_pk_fma_f16 v73, v73, v175, v40
	v_add_nc_u32_e32 v41, 0x3000, v36
	v_add_nc_u32_e32 v40, 0x3800, v36
	s_wait_alu 0xfffd
	v_add_co_ci_u32_e64 v166, null, 0, v160, vcc_lo
	v_add_co_u32 v169, vcc_lo, v163, v71
	s_wait_alu 0xfffd
	v_add_co_ci_u32_e64 v170, null, 0, v164, vcc_lo
	v_pk_fma_f16 v49, v74, v79, v49
	v_pk_fma_f16 v180, v74, v81, v77
	v_lshrrev_b32_e32 v181, 16, v87
	v_lshrrev_b32_e32 v182, 16, v88
	v_and_b32_e32 v183, 0xffff, v87
	v_and_b32_e32 v184, 0xffff, v88
	ds_load_2addr_b64 v[77:80], v47 offset0:128 offset1:160
	ds_load_2addr_b64 v[81:84], v47 offset0:192 offset1:224
	ds_load_b128 v[85:88], v44 offset:352
	ds_load_b128 v[89:92], v44 offset:368
	ds_load_2addr_b64 v[93:96], v41 offset1:32
	ds_load_2addr_b64 v[97:100], v41 offset0:64 offset1:96
	ds_load_b128 v[101:104], v44 offset:384
	ds_load_b128 v[105:108], v44 offset:400
	ds_load_2addr_b64 v[109:112], v41 offset0:128 offset1:160
	ds_load_2addr_b64 v[113:116], v41 offset0:192 offset1:224
	ds_load_b128 v[117:120], v44 offset:416
	ds_load_b128 v[121:124], v44 offset:432
	ds_load_2addr_b64 v[125:128], v40 offset1:32
	ds_load_2addr_b64 v[129:132], v40 offset0:64 offset1:96
	ds_load_b128 v[133:136], v44 offset:448
	ds_load_b128 v[137:140], v44 offset:464
	ds_load_2addr_b64 v[141:144], v40 offset0:128 offset1:160
	ds_load_2addr_b64 v[145:148], v40 offset0:192 offset1:224
	ds_load_b128 v[149:152], v44 offset:480
	ds_load_b128 v[153:156], v44 offset:496
	s_wait_loadcnt_dscnt 0x0
	s_barrier_signal -1
	s_barrier_wait -1
	global_inv scope:SCOPE_SE
	s_clause 0x3
	global_load_b128 v[157:160], v[157:158], off
	global_load_b128 v[161:164], v[161:162], off
	;; [unrolled: 1-line block ×4, first 2 shown]
	v_pk_fma_f16 v173, v74, v174, v173
	v_mul_u32_u24_e32 v174, 0x10001, v183
	v_mul_u32_u24_e32 v181, 0x10001, v181
	;; [unrolled: 1-line block ×4, first 2 shown]
	v_pk_fma_f16 v74, v74, v175, v176
	v_pk_fma_f16 v175, v75, v174, v177
	;; [unrolled: 1-line block ×4, first 2 shown]
	v_and_b32_e32 v174, 0xffff, v85
	v_lshrrev_b32_e32 v85, 16, v85
	v_and_b32_e32 v178, 0xffff, v86
	v_lshrrev_b32_e32 v86, 16, v86
	v_pk_fma_f16 v177, v75, v183, v179
	v_pk_fma_f16 v73, v75, v182, v73
	;; [unrolled: 1-line block ×3, first 2 shown]
	v_mul_u32_u24_e32 v174, 0x10001, v174
	v_mul_u32_u24_e32 v85, 0x10001, v85
	;; [unrolled: 1-line block ×4, first 2 shown]
	v_pk_fma_f16 v173, v76, v183, v173
	v_pk_fma_f16 v74, v76, v182, v74
	;; [unrolled: 1-line block ×7, first 2 shown]
	v_and_b32_e32 v77, 0xffff, v87
	v_lshrrev_b32_e32 v85, 16, v87
	v_and_b32_e32 v87, 0xffff, v88
	v_lshrrev_b32_e32 v88, 16, v88
	v_pk_fma_f16 v49, v78, v174, v49
	v_mul_u32_u24_e32 v77, 0x10001, v77
	v_mul_u32_u24_e32 v85, 0x10001, v85
	;; [unrolled: 1-line block ×4, first 2 shown]
	v_pk_fma_f16 v173, v78, v178, v173
	v_pk_fma_f16 v74, v78, v86, v74
	;; [unrolled: 1-line block ×7, first 2 shown]
	v_and_b32_e32 v77, 0xffff, v89
	v_lshrrev_b32_e32 v79, 16, v89
	v_pk_fma_f16 v75, v80, v85, v75
	v_and_b32_e32 v85, 0xffff, v90
	v_lshrrev_b32_e32 v89, 16, v90
	v_mul_u32_u24_e32 v77, 0x10001, v77
	v_mul_u32_u24_e32 v79, 0x10001, v79
	v_pk_fma_f16 v87, v80, v87, v173
	v_mul_u32_u24_e32 v85, 0x10001, v85
	v_mul_u32_u24_e32 v89, 0x10001, v89
	v_pk_fma_f16 v76, v81, v77, v76
	v_pk_fma_f16 v78, v81, v79, v78
	;; [unrolled: 1-line block ×4, first 2 shown]
	v_and_b32_e32 v77, 0xffff, v91
	v_lshrrev_b32_e32 v79, 16, v91
	v_pk_fma_f16 v74, v80, v88, v74
	v_pk_fma_f16 v80, v81, v85, v86
	;; [unrolled: 1-line block ×3, first 2 shown]
	v_mul_u32_u24_e32 v77, 0x10001, v77
	v_mul_u32_u24_e32 v79, 0x10001, v79
	v_and_b32_e32 v81, 0xffff, v92
	v_lshrrev_b32_e32 v86, 16, v92
	v_pk_fma_f16 v85, v82, v85, v87
	v_pk_fma_f16 v76, v83, v77, v76
	;; [unrolled: 1-line block ×5, first 2 shown]
	v_and_b32_e32 v77, 0xffff, v101
	v_lshrrev_b32_e32 v79, 16, v101
	v_mul_u32_u24_e32 v81, 0x10001, v81
	v_mul_u32_u24_e32 v86, 0x10001, v86
	v_pk_fma_f16 v74, v82, v89, v74
	v_mul_u32_u24_e32 v77, 0x10001, v77
	v_mul_u32_u24_e32 v79, 0x10001, v79
	v_pk_fma_f16 v80, v83, v81, v80
	v_pk_fma_f16 v73, v83, v86, v73
	v_and_b32_e32 v82, 0xffff, v102
	v_pk_fma_f16 v76, v93, v77, v76
	v_pk_fma_f16 v78, v93, v79, v78
	;; [unrolled: 1-line block ×4, first 2 shown]
	v_and_b32_e32 v77, 0xffff, v103
	v_lshrrev_b32_e32 v79, 16, v103
	v_lshrrev_b32_e32 v83, 16, v102
	v_pk_fma_f16 v81, v84, v81, v85
	v_mul_u32_u24_e32 v82, 0x10001, v82
	v_mul_u32_u24_e32 v77, 0x10001, v77
	;; [unrolled: 1-line block ×4, first 2 shown]
	v_pk_fma_f16 v74, v84, v86, v74
	v_and_b32_e32 v84, 0xffff, v104
	v_pk_fma_f16 v76, v95, v77, v76
	v_pk_fma_f16 v78, v95, v79, v78
	v_pk_fma_f16 v49, v96, v77, v49
	v_pk_fma_f16 v75, v96, v79, v75
	v_and_b32_e32 v77, 0xffff, v105
	v_lshrrev_b32_e32 v79, 16, v105
	v_lshrrev_b32_e32 v85, 16, v104
	v_pk_fma_f16 v80, v93, v82, v80
	v_pk_fma_f16 v73, v93, v83, v73
	v_mul_u32_u24_e32 v77, 0x10001, v77
	v_mul_u32_u24_e32 v79, 0x10001, v79
	v_pk_fma_f16 v81, v94, v82, v81
	v_mul_u32_u24_e32 v82, 0x10001, v84
	v_mul_u32_u24_e32 v84, 0x10001, v85
	v_pk_fma_f16 v76, v97, v77, v76
	v_pk_fma_f16 v78, v97, v79, v78
	v_pk_fma_f16 v49, v98, v77, v49
	v_pk_fma_f16 v75, v98, v79, v75
	v_and_b32_e32 v77, 0xffff, v107
	v_lshrrev_b32_e32 v79, 16, v107
	v_pk_fma_f16 v74, v94, v83, v74
	v_and_b32_e32 v83, 0xffff, v106
	v_lshrrev_b32_e32 v85, 16, v106
	v_mul_u32_u24_e32 v77, 0x10001, v77
	v_mul_u32_u24_e32 v79, 0x10001, v79
	v_pk_fma_f16 v80, v95, v82, v80
	v_pk_fma_f16 v73, v95, v84, v73
	;; [unrolled: 1-line block ×7, first 2 shown]
	v_and_b32_e32 v77, 0xffff, v117
	v_lshrrev_b32_e32 v79, 16, v117
	v_mul_u32_u24_e32 v82, 0x10001, v83
	v_mul_u32_u24_e32 v83, 0x10001, v85
	v_pk_fma_f16 v74, v96, v84, v74
	v_mul_u32_u24_e32 v77, 0x10001, v77
	v_mul_u32_u24_e32 v79, 0x10001, v79
	v_and_b32_e32 v84, 0xffff, v108
	v_lshrrev_b32_e32 v85, 16, v108
	v_pk_fma_f16 v80, v97, v82, v80
	v_pk_fma_f16 v76, v109, v77, v76
	;; [unrolled: 1-line block ×5, first 2 shown]
	v_and_b32_e32 v77, 0xffff, v119
	v_lshrrev_b32_e32 v79, 16, v119
	v_pk_fma_f16 v73, v97, v83, v73
	v_pk_fma_f16 v81, v98, v82, v81
	v_mul_u32_u24_e32 v82, 0x10001, v84
	v_mul_u32_u24_e32 v77, 0x10001, v77
	v_mul_u32_u24_e32 v79, 0x10001, v79
	v_mul_u32_u24_e32 v84, 0x10001, v85
	v_pk_fma_f16 v74, v98, v83, v74
	v_and_b32_e32 v83, 0xffff, v118
	v_pk_fma_f16 v76, v111, v77, v76
	v_pk_fma_f16 v78, v111, v79, v78
	;; [unrolled: 1-line block ×4, first 2 shown]
	v_and_b32_e32 v77, 0xffff, v121
	v_lshrrev_b32_e32 v79, 16, v121
	v_lshrrev_b32_e32 v85, 16, v118
	v_pk_fma_f16 v80, v99, v82, v80
	v_pk_fma_f16 v73, v99, v84, v73
	v_mul_u32_u24_e32 v77, 0x10001, v77
	v_mul_u32_u24_e32 v79, 0x10001, v79
	v_pk_fma_f16 v81, v100, v82, v81
	v_mul_u32_u24_e32 v82, 0x10001, v83
	v_mul_u32_u24_e32 v83, 0x10001, v85
	v_pk_fma_f16 v76, v113, v77, v76
	v_pk_fma_f16 v78, v113, v79, v78
	;; [unrolled: 1-line block ×4, first 2 shown]
	v_and_b32_e32 v77, 0xffff, v123
	v_lshrrev_b32_e32 v79, 16, v123
	v_pk_fma_f16 v74, v100, v84, v74
	v_and_b32_e32 v84, 0xffff, v120
	v_lshrrev_b32_e32 v85, 16, v120
	v_mul_u32_u24_e32 v77, 0x10001, v77
	v_mul_u32_u24_e32 v79, 0x10001, v79
	v_pk_fma_f16 v80, v109, v82, v80
	v_pk_fma_f16 v73, v109, v83, v73
	;; [unrolled: 1-line block ×7, first 2 shown]
	v_and_b32_e32 v77, 0xffff, v133
	v_lshrrev_b32_e32 v79, 16, v133
	v_mul_u32_u24_e32 v82, 0x10001, v84
	v_mul_u32_u24_e32 v84, 0x10001, v85
	v_pk_fma_f16 v74, v110, v83, v74
	v_mul_u32_u24_e32 v77, 0x10001, v77
	v_mul_u32_u24_e32 v79, 0x10001, v79
	v_and_b32_e32 v83, 0xffff, v122
	v_lshrrev_b32_e32 v85, 16, v122
	v_pk_fma_f16 v80, v111, v82, v80
	v_pk_fma_f16 v76, v125, v77, v76
	;; [unrolled: 1-line block ×5, first 2 shown]
	v_and_b32_e32 v77, 0xffff, v135
	v_lshrrev_b32_e32 v79, 16, v135
	v_pk_fma_f16 v73, v111, v84, v73
	v_pk_fma_f16 v81, v112, v82, v81
	v_mul_u32_u24_e32 v82, 0x10001, v83
	v_mul_u32_u24_e32 v77, 0x10001, v77
	;; [unrolled: 1-line block ×4, first 2 shown]
	v_pk_fma_f16 v74, v112, v84, v74
	v_and_b32_e32 v84, 0xffff, v124
	v_pk_fma_f16 v76, v127, v77, v76
	v_pk_fma_f16 v78, v127, v79, v78
	;; [unrolled: 1-line block ×4, first 2 shown]
	v_and_b32_e32 v77, 0xffff, v137
	v_lshrrev_b32_e32 v79, 16, v137
	v_lshrrev_b32_e32 v85, 16, v124
	v_pk_fma_f16 v80, v113, v82, v80
	v_pk_fma_f16 v73, v113, v83, v73
	v_mul_u32_u24_e32 v77, 0x10001, v77
	v_mul_u32_u24_e32 v79, 0x10001, v79
	v_pk_fma_f16 v81, v114, v82, v81
	v_mul_u32_u24_e32 v82, 0x10001, v84
	v_mul_u32_u24_e32 v84, 0x10001, v85
	v_pk_fma_f16 v74, v114, v83, v74
	v_and_b32_e32 v83, 0xffff, v134
	v_lshrrev_b32_e32 v85, 16, v134
	v_pk_fma_f16 v76, v129, v77, v76
	v_pk_fma_f16 v78, v129, v79, v78
	v_pk_fma_f16 v49, v130, v77, v49
	v_pk_fma_f16 v75, v130, v79, v75
	v_and_b32_e32 v77, 0xffff, v139
	v_lshrrev_b32_e32 v79, 16, v139
	v_pk_fma_f16 v80, v115, v82, v80
	v_pk_fma_f16 v73, v115, v84, v73
	v_pk_fma_f16 v81, v116, v82, v81
	v_mul_u32_u24_e32 v82, 0x10001, v83
	v_mul_u32_u24_e32 v83, 0x10001, v85
	v_pk_fma_f16 v74, v116, v84, v74
	v_and_b32_e32 v84, 0xffff, v136
	v_lshrrev_b32_e32 v85, 16, v136
	v_mul_u32_u24_e32 v77, 0x10001, v77
	v_mul_u32_u24_e32 v79, 0x10001, v79
	v_pk_fma_f16 v80, v125, v82, v80
	v_pk_fma_f16 v73, v125, v83, v73
	v_pk_fma_f16 v81, v126, v82, v81
	v_mul_u32_u24_e32 v82, 0x10001, v84
	v_mul_u32_u24_e32 v84, 0x10001, v85
	v_pk_fma_f16 v74, v126, v83, v74
	v_and_b32_e32 v83, 0xffff, v138
	v_lshrrev_b32_e32 v85, 16, v138
	v_pk_fma_f16 v76, v131, v77, v76
	v_pk_fma_f16 v78, v131, v79, v78
	v_pk_fma_f16 v49, v132, v77, v49
	v_pk_fma_f16 v75, v132, v79, v75
	v_and_b32_e32 v77, 0xffff, v149
	v_lshrrev_b32_e32 v79, 16, v149
	v_pk_fma_f16 v80, v127, v82, v80
	v_pk_fma_f16 v73, v127, v84, v73
	v_pk_fma_f16 v81, v128, v82, v81
	v_mul_u32_u24_e32 v82, 0x10001, v83
	v_mul_u32_u24_e32 v83, 0x10001, v85
	v_pk_fma_f16 v74, v128, v84, v74
	v_and_b32_e32 v84, 0xffff, v140
	v_lshrrev_b32_e32 v85, 16, v140
	v_mul_u32_u24_e32 v77, 0x10001, v77
	v_mul_u32_u24_e32 v79, 0x10001, v79
	v_pk_fma_f16 v80, v129, v82, v80
	v_pk_fma_f16 v73, v129, v83, v73
	;; [unrolled: 24-line block ×3, first 2 shown]
	v_pk_fma_f16 v81, v142, v82, v81
	v_mul_u32_u24_e32 v82, 0x10001, v84
	v_mul_u32_u24_e32 v84, 0x10001, v85
	v_pk_fma_f16 v74, v142, v83, v74
	v_pk_fma_f16 v76, v143, v77, v76
	;; [unrolled: 1-line block ×5, first 2 shown]
	v_and_b32_e32 v77, 0xffff, v153
	v_lshrrev_b32_e32 v79, 16, v153
	v_and_b32_e32 v83, 0xffff, v154
	v_lshrrev_b32_e32 v85, 16, v154
	v_pk_fma_f16 v80, v143, v82, v80
	v_pk_fma_f16 v73, v143, v84, v73
	;; [unrolled: 1-line block ×3, first 2 shown]
	v_mul_u32_u24_e32 v77, 0x10001, v77
	v_mul_u32_u24_e32 v79, 0x10001, v79
	;; [unrolled: 1-line block ×4, first 2 shown]
	v_pk_fma_f16 v84, v144, v84, v74
	v_pk_fma_f16 v85, v145, v77, v76
	;; [unrolled: 1-line block ×3, first 2 shown]
	s_wait_loadcnt 0x3
	ds_store_b128 v64, v[157:160]
	s_wait_loadcnt 0x2
	ds_store_b128 v67, v[161:164]
	;; [unrolled: 2-line block ×4, first 2 shown]
	v_pk_fma_f16 v88, v145, v83, v73
	s_wait_dscnt 0x0
	s_barrier_signal -1
	s_barrier_wait -1
	global_inv scope:SCOPE_SE
	ds_load_b128 v[73:76], v44 offset:512
	v_pk_fma_f16 v86, v145, v79, v78
	v_pk_fma_f16 v87, v145, v82, v80
	;; [unrolled: 1-line block ×3, first 2 shown]
	v_and_b32_e32 v77, 0xffff, v155
	v_lshrrev_b32_e32 v78, 16, v155
	v_and_b32_e32 v79, 0xffff, v156
	v_lshrrev_b32_e32 v80, 16, v156
	v_pk_fma_f16 v81, v146, v82, v81
	v_pk_fma_f16 v90, v146, v83, v84
	v_mul_u32_u24_e32 v82, 0x10001, v77
	v_mul_u32_u24_e32 v83, 0x10001, v78
	;; [unrolled: 1-line block ×4, first 2 shown]
	ds_load_2addr_b64 v[77:80], v36 offset1:32
	v_pk_fma_f16 v93, v147, v82, v85
	v_pk_fma_f16 v94, v147, v83, v86
	;; [unrolled: 1-line block ×6, first 2 shown]
	ds_load_b128 v[81:84], v44 offset:528
	s_wait_dscnt 0x2
	v_and_b32_e32 v85, 0xffff, v73
	v_lshrrev_b32_e32 v73, 16, v73
	v_and_b32_e32 v86, 0xffff, v74
	v_lshrrev_b32_e32 v74, 16, v74
	v_pk_fma_f16 v96, v147, v91, v88
	v_mul_u32_u24_e32 v100, 0x10001, v85
	v_mul_u32_u24_e32 v73, 0x10001, v73
	v_mul_u32_u24_e32 v101, 0x10001, v86
	v_mul_u32_u24_e32 v102, 0x10001, v74
	v_lshrrev_b32_e32 v74, 16, v75
	v_pk_fma_f16 v99, v148, v91, v90
	ds_load_b128 v[85:88], v44 offset:544
	ds_load_b128 v[89:92], v44 offset:560
	s_wait_dscnt 0x3
	v_pk_fma_f16 v93, v77, v100, v93
	v_pk_fma_f16 v94, v77, v73, v94
	v_pk_fma_f16 v95, v77, v101, v95
	v_pk_fma_f16 v77, v77, v102, v96
	v_pk_fma_f16 v96, v78, v73, v97
	v_and_b32_e32 v73, 0xffff, v75
	v_pk_fma_f16 v49, v78, v100, v49
	v_pk_fma_f16 v97, v78, v101, v98
	v_and_b32_e32 v98, 0xffff, v76
	v_lshrrev_b32_e32 v100, 16, v76
	v_mul_u32_u24_e32 v101, 0x10001, v73
	v_mul_u32_u24_e32 v103, 0x10001, v74
	ds_load_2addr_b64 v[73:76], v36 offset0:64 offset1:96
	v_mul_u32_u24_e32 v98, 0x10001, v98
	v_mul_u32_u24_e32 v100, 0x10001, v100
	v_pk_fma_f16 v78, v78, v102, v99
	v_pk_fma_f16 v93, v79, v101, v93
	;; [unrolled: 1-line block ×6, first 2 shown]
	s_wait_dscnt 0x3
	v_and_b32_e32 v96, 0xffff, v81
	v_lshrrev_b32_e32 v81, 16, v81
	v_and_b32_e32 v99, 0xffff, v82
	v_lshrrev_b32_e32 v82, 16, v82
	v_pk_fma_f16 v97, v80, v98, v97
	v_mul_u32_u24_e32 v96, 0x10001, v96
	v_mul_u32_u24_e32 v81, 0x10001, v81
	;; [unrolled: 1-line block ×4, first 2 shown]
	v_pk_fma_f16 v49, v80, v101, v49
	v_pk_fma_f16 v99, v80, v100, v78
	s_wait_dscnt 0x0
	v_pk_fma_f16 v93, v73, v96, v93
	v_pk_fma_f16 v94, v73, v81, v94
	;; [unrolled: 1-line block ×4, first 2 shown]
	v_and_b32_e32 v77, 0xffff, v83
	v_lshrrev_b32_e32 v78, 16, v83
	v_pk_fma_f16 v49, v74, v96, v49
	v_pk_fma_f16 v81, v74, v81, v79
	;; [unrolled: 1-line block ×3, first 2 shown]
	v_and_b32_e32 v96, 0xffff, v84
	v_lshrrev_b32_e32 v84, 16, v84
	v_mul_u32_u24_e32 v97, 0x10001, v77
	v_mul_u32_u24_e32 v98, 0x10001, v78
	ds_load_2addr_b64 v[77:80], v36 offset0:128 offset1:160
	v_mul_u32_u24_e32 v96, 0x10001, v96
	v_mul_u32_u24_e32 v84, 0x10001, v84
	v_pk_fma_f16 v74, v74, v82, v99
	v_pk_fma_f16 v82, v75, v97, v93
	;; [unrolled: 1-line block ×6, first 2 shown]
	v_and_b32_e32 v81, 0xffff, v85
	v_lshrrev_b32_e32 v85, 16, v85
	v_and_b32_e32 v95, 0xffff, v86
	v_lshrrev_b32_e32 v86, 16, v86
	v_pk_fma_f16 v49, v76, v97, v49
	v_mul_u32_u24_e32 v81, 0x10001, v81
	v_mul_u32_u24_e32 v85, 0x10001, v85
	;; [unrolled: 1-line block ×4, first 2 shown]
	v_pk_fma_f16 v83, v76, v96, v83
	v_pk_fma_f16 v84, v76, v84, v74
	s_wait_dscnt 0x0
	v_pk_fma_f16 v82, v77, v81, v82
	v_pk_fma_f16 v93, v77, v85, v93
	;; [unrolled: 1-line block ×4, first 2 shown]
	v_and_b32_e32 v73, 0xffff, v87
	v_lshrrev_b32_e32 v74, 16, v87
	v_pk_fma_f16 v49, v78, v81, v49
	v_pk_fma_f16 v81, v78, v85, v75
	;; [unrolled: 1-line block ×3, first 2 shown]
	v_and_b32_e32 v85, 0xffff, v88
	v_lshrrev_b32_e32 v87, 16, v88
	v_mul_u32_u24_e32 v88, 0x10001, v73
	v_mul_u32_u24_e32 v95, 0x10001, v74
	ds_load_2addr_b64 v[73:76], v36 offset0:192 offset1:224
	v_mul_u32_u24_e32 v85, 0x10001, v85
	v_mul_u32_u24_e32 v87, 0x10001, v87
	v_pk_fma_f16 v78, v78, v86, v84
	v_pk_fma_f16 v82, v79, v88, v82
	;; [unrolled: 1-line block ×6, first 2 shown]
	v_and_b32_e32 v79, 0xffff, v89
	v_lshrrev_b32_e32 v88, 16, v89
	v_and_b32_e32 v89, 0xffff, v90
	v_lshrrev_b32_e32 v90, 16, v90
	v_pk_fma_f16 v83, v80, v85, v83
	v_mul_u32_u24_e32 v79, 0x10001, v79
	v_mul_u32_u24_e32 v85, 0x10001, v88
	;; [unrolled: 1-line block ×4, first 2 shown]
	v_pk_fma_f16 v81, v80, v95, v81
	v_pk_fma_f16 v87, v80, v87, v78
	s_wait_dscnt 0x0
	v_pk_fma_f16 v90, v73, v79, v82
	v_pk_fma_f16 v93, v73, v85, v84
	;; [unrolled: 1-line block ×5, first 2 shown]
	ds_load_b128 v[77:80], v44 offset:576
	v_pk_fma_f16 v85, v74, v85, v81
	v_and_b32_e32 v81, 0xffff, v91
	v_lshrrev_b32_e32 v82, 16, v91
	v_and_b32_e32 v84, 0xffff, v92
	v_pk_fma_f16 v91, v74, v88, v83
	v_lshrrev_b32_e32 v88, 16, v92
	v_mul_u32_u24_e32 v92, 0x10001, v81
	v_mul_u32_u24_e32 v94, 0x10001, v82
	;; [unrolled: 1-line block ×3, first 2 shown]
	ds_load_2addr_b64 v[81:84], v42 offset1:32
	v_mul_u32_u24_e32 v96, 0x10001, v88
	v_pk_fma_f16 v74, v74, v89, v87
	v_pk_fma_f16 v89, v75, v92, v90
	;; [unrolled: 1-line block ×7, first 2 shown]
	ds_load_b128 v[85:88], v44 offset:592
	s_wait_dscnt 0x2
	v_and_b32_e32 v92, 0xffff, v77
	v_lshrrev_b32_e32 v77, 16, v77
	v_and_b32_e32 v94, 0xffff, v78
	v_lshrrev_b32_e32 v78, 16, v78
	v_pk_fma_f16 v91, v76, v95, v91
	v_mul_u32_u24_e32 v92, 0x10001, v92
	v_mul_u32_u24_e32 v77, 0x10001, v77
	v_mul_u32_u24_e32 v94, 0x10001, v94
	v_mul_u32_u24_e32 v78, 0x10001, v78
	v_pk_fma_f16 v95, v76, v96, v74
	s_wait_dscnt 0x1
	v_pk_fma_f16 v89, v81, v92, v89
	v_pk_fma_f16 v90, v81, v77, v90
	;; [unrolled: 1-line block ×4, first 2 shown]
	v_and_b32_e32 v73, 0xffff, v79
	v_lshrrev_b32_e32 v74, 16, v79
	v_pk_fma_f16 v49, v82, v92, v49
	v_pk_fma_f16 v77, v82, v77, v75
	;; [unrolled: 1-line block ×3, first 2 shown]
	v_and_b32_e32 v91, 0xffff, v80
	v_lshrrev_b32_e32 v80, 16, v80
	v_mul_u32_u24_e32 v92, 0x10001, v73
	v_mul_u32_u24_e32 v94, 0x10001, v74
	ds_load_2addr_b64 v[73:76], v42 offset0:64 offset1:96
	v_mul_u32_u24_e32 v91, 0x10001, v91
	v_mul_u32_u24_e32 v80, 0x10001, v80
	v_pk_fma_f16 v78, v82, v78, v95
	v_pk_fma_f16 v82, v83, v92, v89
	v_pk_fma_f16 v89, v83, v94, v90
	v_pk_fma_f16 v90, v83, v91, v93
	v_pk_fma_f16 v81, v83, v80, v81
	v_pk_fma_f16 v83, v84, v94, v77
	s_wait_dscnt 0x1
	v_and_b32_e32 v77, 0xffff, v85
	v_pk_fma_f16 v49, v84, v92, v49
	v_lshrrev_b32_e32 v85, 16, v85
	v_and_b32_e32 v92, 0xffff, v86
	v_lshrrev_b32_e32 v86, 16, v86
	v_mul_u32_u24_e32 v77, 0x10001, v77
	v_pk_fma_f16 v91, v84, v91, v79
	v_mul_u32_u24_e32 v85, 0x10001, v85
	v_mul_u32_u24_e32 v92, 0x10001, v92
	;; [unrolled: 1-line block ×3, first 2 shown]
	v_pk_fma_f16 v93, v84, v80, v78
	s_wait_dscnt 0x0
	v_pk_fma_f16 v94, v73, v77, v82
	v_pk_fma_f16 v49, v74, v77, v49
	ds_load_b128 v[77:80], v44 offset:608
	v_pk_fma_f16 v89, v73, v85, v89
	v_pk_fma_f16 v90, v73, v92, v90
	;; [unrolled: 1-line block ×4, first 2 shown]
	v_and_b32_e32 v81, 0xffff, v87
	v_lshrrev_b32_e32 v82, 16, v87
	v_and_b32_e32 v83, 0xffff, v88
	v_pk_fma_f16 v91, v74, v92, v91
	v_lshrrev_b32_e32 v87, 16, v88
	v_mul_u32_u24_e32 v88, 0x10001, v81
	v_mul_u32_u24_e32 v92, 0x10001, v82
	;; [unrolled: 1-line block ×3, first 2 shown]
	ds_load_2addr_b64 v[81:84], v42 offset0:128 offset1:160
	v_mul_u32_u24_e32 v96, 0x10001, v87
	v_pk_fma_f16 v74, v74, v86, v93
	v_pk_fma_f16 v93, v75, v88, v94
	;; [unrolled: 1-line block ×7, first 2 shown]
	ds_load_b128 v[85:88], v44 offset:624
	s_wait_dscnt 0x2
	v_and_b32_e32 v92, 0xffff, v77
	v_lshrrev_b32_e32 v77, 16, v77
	v_and_b32_e32 v94, 0xffff, v78
	v_lshrrev_b32_e32 v78, 16, v78
	v_pk_fma_f16 v91, v76, v95, v91
	v_mul_u32_u24_e32 v92, 0x10001, v92
	v_mul_u32_u24_e32 v77, 0x10001, v77
	;; [unrolled: 1-line block ×4, first 2 shown]
	v_pk_fma_f16 v95, v76, v96, v74
	s_wait_dscnt 0x1
	v_pk_fma_f16 v93, v81, v92, v93
	v_pk_fma_f16 v89, v81, v77, v89
	;; [unrolled: 1-line block ×4, first 2 shown]
	v_and_b32_e32 v73, 0xffff, v79
	v_lshrrev_b32_e32 v74, 16, v79
	v_pk_fma_f16 v49, v82, v92, v49
	v_pk_fma_f16 v77, v82, v77, v75
	;; [unrolled: 1-line block ×3, first 2 shown]
	v_and_b32_e32 v91, 0xffff, v80
	v_lshrrev_b32_e32 v80, 16, v80
	v_mul_u32_u24_e32 v92, 0x10001, v73
	v_mul_u32_u24_e32 v94, 0x10001, v74
	ds_load_2addr_b64 v[73:76], v42 offset0:192 offset1:224
	v_mul_u32_u24_e32 v42, 0x10001, v91
	v_mul_u32_u24_e32 v80, 0x10001, v80
	v_pk_fma_f16 v78, v82, v78, v95
	v_pk_fma_f16 v82, v83, v92, v93
	;; [unrolled: 1-line block ×6, first 2 shown]
	s_wait_dscnt 0x1
	v_and_b32_e32 v77, 0xffff, v85
	v_pk_fma_f16 v49, v84, v92, v49
	v_lshrrev_b32_e32 v85, 16, v85
	v_and_b32_e32 v91, 0xffff, v86
	v_lshrrev_b32_e32 v86, 16, v86
	v_mul_u32_u24_e32 v77, 0x10001, v77
	v_pk_fma_f16 v42, v84, v42, v79
	v_mul_u32_u24_e32 v85, 0x10001, v85
	v_mul_u32_u24_e32 v91, 0x10001, v91
	;; [unrolled: 1-line block ×3, first 2 shown]
	v_pk_fma_f16 v92, v84, v80, v78
	s_wait_dscnt 0x0
	v_pk_fma_f16 v93, v73, v77, v82
	v_pk_fma_f16 v49, v74, v77, v49
	ds_load_b128 v[77:80], v44 offset:640
	v_pk_fma_f16 v89, v73, v85, v89
	v_pk_fma_f16 v90, v73, v91, v90
	v_pk_fma_f16 v73, v73, v86, v81
	v_pk_fma_f16 v85, v74, v85, v83
	v_and_b32_e32 v81, 0xffff, v87
	v_lshrrev_b32_e32 v82, 16, v87
	v_and_b32_e32 v83, 0xffff, v88
	v_pk_fma_f16 v42, v74, v91, v42
	v_lshrrev_b32_e32 v87, 16, v88
	v_mul_u32_u24_e32 v88, 0x10001, v81
	v_mul_u32_u24_e32 v91, 0x10001, v82
	;; [unrolled: 1-line block ×3, first 2 shown]
	ds_load_2addr_b64 v[81:84], v43 offset1:32
	v_mul_u32_u24_e32 v95, 0x10001, v87
	v_pk_fma_f16 v74, v74, v86, v92
	v_pk_fma_f16 v92, v75, v88, v93
	;; [unrolled: 1-line block ×7, first 2 shown]
	ds_load_b128 v[85:88], v44 offset:656
	s_wait_dscnt 0x2
	v_and_b32_e32 v91, 0xffff, v77
	v_lshrrev_b32_e32 v77, 16, v77
	v_and_b32_e32 v93, 0xffff, v78
	v_lshrrev_b32_e32 v78, 16, v78
	v_pk_fma_f16 v42, v76, v94, v42
	v_mul_u32_u24_e32 v91, 0x10001, v91
	v_mul_u32_u24_e32 v77, 0x10001, v77
	;; [unrolled: 1-line block ×4, first 2 shown]
	v_pk_fma_f16 v94, v76, v95, v74
	s_wait_dscnt 0x1
	v_pk_fma_f16 v92, v81, v91, v92
	v_pk_fma_f16 v89, v81, v77, v89
	;; [unrolled: 1-line block ×4, first 2 shown]
	v_and_b32_e32 v73, 0xffff, v79
	v_lshrrev_b32_e32 v74, 16, v79
	v_pk_fma_f16 v49, v82, v91, v49
	v_pk_fma_f16 v77, v82, v77, v75
	;; [unrolled: 1-line block ×3, first 2 shown]
	v_and_b32_e32 v79, 0xffff, v80
	v_lshrrev_b32_e32 v80, 16, v80
	v_mul_u32_u24_e32 v91, 0x10001, v73
	v_mul_u32_u24_e32 v93, 0x10001, v74
	ds_load_2addr_b64 v[73:76], v43 offset0:64 offset1:96
	v_mul_u32_u24_e32 v79, 0x10001, v79
	v_mul_u32_u24_e32 v80, 0x10001, v80
	v_pk_fma_f16 v78, v82, v78, v94
	v_pk_fma_f16 v82, v83, v91, v92
	v_pk_fma_f16 v89, v83, v93, v89
	v_pk_fma_f16 v90, v83, v79, v90
	v_pk_fma_f16 v81, v83, v80, v81
	v_pk_fma_f16 v83, v84, v93, v77
	s_wait_dscnt 0x1
	v_and_b32_e32 v77, 0xffff, v85
	v_pk_fma_f16 v49, v84, v91, v49
	v_lshrrev_b32_e32 v85, 16, v85
	v_and_b32_e32 v91, 0xffff, v86
	v_lshrrev_b32_e32 v86, 16, v86
	v_mul_u32_u24_e32 v77, 0x10001, v77
	v_pk_fma_f16 v42, v84, v79, v42
	v_mul_u32_u24_e32 v85, 0x10001, v85
	v_mul_u32_u24_e32 v91, 0x10001, v91
	;; [unrolled: 1-line block ×3, first 2 shown]
	v_pk_fma_f16 v92, v84, v80, v78
	s_wait_dscnt 0x0
	v_pk_fma_f16 v93, v73, v77, v82
	v_pk_fma_f16 v49, v74, v77, v49
	ds_load_b128 v[77:80], v44 offset:672
	v_pk_fma_f16 v89, v73, v85, v89
	v_pk_fma_f16 v90, v73, v91, v90
	;; [unrolled: 1-line block ×4, first 2 shown]
	v_and_b32_e32 v81, 0xffff, v87
	v_lshrrev_b32_e32 v82, 16, v87
	v_and_b32_e32 v83, 0xffff, v88
	v_pk_fma_f16 v42, v74, v91, v42
	v_lshrrev_b32_e32 v87, 16, v88
	v_mul_u32_u24_e32 v88, 0x10001, v81
	v_mul_u32_u24_e32 v91, 0x10001, v82
	v_mul_u32_u24_e32 v94, 0x10001, v83
	ds_load_2addr_b64 v[81:84], v43 offset0:128 offset1:160
	v_mul_u32_u24_e32 v95, 0x10001, v87
	v_pk_fma_f16 v74, v74, v86, v92
	v_pk_fma_f16 v92, v75, v88, v93
	;; [unrolled: 1-line block ×7, first 2 shown]
	ds_load_b128 v[85:88], v44 offset:688
	s_wait_dscnt 0x2
	v_and_b32_e32 v91, 0xffff, v77
	v_lshrrev_b32_e32 v77, 16, v77
	v_and_b32_e32 v93, 0xffff, v78
	v_lshrrev_b32_e32 v78, 16, v78
	v_pk_fma_f16 v42, v76, v94, v42
	v_mul_u32_u24_e32 v91, 0x10001, v91
	v_mul_u32_u24_e32 v77, 0x10001, v77
	;; [unrolled: 1-line block ×4, first 2 shown]
	v_pk_fma_f16 v94, v76, v95, v74
	s_wait_dscnt 0x1
	v_pk_fma_f16 v92, v81, v91, v92
	v_pk_fma_f16 v89, v81, v77, v89
	;; [unrolled: 1-line block ×4, first 2 shown]
	v_and_b32_e32 v73, 0xffff, v79
	v_lshrrev_b32_e32 v74, 16, v79
	v_pk_fma_f16 v49, v82, v91, v49
	v_pk_fma_f16 v77, v82, v77, v75
	;; [unrolled: 1-line block ×3, first 2 shown]
	v_and_b32_e32 v79, 0xffff, v80
	v_lshrrev_b32_e32 v80, 16, v80
	v_mul_u32_u24_e32 v91, 0x10001, v73
	v_mul_u32_u24_e32 v93, 0x10001, v74
	ds_load_2addr_b64 v[73:76], v43 offset0:192 offset1:224
	v_mul_u32_u24_e32 v43, 0x10001, v79
	v_mul_u32_u24_e32 v79, 0x10001, v80
	v_pk_fma_f16 v78, v82, v78, v94
	v_pk_fma_f16 v80, v83, v91, v92
	;; [unrolled: 1-line block ×6, first 2 shown]
	s_wait_dscnt 0x1
	v_and_b32_e32 v77, 0xffff, v85
	v_lshrrev_b32_e32 v85, 16, v85
	v_and_b32_e32 v90, 0xffff, v86
	v_lshrrev_b32_e32 v86, 16, v86
	v_pk_fma_f16 v42, v84, v43, v42
	v_mul_u32_u24_e32 v43, 0x10001, v77
	v_pk_fma_f16 v49, v84, v91, v49
	v_mul_u32_u24_e32 v85, 0x10001, v85
	v_mul_u32_u24_e32 v90, 0x10001, v90
	;; [unrolled: 1-line block ×3, first 2 shown]
	v_pk_fma_f16 v91, v84, v79, v78
	s_wait_dscnt 0x0
	v_pk_fma_f16 v92, v73, v43, v80
	ds_load_b128 v[77:80], v44 offset:704
	v_pk_fma_f16 v93, v73, v85, v82
	v_pk_fma_f16 v89, v73, v90, v89
	;; [unrolled: 1-line block ×5, first 2 shown]
	v_and_b32_e32 v81, 0xffff, v87
	v_lshrrev_b32_e32 v82, 16, v87
	v_and_b32_e32 v83, 0xffff, v88
	v_pk_fma_f16 v42, v74, v90, v42
	v_lshrrev_b32_e32 v85, 16, v88
	v_mul_u32_u24_e32 v87, 0x10001, v81
	v_mul_u32_u24_e32 v88, 0x10001, v82
	;; [unrolled: 1-line block ×3, first 2 shown]
	ds_load_2addr_b64 v[81:84], v45 offset1:32
	v_mul_u32_u24_e32 v94, 0x10001, v85
	v_pk_fma_f16 v74, v74, v86, v91
	v_pk_fma_f16 v91, v75, v87, v92
	;; [unrolled: 1-line block ×7, first 2 shown]
	ds_load_b128 v[85:88], v44 offset:720
	s_wait_dscnt 0x2
	v_and_b32_e32 v75, 0xffff, v77
	v_lshrrev_b32_e32 v77, 16, v77
	v_and_b32_e32 v93, 0xffff, v78
	v_lshrrev_b32_e32 v78, 16, v78
	v_pk_fma_f16 v42, v76, v90, v42
	v_mul_u32_u24_e32 v75, 0x10001, v75
	v_mul_u32_u24_e32 v77, 0x10001, v77
	;; [unrolled: 1-line block ×4, first 2 shown]
	v_pk_fma_f16 v93, v76, v94, v74
	s_wait_dscnt 0x1
	v_pk_fma_f16 v91, v81, v75, v91
	v_pk_fma_f16 v92, v81, v77, v92
	;; [unrolled: 1-line block ×4, first 2 shown]
	v_and_b32_e32 v73, 0xffff, v79
	v_lshrrev_b32_e32 v74, 16, v79
	v_pk_fma_f16 v43, v82, v75, v43
	v_pk_fma_f16 v49, v82, v77, v49
	;; [unrolled: 1-line block ×3, first 2 shown]
	v_and_b32_e32 v77, 0xffff, v80
	v_lshrrev_b32_e32 v79, 16, v80
	v_mul_u32_u24_e32 v80, 0x10001, v73
	v_mul_u32_u24_e32 v90, 0x10001, v74
	ds_load_2addr_b64 v[73:76], v45 offset0:64 offset1:96
	v_mul_u32_u24_e32 v77, 0x10001, v77
	v_mul_u32_u24_e32 v79, 0x10001, v79
	v_pk_fma_f16 v78, v82, v78, v93
	v_pk_fma_f16 v82, v83, v80, v91
	;; [unrolled: 1-line block ×3, first 2 shown]
	s_wait_dscnt 0x1
	v_and_b32_e32 v80, 0xffff, v85
	v_pk_fma_f16 v91, v83, v90, v92
	v_pk_fma_f16 v89, v83, v77, v89
	;; [unrolled: 1-line block ×3, first 2 shown]
	v_lshrrev_b32_e32 v83, 16, v85
	v_and_b32_e32 v85, 0xffff, v86
	v_lshrrev_b32_e32 v86, 16, v86
	v_pk_fma_f16 v42, v84, v77, v42
	v_mul_u32_u24_e32 v77, 0x10001, v80
	v_pk_fma_f16 v49, v84, v90, v49
	v_mul_u32_u24_e32 v83, 0x10001, v83
	v_mul_u32_u24_e32 v85, 0x10001, v85
	;; [unrolled: 1-line block ×3, first 2 shown]
	v_pk_fma_f16 v90, v84, v79, v78
	s_wait_dscnt 0x0
	v_pk_fma_f16 v92, v73, v77, v82
	v_pk_fma_f16 v43, v74, v77, v43
	ds_load_b128 v[77:80], v44 offset:736
	v_pk_fma_f16 v91, v73, v83, v91
	v_pk_fma_f16 v89, v73, v85, v89
	;; [unrolled: 1-line block ×4, first 2 shown]
	v_and_b32_e32 v81, 0xffff, v87
	v_lshrrev_b32_e32 v82, 16, v87
	v_and_b32_e32 v83, 0xffff, v88
	v_pk_fma_f16 v42, v74, v85, v42
	v_lshrrev_b32_e32 v85, 16, v88
	v_mul_u32_u24_e32 v87, 0x10001, v81
	v_mul_u32_u24_e32 v88, 0x10001, v82
	;; [unrolled: 1-line block ×3, first 2 shown]
	ds_load_2addr_b64 v[81:84], v45 offset0:128 offset1:160
	v_mul_u32_u24_e32 v94, 0x10001, v85
	v_pk_fma_f16 v74, v74, v86, v90
	v_pk_fma_f16 v90, v75, v87, v92
	;; [unrolled: 1-line block ×7, first 2 shown]
	ds_load_b128 v[85:88], v44 offset:752
	s_wait_dscnt 0x2
	v_and_b32_e32 v75, 0xffff, v77
	v_lshrrev_b32_e32 v77, 16, v77
	v_and_b32_e32 v92, 0xffff, v78
	v_lshrrev_b32_e32 v78, 16, v78
	v_pk_fma_f16 v42, v76, v93, v42
	v_mul_u32_u24_e32 v75, 0x10001, v75
	v_mul_u32_u24_e32 v77, 0x10001, v77
	;; [unrolled: 1-line block ×4, first 2 shown]
	v_pk_fma_f16 v93, v76, v94, v74
	s_wait_dscnt 0x1
	v_pk_fma_f16 v90, v81, v75, v90
	v_pk_fma_f16 v91, v81, v77, v91
	v_pk_fma_f16 v89, v81, v92, v89
	v_pk_fma_f16 v81, v81, v78, v73
	v_and_b32_e32 v73, 0xffff, v79
	v_lshrrev_b32_e32 v74, 16, v79
	v_pk_fma_f16 v43, v82, v75, v43
	v_pk_fma_f16 v49, v82, v77, v49
	;; [unrolled: 1-line block ×3, first 2 shown]
	v_and_b32_e32 v77, 0xffff, v80
	v_lshrrev_b32_e32 v79, 16, v80
	v_mul_u32_u24_e32 v80, 0x10001, v73
	v_mul_u32_u24_e32 v92, 0x10001, v74
	ds_load_2addr_b64 v[73:76], v45 offset0:192 offset1:224
	v_mul_u32_u24_e32 v45, 0x10001, v77
	v_mul_u32_u24_e32 v77, 0x10001, v79
	v_pk_fma_f16 v79, v83, v80, v90
	v_pk_fma_f16 v43, v84, v80, v43
	s_wait_dscnt 0x1
	v_and_b32_e32 v80, 0xffff, v85
	v_pk_fma_f16 v78, v82, v78, v93
	v_pk_fma_f16 v82, v83, v92, v91
	;; [unrolled: 1-line block ×4, first 2 shown]
	v_lshrrev_b32_e32 v83, 16, v85
	v_and_b32_e32 v85, 0xffff, v86
	v_lshrrev_b32_e32 v86, 16, v86
	v_pk_fma_f16 v42, v84, v45, v42
	v_mul_u32_u24_e32 v45, 0x10001, v80
	v_mul_u32_u24_e32 v83, 0x10001, v83
	v_mul_u32_u24_e32 v85, 0x10001, v85
	v_mul_u32_u24_e32 v86, 0x10001, v86
	v_pk_fma_f16 v90, v84, v77, v78
	v_pk_fma_f16 v49, v84, v92, v49
	s_wait_dscnt 0x0
	v_pk_fma_f16 v91, v73, v45, v79
	ds_load_b128 v[77:80], v44 offset:768
	v_pk_fma_f16 v92, v73, v83, v82
	v_pk_fma_f16 v89, v73, v85, v89
	;; [unrolled: 1-line block ×3, first 2 shown]
	v_lshrrev_b32_e32 v81, 16, v87
	v_and_b32_e32 v82, 0xffff, v88
	v_pk_fma_f16 v43, v74, v45, v43
	v_pk_fma_f16 v45, v74, v83, v49
	v_and_b32_e32 v49, 0xffff, v87
	v_pk_fma_f16 v42, v74, v85, v42
	v_lshrrev_b32_e32 v85, 16, v88
	v_mul_u32_u24_e32 v87, 0x10001, v81
	v_mul_u32_u24_e32 v93, 0x10001, v82
	ds_load_2addr_b64 v[81:84], v46 offset1:32
	v_mul_u32_u24_e32 v49, 0x10001, v49
	v_mul_u32_u24_e32 v94, 0x10001, v85
	v_pk_fma_f16 v74, v74, v86, v90
	v_pk_fma_f16 v89, v75, v93, v89
	v_pk_fma_f16 v45, v76, v87, v45
	v_pk_fma_f16 v90, v75, v49, v91
	v_pk_fma_f16 v91, v75, v87, v92
	v_pk_fma_f16 v73, v75, v94, v73
	v_pk_fma_f16 v43, v76, v49, v43
	ds_load_b128 v[85:88], v44 offset:784
	s_wait_dscnt 0x2
	v_and_b32_e32 v49, 0xffff, v77
	v_lshrrev_b32_e32 v75, 16, v77
	v_and_b32_e32 v77, 0xffff, v78
	v_lshrrev_b32_e32 v78, 16, v78
	v_pk_fma_f16 v42, v76, v93, v42
	v_mul_u32_u24_e32 v49, 0x10001, v49
	v_mul_u32_u24_e32 v75, 0x10001, v75
	;; [unrolled: 1-line block ×4, first 2 shown]
	v_pk_fma_f16 v92, v76, v94, v74
	s_wait_dscnt 0x1
	v_pk_fma_f16 v90, v81, v49, v90
	v_pk_fma_f16 v91, v81, v75, v91
	;; [unrolled: 1-line block ×4, first 2 shown]
	v_lshrrev_b32_e32 v73, 16, v79
	v_pk_fma_f16 v43, v82, v49, v43
	v_pk_fma_f16 v45, v82, v75, v45
	v_and_b32_e32 v49, 0xffff, v79
	v_pk_fma_f16 v42, v82, v77, v42
	v_and_b32_e32 v77, 0xffff, v80
	v_lshrrev_b32_e32 v79, 16, v80
	v_mul_u32_u24_e32 v80, 0x10001, v73
	ds_load_2addr_b64 v[73:76], v46 offset0:64 offset1:96
	v_mul_u32_u24_e32 v49, 0x10001, v49
	v_mul_u32_u24_e32 v77, 0x10001, v77
	v_mul_u32_u24_e32 v79, 0x10001, v79
	v_pk_fma_f16 v78, v82, v78, v92
	v_pk_fma_f16 v45, v84, v80, v45
	;; [unrolled: 1-line block ×7, first 2 shown]
	s_wait_dscnt 0x1
	v_and_b32_e32 v49, 0xffff, v85
	v_lshrrev_b32_e32 v80, 16, v85
	v_and_b32_e32 v83, 0xffff, v86
	v_lshrrev_b32_e32 v85, 16, v86
	v_pk_fma_f16 v42, v84, v77, v42
	v_mul_u32_u24_e32 v49, 0x10001, v49
	v_mul_u32_u24_e32 v86, 0x10001, v80
	;; [unrolled: 1-line block ×4, first 2 shown]
	v_pk_fma_f16 v91, v84, v79, v78
	ds_load_b128 v[77:80], v44 offset:800
	s_wait_dscnt 0x1
	v_pk_fma_f16 v92, v73, v49, v82
	v_pk_fma_f16 v90, v73, v86, v90
	v_pk_fma_f16 v89, v73, v83, v89
	v_pk_fma_f16 v73, v73, v85, v81
	v_lshrrev_b32_e32 v81, 16, v87
	v_and_b32_e32 v82, 0xffff, v88
	v_pk_fma_f16 v43, v74, v49, v43
	v_pk_fma_f16 v45, v74, v86, v45
	v_and_b32_e32 v49, 0xffff, v87
	v_pk_fma_f16 v42, v74, v83, v42
	v_lshrrev_b32_e32 v86, 16, v88
	v_mul_u32_u24_e32 v87, 0x10001, v81
	v_mul_u32_u24_e32 v93, 0x10001, v82
	ds_load_2addr_b64 v[81:84], v46 offset0:128 offset1:160
	v_mul_u32_u24_e32 v49, 0x10001, v49
	v_mul_u32_u24_e32 v94, 0x10001, v86
	v_pk_fma_f16 v74, v74, v85, v91
	v_pk_fma_f16 v90, v75, v87, v90
	;; [unrolled: 1-line block ×7, first 2 shown]
	ds_load_b128 v[85:88], v44 offset:816
	s_wait_dscnt 0x2
	v_and_b32_e32 v49, 0xffff, v77
	v_lshrrev_b32_e32 v75, 16, v77
	v_and_b32_e32 v77, 0xffff, v78
	v_lshrrev_b32_e32 v78, 16, v78
	v_pk_fma_f16 v42, v76, v93, v42
	v_mul_u32_u24_e32 v49, 0x10001, v49
	v_mul_u32_u24_e32 v75, 0x10001, v75
	;; [unrolled: 1-line block ×4, first 2 shown]
	v_pk_fma_f16 v92, v76, v94, v74
	s_wait_dscnt 0x1
	v_pk_fma_f16 v91, v81, v49, v91
	v_pk_fma_f16 v90, v81, v75, v90
	;; [unrolled: 1-line block ×4, first 2 shown]
	v_lshrrev_b32_e32 v73, 16, v79
	v_pk_fma_f16 v43, v82, v49, v43
	v_pk_fma_f16 v45, v82, v75, v45
	v_and_b32_e32 v49, 0xffff, v79
	v_pk_fma_f16 v42, v82, v77, v42
	v_and_b32_e32 v77, 0xffff, v80
	v_lshrrev_b32_e32 v79, 16, v80
	v_mul_u32_u24_e32 v80, 0x10001, v73
	ds_load_2addr_b64 v[73:76], v46 offset0:192 offset1:224
	v_mul_u32_u24_e32 v49, 0x10001, v49
	v_mul_u32_u24_e32 v46, 0x10001, v77
	;; [unrolled: 1-line block ×3, first 2 shown]
	v_pk_fma_f16 v78, v82, v78, v92
	v_pk_fma_f16 v82, v83, v80, v90
	;; [unrolled: 1-line block ×4, first 2 shown]
	s_wait_dscnt 0x1
	v_and_b32_e32 v49, 0xffff, v85
	v_pk_fma_f16 v89, v83, v46, v89
	v_pk_fma_f16 v81, v83, v77, v81
	;; [unrolled: 1-line block ×3, first 2 shown]
	v_lshrrev_b32_e32 v80, 16, v85
	v_and_b32_e32 v83, 0xffff, v86
	v_lshrrev_b32_e32 v85, 16, v86
	v_pk_fma_f16 v42, v84, v46, v42
	v_mul_u32_u24_e32 v46, 0x10001, v49
	v_mul_u32_u24_e32 v49, 0x10001, v80
	v_mul_u32_u24_e32 v83, 0x10001, v83
	v_mul_u32_u24_e32 v85, 0x10001, v85
	v_pk_fma_f16 v86, v84, v77, v78
	s_wait_dscnt 0x0
	v_pk_fma_f16 v90, v73, v46, v79
	ds_load_b128 v[77:80], v44 offset:832
	v_pk_fma_f16 v91, v73, v49, v82
	v_pk_fma_f16 v89, v73, v83, v89
	;; [unrolled: 1-line block ×3, first 2 shown]
	v_and_b32_e32 v81, 0xffff, v88
	v_pk_fma_f16 v43, v74, v46, v43
	v_pk_fma_f16 v45, v74, v49, v45
	v_and_b32_e32 v46, 0xffff, v87
	v_lshrrev_b32_e32 v49, 16, v87
	v_pk_fma_f16 v42, v74, v83, v42
	v_lshrrev_b32_e32 v87, 16, v88
	v_mul_u32_u24_e32 v92, 0x10001, v81
	ds_load_2addr_b64 v[81:84], v47 offset1:32
	v_mul_u32_u24_e32 v46, 0x10001, v46
	v_mul_u32_u24_e32 v49, 0x10001, v49
	;; [unrolled: 1-line block ×3, first 2 shown]
	v_pk_fma_f16 v74, v74, v85, v86
	v_pk_fma_f16 v89, v75, v92, v89
	v_pk_fma_f16 v90, v75, v46, v90
	v_pk_fma_f16 v91, v75, v49, v91
	v_pk_fma_f16 v73, v75, v93, v73
	v_pk_fma_f16 v43, v76, v46, v43
	v_pk_fma_f16 v45, v76, v49, v45
	ds_load_b128 v[85:88], v44 offset:848
	s_wait_dscnt 0x2
	v_and_b32_e32 v46, 0xffff, v77
	v_lshrrev_b32_e32 v49, 16, v77
	v_and_b32_e32 v75, 0xffff, v78
	v_lshrrev_b32_e32 v77, 16, v78
	v_pk_fma_f16 v42, v76, v92, v42
	v_mul_u32_u24_e32 v46, 0x10001, v46
	v_mul_u32_u24_e32 v49, 0x10001, v49
	;; [unrolled: 1-line block ×4, first 2 shown]
	v_pk_fma_f16 v78, v76, v93, v74
	s_wait_dscnt 0x1
	v_pk_fma_f16 v90, v81, v46, v90
	v_pk_fma_f16 v91, v81, v49, v91
	;; [unrolled: 1-line block ×5, first 2 shown]
	v_and_b32_e32 v46, 0xffff, v79
	v_pk_fma_f16 v42, v82, v75, v42
	ds_load_2addr_b64 v[73:76], v47 offset0:64 offset1:96
	v_pk_fma_f16 v45, v82, v49, v45
	v_lshrrev_b32_e32 v49, 16, v79
	v_and_b32_e32 v79, 0xffff, v80
	v_lshrrev_b32_e32 v80, 16, v80
	v_mul_u32_u24_e32 v46, 0x10001, v46
	v_pk_fma_f16 v77, v82, v77, v78
	v_mul_u32_u24_e32 v49, 0x10001, v49
	v_mul_u32_u24_e32 v79, 0x10001, v79
	v_mul_u32_u24_e32 v80, 0x10001, v80
	v_pk_fma_f16 v78, v83, v46, v90
	v_pk_fma_f16 v43, v84, v46, v43
	s_wait_dscnt 0x1
	v_and_b32_e32 v46, 0xffff, v85
	v_pk_fma_f16 v82, v83, v49, v91
	v_pk_fma_f16 v89, v83, v79, v89
	;; [unrolled: 1-line block ×4, first 2 shown]
	v_lshrrev_b32_e32 v49, 16, v85
	v_and_b32_e32 v83, 0xffff, v86
	v_lshrrev_b32_e32 v85, 16, v86
	v_mul_u32_u24_e32 v46, 0x10001, v46
	v_pk_fma_f16 v42, v84, v79, v42
	v_mul_u32_u24_e32 v49, 0x10001, v49
	v_mul_u32_u24_e32 v83, 0x10001, v83
	;; [unrolled: 1-line block ×3, first 2 shown]
	v_pk_fma_f16 v86, v84, v80, v77
	s_wait_dscnt 0x0
	v_pk_fma_f16 v90, v73, v46, v78
	ds_load_b128 v[77:80], v44 offset:864
	v_pk_fma_f16 v91, v73, v49, v82
	v_pk_fma_f16 v89, v73, v83, v89
	;; [unrolled: 1-line block ×3, first 2 shown]
	v_and_b32_e32 v81, 0xffff, v88
	v_pk_fma_f16 v43, v74, v46, v43
	v_pk_fma_f16 v45, v74, v49, v45
	v_and_b32_e32 v46, 0xffff, v87
	v_lshrrev_b32_e32 v49, 16, v87
	v_pk_fma_f16 v42, v74, v83, v42
	v_lshrrev_b32_e32 v87, 16, v88
	v_mul_u32_u24_e32 v92, 0x10001, v81
	ds_load_2addr_b64 v[81:84], v47 offset0:128 offset1:160
	v_mul_u32_u24_e32 v46, 0x10001, v46
	v_mul_u32_u24_e32 v49, 0x10001, v49
	v_mul_u32_u24_e32 v93, 0x10001, v87
	v_pk_fma_f16 v74, v74, v85, v86
	v_pk_fma_f16 v89, v75, v92, v89
	;; [unrolled: 1-line block ×7, first 2 shown]
	ds_load_b128 v[85:88], v44 offset:880
	s_wait_dscnt 0x2
	v_and_b32_e32 v46, 0xffff, v77
	v_lshrrev_b32_e32 v49, 16, v77
	v_and_b32_e32 v75, 0xffff, v78
	v_lshrrev_b32_e32 v77, 16, v78
	v_pk_fma_f16 v42, v76, v92, v42
	v_mul_u32_u24_e32 v46, 0x10001, v46
	v_mul_u32_u24_e32 v49, 0x10001, v49
	;; [unrolled: 1-line block ×4, first 2 shown]
	v_pk_fma_f16 v78, v76, v93, v74
	s_wait_dscnt 0x1
	v_pk_fma_f16 v90, v81, v46, v90
	v_pk_fma_f16 v91, v81, v49, v91
	;; [unrolled: 1-line block ×6, first 2 shown]
	v_and_b32_e32 v46, 0xffff, v79
	v_lshrrev_b32_e32 v49, 16, v79
	v_pk_fma_f16 v42, v82, v75, v42
	ds_load_2addr_b64 v[73:76], v47 offset0:192 offset1:224
	v_and_b32_e32 v79, 0xffff, v80
	v_lshrrev_b32_e32 v80, 16, v80
	v_mul_u32_u24_e32 v46, 0x10001, v46
	v_mul_u32_u24_e32 v49, 0x10001, v49
	v_pk_fma_f16 v77, v82, v77, v78
	v_mul_u32_u24_e32 v47, 0x10001, v79
	v_mul_u32_u24_e32 v79, 0x10001, v80
	v_pk_fma_f16 v78, v83, v46, v90
	v_pk_fma_f16 v80, v83, v49, v91
	;; [unrolled: 1-line block ×4, first 2 shown]
	s_wait_dscnt 0x1
	v_and_b32_e32 v46, 0xffff, v85
	v_lshrrev_b32_e32 v49, 16, v85
	v_pk_fma_f16 v82, v83, v47, v89
	v_pk_fma_f16 v81, v83, v79, v81
	v_and_b32_e32 v83, 0xffff, v86
	v_lshrrev_b32_e32 v85, 16, v86
	v_pk_fma_f16 v42, v84, v47, v42
	v_mul_u32_u24_e32 v46, 0x10001, v46
	v_mul_u32_u24_e32 v47, 0x10001, v49
	;; [unrolled: 1-line block ×4, first 2 shown]
	v_pk_fma_f16 v86, v84, v79, v77
	s_wait_dscnt 0x0
	v_pk_fma_f16 v89, v73, v46, v78
	v_pk_fma_f16 v90, v73, v47, v80
	ds_load_b128 v[77:80], v44 offset:896
	v_pk_fma_f16 v91, v73, v49, v82
	v_pk_fma_f16 v73, v73, v85, v81
	v_and_b32_e32 v81, 0xffff, v88
	v_pk_fma_f16 v43, v74, v46, v43
	v_pk_fma_f16 v45, v74, v47, v45
	v_and_b32_e32 v46, 0xffff, v87
	v_lshrrev_b32_e32 v47, 16, v87
	v_pk_fma_f16 v42, v74, v49, v42
	v_lshrrev_b32_e32 v49, 16, v88
	v_mul_u32_u24_e32 v92, 0x10001, v81
	ds_load_2addr_b64 v[81:84], v41 offset1:32
	v_mul_u32_u24_e32 v46, 0x10001, v46
	v_mul_u32_u24_e32 v47, 0x10001, v47
	;; [unrolled: 1-line block ×3, first 2 shown]
	v_pk_fma_f16 v74, v74, v85, v86
	v_pk_fma_f16 v91, v75, v92, v91
	;; [unrolled: 1-line block ×7, first 2 shown]
	ds_load_b128 v[85:88], v44 offset:912
	s_wait_dscnt 0x2
	v_and_b32_e32 v46, 0xffff, v77
	v_lshrrev_b32_e32 v47, 16, v77
	v_and_b32_e32 v75, 0xffff, v78
	v_lshrrev_b32_e32 v77, 16, v78
	v_pk_fma_f16 v42, v76, v92, v42
	v_mul_u32_u24_e32 v46, 0x10001, v46
	v_mul_u32_u24_e32 v47, 0x10001, v47
	;; [unrolled: 1-line block ×4, first 2 shown]
	v_pk_fma_f16 v49, v76, v49, v74
	s_wait_dscnt 0x1
	v_pk_fma_f16 v78, v81, v46, v89
	v_pk_fma_f16 v89, v81, v47, v90
	v_pk_fma_f16 v90, v81, v75, v91
	v_pk_fma_f16 v81, v81, v77, v73
	v_pk_fma_f16 v43, v82, v46, v43
	v_pk_fma_f16 v45, v82, v47, v45
	v_and_b32_e32 v46, 0xffff, v79
	v_lshrrev_b32_e32 v47, 16, v79
	v_pk_fma_f16 v42, v82, v75, v42
	ds_load_2addr_b64 v[73:76], v41 offset0:64 offset1:96
	v_and_b32_e32 v79, 0xffff, v80
	v_lshrrev_b32_e32 v80, 16, v80
	v_mul_u32_u24_e32 v46, 0x10001, v46
	v_mul_u32_u24_e32 v47, 0x10001, v47
	v_pk_fma_f16 v49, v82, v77, v49
	v_mul_u32_u24_e32 v79, 0x10001, v79
	v_mul_u32_u24_e32 v80, 0x10001, v80
	v_pk_fma_f16 v77, v83, v46, v78
	v_pk_fma_f16 v78, v83, v47, v89
	;; [unrolled: 1-line block ×4, first 2 shown]
	s_wait_dscnt 0x1
	v_and_b32_e32 v46, 0xffff, v85
	v_lshrrev_b32_e32 v47, 16, v85
	v_pk_fma_f16 v82, v83, v79, v90
	v_pk_fma_f16 v81, v83, v80, v81
	v_and_b32_e32 v83, 0xffff, v86
	v_lshrrev_b32_e32 v85, 16, v86
	v_mul_u32_u24_e32 v46, 0x10001, v46
	v_mul_u32_u24_e32 v47, 0x10001, v47
	v_pk_fma_f16 v42, v84, v79, v42
	v_mul_u32_u24_e32 v83, 0x10001, v83
	v_mul_u32_u24_e32 v85, 0x10001, v85
	v_pk_fma_f16 v49, v84, v80, v49
	s_wait_dscnt 0x0
	v_pk_fma_f16 v86, v73, v46, v77
	v_pk_fma_f16 v89, v73, v47, v78
	ds_load_b128 v[77:80], v44 offset:928
	v_pk_fma_f16 v90, v73, v83, v82
	v_pk_fma_f16 v73, v73, v85, v81
	v_and_b32_e32 v81, 0xffff, v88
	v_pk_fma_f16 v43, v74, v46, v43
	v_pk_fma_f16 v45, v74, v47, v45
	v_and_b32_e32 v46, 0xffff, v87
	v_lshrrev_b32_e32 v47, 16, v87
	v_pk_fma_f16 v42, v74, v83, v42
	v_lshrrev_b32_e32 v87, 16, v88
	v_mul_u32_u24_e32 v91, 0x10001, v81
	ds_load_2addr_b64 v[81:84], v41 offset0:128 offset1:160
	v_mul_u32_u24_e32 v46, 0x10001, v46
	v_mul_u32_u24_e32 v47, 0x10001, v47
	;; [unrolled: 1-line block ×3, first 2 shown]
	v_pk_fma_f16 v49, v74, v85, v49
	v_pk_fma_f16 v90, v75, v91, v90
	;; [unrolled: 1-line block ×7, first 2 shown]
	ds_load_b128 v[85:88], v44 offset:944
	s_wait_dscnt 0x2
	v_and_b32_e32 v46, 0xffff, v77
	v_lshrrev_b32_e32 v47, 16, v77
	v_and_b32_e32 v75, 0xffff, v78
	v_lshrrev_b32_e32 v77, 16, v78
	v_pk_fma_f16 v42, v76, v91, v42
	v_mul_u32_u24_e32 v46, 0x10001, v46
	v_mul_u32_u24_e32 v47, 0x10001, v47
	;; [unrolled: 1-line block ×4, first 2 shown]
	v_pk_fma_f16 v49, v76, v92, v49
	s_wait_dscnt 0x1
	v_pk_fma_f16 v78, v81, v46, v74
	v_pk_fma_f16 v89, v81, v47, v89
	v_pk_fma_f16 v90, v81, v75, v90
	v_pk_fma_f16 v81, v81, v77, v73
	v_pk_fma_f16 v43, v82, v46, v43
	v_pk_fma_f16 v45, v82, v47, v45
	v_and_b32_e32 v46, 0xffff, v79
	v_lshrrev_b32_e32 v47, 16, v79
	v_pk_fma_f16 v42, v82, v75, v42
	ds_load_2addr_b64 v[73:76], v41 offset0:192 offset1:224
	v_and_b32_e32 v79, 0xffff, v80
	v_lshrrev_b32_e32 v80, 16, v80
	v_mul_u32_u24_e32 v46, 0x10001, v46
	v_mul_u32_u24_e32 v47, 0x10001, v47
	v_pk_fma_f16 v49, v82, v77, v49
	v_mul_u32_u24_e32 v41, 0x10001, v79
	v_mul_u32_u24_e32 v79, 0x10001, v80
	v_pk_fma_f16 v77, v83, v46, v78
	v_pk_fma_f16 v78, v83, v47, v89
	;; [unrolled: 1-line block ×4, first 2 shown]
	s_wait_dscnt 0x1
	v_and_b32_e32 v46, 0xffff, v85
	v_lshrrev_b32_e32 v47, 16, v85
	v_and_b32_e32 v82, 0xffff, v86
	v_pk_fma_f16 v80, v83, v41, v90
	v_pk_fma_f16 v81, v83, v79, v81
	v_lshrrev_b32_e32 v83, 16, v86
	v_pk_fma_f16 v41, v84, v41, v42
	v_mul_u32_u24_e32 v42, 0x10001, v46
	v_mul_u32_u24_e32 v46, 0x10001, v47
	;; [unrolled: 1-line block ×4, first 2 shown]
	v_pk_fma_f16 v49, v84, v79, v49
	s_wait_dscnt 0x0
	v_pk_fma_f16 v86, v73, v42, v77
	v_pk_fma_f16 v89, v73, v46, v78
	;; [unrolled: 1-line block ×3, first 2 shown]
	ds_load_b128 v[77:80], v44 offset:960
	v_pk_fma_f16 v73, v73, v85, v81
	v_and_b32_e32 v81, 0xffff, v88
	v_pk_fma_f16 v42, v74, v42, v43
	v_pk_fma_f16 v43, v74, v46, v45
	v_and_b32_e32 v45, 0xffff, v87
	v_lshrrev_b32_e32 v46, 16, v87
	v_pk_fma_f16 v41, v74, v47, v41
	v_lshrrev_b32_e32 v47, 16, v88
	v_mul_u32_u24_e32 v91, 0x10001, v81
	ds_load_2addr_b64 v[81:84], v40 offset1:32
	v_mul_u32_u24_e32 v45, 0x10001, v45
	v_mul_u32_u24_e32 v46, 0x10001, v46
	v_mul_u32_u24_e32 v47, 0x10001, v47
	v_pk_fma_f16 v49, v74, v85, v49
	v_pk_fma_f16 v90, v75, v91, v90
	;; [unrolled: 1-line block ×7, first 2 shown]
	ds_load_b128 v[85:88], v44 offset:976
	s_wait_dscnt 0x2
	v_and_b32_e32 v45, 0xffff, v77
	v_lshrrev_b32_e32 v46, 16, v77
	v_and_b32_e32 v75, 0xffff, v78
	v_lshrrev_b32_e32 v77, 16, v78
	v_pk_fma_f16 v41, v76, v91, v41
	v_mul_u32_u24_e32 v45, 0x10001, v45
	v_mul_u32_u24_e32 v46, 0x10001, v46
	v_mul_u32_u24_e32 v75, 0x10001, v75
	v_mul_u32_u24_e32 v77, 0x10001, v77
	v_pk_fma_f16 v47, v76, v47, v49
	s_wait_dscnt 0x1
	v_pk_fma_f16 v49, v81, v45, v74
	v_pk_fma_f16 v78, v81, v46, v89
	;; [unrolled: 1-line block ×5, first 2 shown]
	v_lshrrev_b32_e32 v46, 16, v79
	v_pk_fma_f16 v41, v82, v75, v41
	ds_load_2addr_b64 v[73:76], v40 offset0:64 offset1:96
	v_pk_fma_f16 v42, v82, v45, v42
	v_and_b32_e32 v45, 0xffff, v79
	v_and_b32_e32 v79, 0xffff, v80
	v_lshrrev_b32_e32 v80, 16, v80
	v_mul_u32_u24_e32 v46, 0x10001, v46
	v_pk_fma_f16 v47, v82, v77, v47
	v_mul_u32_u24_e32 v45, 0x10001, v45
	v_mul_u32_u24_e32 v79, 0x10001, v79
	;; [unrolled: 1-line block ×3, first 2 shown]
	v_pk_fma_f16 v77, v83, v46, v78
	v_pk_fma_f16 v43, v84, v46, v43
	s_wait_dscnt 0x1
	v_lshrrev_b32_e32 v46, 16, v85
	v_and_b32_e32 v82, 0xffff, v86
	v_pk_fma_f16 v49, v83, v45, v49
	v_pk_fma_f16 v78, v83, v79, v89
	;; [unrolled: 1-line block ×4, first 2 shown]
	v_and_b32_e32 v45, 0xffff, v85
	v_lshrrev_b32_e32 v83, 16, v86
	v_mul_u32_u24_e32 v46, 0x10001, v46
	v_mul_u32_u24_e32 v82, 0x10001, v82
	v_pk_fma_f16 v41, v84, v79, v41
	v_mul_u32_u24_e32 v45, 0x10001, v45
	v_mul_u32_u24_e32 v85, 0x10001, v83
	v_pk_fma_f16 v47, v84, v80, v47
	s_wait_dscnt 0x0
	v_pk_fma_f16 v86, v73, v46, v77
	v_pk_fma_f16 v89, v73, v82, v78
	ds_load_b128 v[77:80], v44 offset:992
	v_pk_fma_f16 v49, v73, v45, v49
	v_pk_fma_f16 v73, v73, v85, v81
	v_and_b32_e32 v81, 0xffff, v88
	v_pk_fma_f16 v42, v74, v45, v42
	v_pk_fma_f16 v43, v74, v46, v43
	v_and_b32_e32 v45, 0xffff, v87
	v_lshrrev_b32_e32 v46, 16, v87
	v_pk_fma_f16 v41, v74, v82, v41
	v_lshrrev_b32_e32 v87, 16, v88
	v_mul_u32_u24_e32 v90, 0x10001, v81
	ds_load_2addr_b64 v[81:84], v40 offset0:128 offset1:160
	v_mul_u32_u24_e32 v45, 0x10001, v45
	v_mul_u32_u24_e32 v46, 0x10001, v46
	;; [unrolled: 1-line block ×3, first 2 shown]
	v_pk_fma_f16 v47, v74, v85, v47
	v_pk_fma_f16 v89, v75, v90, v89
	;; [unrolled: 1-line block ×7, first 2 shown]
	ds_load_b128 v[85:88], v44 offset:1008
	s_wait_dscnt 0x2
	v_and_b32_e32 v45, 0xffff, v77
	v_lshrrev_b32_e32 v46, 16, v77
	v_and_b32_e32 v75, 0xffff, v78
	v_lshrrev_b32_e32 v77, 16, v78
	v_pk_fma_f16 v41, v76, v90, v41
	v_mul_u32_u24_e32 v45, 0x10001, v45
	v_mul_u32_u24_e32 v46, 0x10001, v46
	;; [unrolled: 1-line block ×4, first 2 shown]
	v_pk_fma_f16 v47, v76, v91, v47
	s_wait_dscnt 0x1
	v_pk_fma_f16 v49, v81, v45, v49
	v_pk_fma_f16 v78, v81, v46, v74
	;; [unrolled: 1-line block ×6, first 2 shown]
	v_and_b32_e32 v45, 0xffff, v79
	v_lshrrev_b32_e32 v46, 16, v79
	v_pk_fma_f16 v41, v82, v75, v41
	v_and_b32_e32 v79, 0xffff, v80
	v_lshrrev_b32_e32 v80, 16, v80
	ds_load_2addr_b64 v[73:76], v40 offset0:192 offset1:224
	v_mul_u32_u24_e32 v45, 0x10001, v45
	v_mul_u32_u24_e32 v46, 0x10001, v46
	;; [unrolled: 1-line block ×4, first 2 shown]
	s_wait_loadcnt_dscnt 0x0
	s_barrier_signal -1
	s_barrier_wait -1
	global_inv scope:SCOPE_SE
	s_load_b32 s25, s[6:7], 0x4
	v_pk_fma_f16 v47, v82, v77, v47
	v_pk_fma_f16 v49, v83, v45, v49
	;; [unrolled: 1-line block ×6, first 2 shown]
	v_and_b32_e32 v45, 0xffff, v85
	v_lshrrev_b32_e32 v46, 16, v85
	v_and_b32_e32 v81, 0xffff, v86
	v_lshrrev_b32_e32 v82, 16, v86
	v_pk_fma_f16 v78, v83, v40, v89
	v_pk_fma_f16 v40, v84, v40, v41
	v_mul_u32_u24_e32 v41, 0x10001, v45
	v_mul_u32_u24_e32 v45, 0x10001, v46
	;; [unrolled: 1-line block ×4, first 2 shown]
	v_pk_fma_f16 v47, v84, v79, v47
	v_pk_fma_f16 v49, v73, v41, v49
	;; [unrolled: 1-line block ×7, first 2 shown]
	v_and_b32_e32 v41, 0xffff, v87
	v_lshrrev_b32_e32 v42, 16, v87
	v_and_b32_e32 v45, 0xffff, v88
	v_lshrrev_b32_e32 v80, 16, v88
	v_pk_fma_f16 v40, v74, v46, v40
	v_mul_u32_u24_e32 v46, 0x10001, v41
	v_mul_u32_u24_e32 v82, 0x10001, v42
	v_mul_u32_u24_e32 v83, 0x10001, v45
	v_mul_u32_u24_e32 v80, 0x10001, v80
	v_pk_fma_f16 v74, v74, v81, v47
	s_wait_kmcnt 0x0
	s_lshl_b32 s25, s25, 7
	v_pk_fma_f16 v47, v75, v46, v49
	v_pk_fma_f16 v45, v75, v82, v77
	;; [unrolled: 1-line block ×8, first 2 shown]
	s_wait_alu 0xfffe
	s_add_co_i32 s24, s25, s24
	s_wait_alu 0xfffe
	s_cmp_lt_i32 s24, s3
	s_cbranch_scc0 .LBB87_111
; %bb.105:                              ;   in Loop: Header=BB87_8 Depth=1
	v_dual_mov_b32 v80, v0 :: v_dual_mov_b32 v75, v3
	v_dual_mov_b32 v78, v1 :: v_dual_mov_b32 v79, v20
	;; [unrolled: 1-line block ×4, first 2 shown]
	s_branch .LBB87_8
.LBB87_106:                             ;   in Loop: Header=BB87_8 Depth=1
	v_mov_b32_e32 v3, 0
	v_cmp_ngt_f32_e64 s31, 0x3f200000, |v94|
                                        ; implicit-def: $vgpr22
	s_and_saveexec_b32 s37, s31
	s_delay_alu instid0(SALU_CYCLE_1)
	s_xor_b32 s31, exec_lo, s37
	s_cbranch_execz .LBB87_15
	s_branch .LBB87_14
.LBB87_107:                             ;   in Loop: Header=BB87_8 Depth=1
	v_mov_b32_e32 v96, 0
	v_cmp_ngt_f32_e64 s31, 0x3f200000, |v90|
                                        ; implicit-def: $vgpr104
	s_and_saveexec_b32 s37, s31
	s_delay_alu instid0(SALU_CYCLE_1)
	s_xor_b32 s31, exec_lo, s37
	s_cbranch_execz .LBB87_39
	s_branch .LBB87_38
.LBB87_108:                             ;   in Loop: Header=BB87_8 Depth=1
	v_mov_b32_e32 v89, 0
	v_cmp_ngt_f32_e64 s31, 0x3f200000, |v86|
                                        ; implicit-def: $vgpr106
	s_and_saveexec_b32 s37, s31
	s_delay_alu instid0(SALU_CYCLE_1)
	s_xor_b32 s31, exec_lo, s37
	s_cbranch_execz .LBB87_63
	s_branch .LBB87_62
.LBB87_109:                             ;   in Loop: Header=BB87_8 Depth=1
	v_mov_b32_e32 v85, 0
	v_cmp_ngt_f32_e64 s31, 0x3f200000, |v82|
                                        ; implicit-def: $vgpr100
	s_and_saveexec_b32 s37, s31
	s_delay_alu instid0(SALU_CYCLE_1)
	s_xor_b32 s31, exec_lo, s37
	s_cbranch_execz .LBB87_87
	s_branch .LBB87_86
.LBB87_110:
	v_dual_mov_b32 v0, 0xfeffffff :: v_dual_mov_b32 v47, 0
	v_mov_b32_e32 v23, 0
	v_dual_mov_b32 v49, 0 :: v_dual_mov_b32 v46, 0
	s_delay_alu instid0(VALU_DEP_3)
	v_dual_mov_b32 v1, v0 :: v_dual_mov_b32 v22, 0
	v_dual_mov_b32 v2, v0 :: v_dual_mov_b32 v3, v0
	;; [unrolled: 1-line block ×5, first 2 shown]
.LBB87_111:
	s_cmp_gt_i32 s2, s24
	s_cbranch_scc1 .LBB87_114
; %bb.112:
	v_mbcnt_lo_u32_b32 v4, -1, 0
	v_mov_b32_e32 v19, 32
	s_delay_alu instid0(VALU_DEP_2)
	v_xor_b32_e32 v59, 16, v4
	v_xor_b32_e32 v58, 8, v4
	;; [unrolled: 1-line block ×5, first 2 shown]
	s_cbranch_execz .LBB87_115
; %bb.113:
	v_mov_b32_e32 v34, v4
	s_branch .LBB87_260
.LBB87_114:
                                        ; implicit-def: $vgpr4
                                        ; implicit-def: $vgpr19
                                        ; implicit-def: $vgpr59
                                        ; implicit-def: $vgpr58
                                        ; implicit-def: $vgpr57
                                        ; implicit-def: $vgpr56
                                        ; implicit-def: $vgpr55
.LBB87_115:
	v_add_nc_u32_e32 v17, v61, v30
	s_ashr_i32 s25, s24, 31
	s_ashr_i32 s29, s28, 31
	s_mov_b32 s40, 0
	s_wait_alu 0xfffe
	s_mul_u64 s[8:9], s[24:25], s[28:29]
	v_mul_lo_u32 v7, s28, v17
	s_sub_co_i32 s29, s2, s24
	s_wait_alu 0xfffe
	s_lshl_b64 s[2:3], s[8:9], 2
	s_mov_b32 s41, s40
	s_add_nc_u64 s[8:9], s[4:5], s[2:3]
	s_lshl_b32 s3, s28, 5
	s_mov_b32 s42, s40
	v_lshlrev_b32_e32 v18, 2, v60
	v_ashrrev_i32_e32 v8, 31, v7
	v_add_nc_u32_e32 v14, s3, v7
	s_mov_b64 s[6:7], src_private_base
	v_dual_mov_b32 v56, 0 :: v_dual_mov_b32 v55, 0
	s_delay_alu instid0(VALU_DEP_3) | instskip(NEXT) | instid1(VALU_DEP_3)
	v_lshlrev_b64_e32 v[4:5], 2, v[7:8]
	v_ashrrev_i32_e32 v15, 31, v14
	v_mov_b32_e32 v8, 0
	v_cmp_gt_i32_e64 s4, s29, v17
	v_dual_mov_b32 v61, 0 :: v_dual_mov_b32 v62, 0
	s_wait_alu 0xfffe
	v_add_co_u32 v4, vcc_lo, s8, v4
	s_wait_alu 0xfffd
	v_add_co_ci_u32_e64 v5, null, s9, v5, vcc_lo
	v_lshlrev_b64_e32 v[15:16], 2, v[14:15]
	s_delay_alu instid0(VALU_DEP_3) | instskip(SKIP_1) | instid1(VALU_DEP_3)
	v_add_co_u32 v66, vcc_lo, v4, v18
	s_wait_alu 0xfffd
	v_add_co_ci_u32_e64 v67, null, 0, v5, vcc_lo
	v_dual_mov_b32 v4, s40 :: v_dual_mov_b32 v5, s41
	v_mov_b32_e32 v6, s42
	s_wait_alu 0xf1ff
	s_delay_alu instid0(VALU_DEP_3)
	v_cndmask_b32_e64 v10, s7, v67, s4
	v_cndmask_b32_e64 v9, 0, v66, s4
	v_add_co_u32 v7, vcc_lo, s8, v15
	v_add_nc_u32_e32 v15, 32, v17
	s_clause 0x1
	scratch_store_b32 off, v8, off
	scratch_store_b96 off, v[4:6], off offset:4
	flat_load_b128 v[10:13], v[9:10]
	s_wait_alu 0xfffd
	v_add_co_ci_u32_e64 v9, null, s9, v16, vcc_lo
	v_add_co_u32 v57, vcc_lo, v7, v18
	v_add_nc_u32_e32 v14, s3, v14
	s_wait_alu 0xfffd
	s_delay_alu instid0(VALU_DEP_3)
	v_add_co_ci_u32_e64 v58, null, 0, v9, vcc_lo
	v_cmp_gt_i32_e32 vcc_lo, s29, v15
	v_mad_u32_u24 v9, 0x90, v17, v18
	v_add_co_u32 v66, s5, 0x80, v66
	s_wait_alu 0xf1ff
	v_add_co_ci_u32_e64 v67, null, 0, v67, s5
	s_wait_alu 0xfffd
	v_cndmask_b32_e32 v16, s7, v58, vcc_lo
	v_cndmask_b32_e32 v15, 0, v57, vcc_lo
	s_clause 0x1
	scratch_store_b32 off, v8, off
	scratch_store_b96 off, v[4:6], off offset:4
	v_cndmask_b32_e64 v67, s7, v67, s4
	v_cndmask_b32_e64 v66, 0, v66, s4
	v_add_co_u32 v57, s4, 0x80, v57
	v_mov_b32_e32 v60, 0
	s_wait_alu 0xf1ff
	v_add_co_ci_u32_e64 v58, null, 0, v58, s4
	s_delay_alu instid0(VALU_DEP_3) | instskip(NEXT) | instid1(VALU_DEP_2)
	v_cndmask_b32_e32 v57, 0, v57, vcc_lo
	v_dual_mov_b32 v19, 0 :: v_dual_cndmask_b32 v58, s7, v58
	s_wait_loadcnt_dscnt 0x0
	ds_store_b128 v9, v[10:13]
	flat_load_b128 v[10:13], v[15:16]
	v_ashrrev_i32_e32 v15, 31, v14
	s_clause 0x1
	scratch_store_b32 off, v8, off
	scratch_store_b96 off, v[4:6], off offset:4
	v_lshlrev_b64_e32 v[15:16], 2, v[14:15]
	v_add_nc_u32_e32 v14, s3, v14
	s_delay_alu instid0(VALU_DEP_2) | instskip(SKIP_1) | instid1(VALU_DEP_3)
	v_add_co_u32 v7, s2, s8, v15
	s_wait_alu 0xf1ff
	v_add_co_ci_u32_e64 v15, null, s9, v16, s2
	v_add_nc_u32_e32 v16, 64, v17
	s_delay_alu instid0(VALU_DEP_3) | instskip(SKIP_1) | instid1(VALU_DEP_3)
	v_add_co_u32 v59, s2, v7, v18
	s_wait_alu 0xf1ff
	v_add_co_ci_u32_e64 v63, null, 0, v15, s2
	s_delay_alu instid0(VALU_DEP_3) | instskip(SKIP_1) | instid1(VALU_DEP_1)
	v_cmp_gt_i32_e64 s2, s29, v16
	s_wait_alu 0xf1ff
	v_cndmask_b32_e64 v16, s7, v63, s2
	v_cndmask_b32_e64 v15, 0, v59, s2
	s_wait_loadcnt_dscnt 0x0
	ds_store_b128 v9, v[10:13] offset:4608
	flat_load_b128 v[10:13], v[15:16]
	v_ashrrev_i32_e32 v15, 31, v14
	s_clause 0x1
	scratch_store_b32 off, v8, off
	scratch_store_b96 off, v[4:6], off offset:4
	v_mov_b32_e32 v16, 0
	v_lshlrev_b64_e32 v[14:15], 2, v[14:15]
	s_delay_alu instid0(VALU_DEP_1) | instskip(SKIP_1) | instid1(VALU_DEP_2)
	v_add_co_u32 v7, s3, s8, v14
	s_wait_alu 0xf1ff
	v_add_co_ci_u32_e64 v14, null, s9, v15, s3
	v_add_nc_u32_e32 v15, 0x60, v17
	s_delay_alu instid0(VALU_DEP_3) | instskip(SKIP_1) | instid1(VALU_DEP_3)
	v_add_co_u32 v64, s3, v7, v18
	s_wait_alu 0xf1ff
	v_add_co_ci_u32_e64 v65, null, 0, v14, s3
	s_delay_alu instid0(VALU_DEP_3) | instskip(SKIP_3) | instid1(VALU_DEP_3)
	v_cmp_gt_i32_e64 s3, s29, v15
	v_mov_b32_e32 v7, 0
	v_dual_mov_b32 v17, 0 :: v_dual_mov_b32 v18, 0
	s_wait_alu 0xf1ff
	v_cndmask_b32_e64 v15, s7, v65, s3
	v_cndmask_b32_e64 v14, 0, v64, s3
	s_wait_loadcnt_dscnt 0x0
	ds_store_b128 v9, v[10:13] offset:9216
	flat_load_b128 v[10:13], v[14:15]
	v_dual_mov_b32 v15, 0 :: v_dual_mov_b32 v14, 0
	s_wait_loadcnt_dscnt 0x0
	ds_store_b128 v9, v[10:13] offset:13824
	s_wait_storecnt_dscnt 0x0
	s_barrier_signal -1
	s_barrier_wait -1
	global_inv scope:SCOPE_SE
	ds_load_b128 v[68:71], v54
	ds_load_b128 v[72:75], v35 offset:26624
	ds_load_b128 v[76:79], v35 offset:26880
	;; [unrolled: 1-line block ×7, first 2 shown]
	v_mov_b32_e32 v13, 0
	v_dual_mov_b32 v11, 0 :: v_dual_mov_b32 v12, 0
	v_mov_b32_e32 v10, 0
	s_wait_dscnt 0x6
	;;#ASMSTART
	v_dot2_f32_f16 v7, v68, v72, v7
	;;#ASMEND
	;;#ASMSTART
	v_dot2_f32_f16 v7, v69, v73, v7
	;;#ASMEND
	;;#ASMSTART
	v_dot2_f32_f16 v7, v70, v74, v7
	;;#ASMEND
	;;#ASMSTART
	v_dot2_f32_f16 v7, v71, v75, v7
	;;#ASMEND
	s_wait_dscnt 0x5
	;;#ASMSTART
	v_dot2_f32_f16 v62, v68, v76, v62
	;;#ASMEND
	;;#ASMSTART
	v_dot2_f32_f16 v62, v69, v77, v62
	;;#ASMEND
	;;#ASMSTART
	v_dot2_f32_f16 v62, v70, v78, v62
	;;#ASMEND
	;;#ASMSTART
	v_dot2_f32_f16 v62, v71, v79, v62
	;;#ASMEND
	;; [unrolled: 13-line block ×5, first 2 shown]
	;;#ASMSTART
	v_dot2_f32_f16 v61, v88, v76, v61
	;;#ASMEND
	;;#ASMSTART
	v_dot2_f32_f16 v61, v89, v77, v61
	;;#ASMEND
	;;#ASMSTART
	v_dot2_f32_f16 v61, v90, v78, v61
	;;#ASMEND
	;;#ASMSTART
	v_dot2_f32_f16 v61, v91, v79, v61
	;;#ASMEND
	;;#ASMSTART
	v_dot2_f32_f16 v16, v88, v80, v16
	;;#ASMEND
	;;#ASMSTART
	v_dot2_f32_f16 v16, v89, v81, v16
	;;#ASMEND
	;;#ASMSTART
	v_dot2_f32_f16 v16, v90, v82, v16
	;;#ASMEND
	;;#ASMSTART
	v_dot2_f32_f16 v16, v91, v83, v16
	;;#ASMEND
	;;#ASMSTART
	v_dot2_f32_f16 v12, v88, v84, v12
	;;#ASMEND
	;;#ASMSTART
	v_dot2_f32_f16 v12, v89, v85, v12
	;;#ASMEND
	;;#ASMSTART
	v_dot2_f32_f16 v12, v90, v86, v12
	;;#ASMEND
	;;#ASMSTART
	v_dot2_f32_f16 v12, v91, v87, v12
	;;#ASMEND
	s_wait_dscnt 0x1
	;;#ASMSTART
	v_dot2_f32_f16 v55, v92, v72, v55
	;;#ASMEND
	;;#ASMSTART
	v_dot2_f32_f16 v55, v93, v73, v55
	;;#ASMEND
	;;#ASMSTART
	v_dot2_f32_f16 v55, v94, v74, v55
	;;#ASMEND
	;;#ASMSTART
	v_dot2_f32_f16 v55, v95, v75, v55
	;;#ASMEND
	;;#ASMSTART
	v_dot2_f32_f16 v60, v92, v76, v60
	;;#ASMEND
	;;#ASMSTART
	v_dot2_f32_f16 v60, v93, v77, v60
	;;#ASMEND
	;;#ASMSTART
	v_dot2_f32_f16 v60, v94, v78, v60
	;;#ASMEND
	;;#ASMSTART
	v_dot2_f32_f16 v60, v95, v79, v60
	;;#ASMEND
	;;#ASMSTART
	v_dot2_f32_f16 v15, v92, v80, v15
	;;#ASMEND
	;;#ASMSTART
	v_dot2_f32_f16 v15, v93, v81, v15
	;;#ASMEND
	;;#ASMSTART
	v_dot2_f32_f16 v15, v94, v82, v15
	;;#ASMEND
	;;#ASMSTART
	v_dot2_f32_f16 v15, v95, v83, v15
	;;#ASMEND
	;;#ASMSTART
	v_dot2_f32_f16 v11, v92, v84, v11
	;;#ASMEND
	;;#ASMSTART
	v_dot2_f32_f16 v11, v93, v85, v11
	;;#ASMEND
	;;#ASMSTART
	v_dot2_f32_f16 v11, v94, v86, v11
	;;#ASMEND
	;;#ASMSTART
	v_dot2_f32_f16 v11, v95, v87, v11
	;;#ASMEND
	s_wait_dscnt 0x0
	;;#ASMSTART
	v_dot2_f32_f16 v19, v96, v72, v19
	;;#ASMEND
	;;#ASMSTART
	v_dot2_f32_f16 v19, v97, v73, v19
	;;#ASMEND
	;; [unrolled: 3-line block ×16, first 2 shown]
	ds_load_b128 v[68:71], v54 offset:16
	ds_load_b128 v[72:75], v35 offset:26640
	;; [unrolled: 1-line block ×8, first 2 shown]
	s_wait_dscnt 0x6
	;;#ASMSTART
	v_dot2_f32_f16 v7, v68, v72, v7
	;;#ASMEND
	;;#ASMSTART
	v_dot2_f32_f16 v7, v69, v73, v7
	;;#ASMEND
	;;#ASMSTART
	v_dot2_f32_f16 v7, v70, v74, v7
	;;#ASMEND
	;;#ASMSTART
	v_dot2_f32_f16 v7, v71, v75, v7
	;;#ASMEND
	s_wait_dscnt 0x5
	;;#ASMSTART
	v_dot2_f32_f16 v62, v68, v76, v62
	;;#ASMEND
	;;#ASMSTART
	v_dot2_f32_f16 v62, v69, v77, v62
	;;#ASMEND
	;;#ASMSTART
	v_dot2_f32_f16 v62, v70, v78, v62
	;;#ASMEND
	;;#ASMSTART
	v_dot2_f32_f16 v62, v71, v79, v62
	;;#ASMEND
	;; [unrolled: 13-line block ×5, first 2 shown]
	;;#ASMSTART
	v_dot2_f32_f16 v61, v88, v76, v61
	;;#ASMEND
	;;#ASMSTART
	v_dot2_f32_f16 v61, v89, v77, v61
	;;#ASMEND
	;; [unrolled: 3-line block ×12, first 2 shown]
	s_wait_dscnt 0x1
	;;#ASMSTART
	v_dot2_f32_f16 v55, v92, v72, v55
	;;#ASMEND
	;;#ASMSTART
	v_dot2_f32_f16 v55, v93, v73, v55
	;;#ASMEND
	;; [unrolled: 3-line block ×16, first 2 shown]
	s_wait_dscnt 0x0
	;;#ASMSTART
	v_dot2_f32_f16 v19, v96, v72, v19
	;;#ASMEND
	;;#ASMSTART
	v_dot2_f32_f16 v19, v97, v73, v19
	;;#ASMEND
	;; [unrolled: 3-line block ×16, first 2 shown]
	ds_load_b128 v[68:71], v54 offset:32
	ds_load_b128 v[72:75], v35 offset:26656
	;; [unrolled: 1-line block ×8, first 2 shown]
	s_wait_dscnt 0x6
	;;#ASMSTART
	v_dot2_f32_f16 v7, v68, v72, v7
	;;#ASMEND
	;;#ASMSTART
	v_dot2_f32_f16 v7, v69, v73, v7
	;;#ASMEND
	;;#ASMSTART
	v_dot2_f32_f16 v7, v70, v74, v7
	;;#ASMEND
	;;#ASMSTART
	v_dot2_f32_f16 v7, v71, v75, v7
	;;#ASMEND
	s_wait_dscnt 0x5
	;;#ASMSTART
	v_dot2_f32_f16 v62, v68, v76, v62
	;;#ASMEND
	;;#ASMSTART
	v_dot2_f32_f16 v62, v69, v77, v62
	;;#ASMEND
	;;#ASMSTART
	v_dot2_f32_f16 v62, v70, v78, v62
	;;#ASMEND
	;;#ASMSTART
	v_dot2_f32_f16 v62, v71, v79, v62
	;;#ASMEND
	;; [unrolled: 13-line block ×5, first 2 shown]
	;;#ASMSTART
	v_dot2_f32_f16 v61, v88, v76, v61
	;;#ASMEND
	;;#ASMSTART
	v_dot2_f32_f16 v61, v89, v77, v61
	;;#ASMEND
	;; [unrolled: 3-line block ×12, first 2 shown]
	s_wait_dscnt 0x1
	;;#ASMSTART
	v_dot2_f32_f16 v55, v92, v72, v55
	;;#ASMEND
	;;#ASMSTART
	v_dot2_f32_f16 v55, v93, v73, v55
	;;#ASMEND
	;;#ASMSTART
	v_dot2_f32_f16 v55, v94, v74, v55
	;;#ASMEND
	;;#ASMSTART
	v_dot2_f32_f16 v55, v95, v75, v55
	;;#ASMEND
	;;#ASMSTART
	v_dot2_f32_f16 v60, v92, v76, v60
	;;#ASMEND
	;;#ASMSTART
	v_dot2_f32_f16 v60, v93, v77, v60
	;;#ASMEND
	;;#ASMSTART
	v_dot2_f32_f16 v60, v94, v78, v60
	;;#ASMEND
	;;#ASMSTART
	v_dot2_f32_f16 v60, v95, v79, v60
	;;#ASMEND
	;;#ASMSTART
	v_dot2_f32_f16 v15, v92, v80, v15
	;;#ASMEND
	;;#ASMSTART
	v_dot2_f32_f16 v15, v93, v81, v15
	;;#ASMEND
	;;#ASMSTART
	v_dot2_f32_f16 v15, v94, v82, v15
	;;#ASMEND
	;;#ASMSTART
	v_dot2_f32_f16 v15, v95, v83, v15
	;;#ASMEND
	;;#ASMSTART
	v_dot2_f32_f16 v11, v92, v84, v11
	;;#ASMEND
	;;#ASMSTART
	v_dot2_f32_f16 v11, v93, v85, v11
	;;#ASMEND
	;;#ASMSTART
	v_dot2_f32_f16 v11, v94, v86, v11
	;;#ASMEND
	;;#ASMSTART
	v_dot2_f32_f16 v11, v95, v87, v11
	;;#ASMEND
	s_wait_dscnt 0x0
	;;#ASMSTART
	v_dot2_f32_f16 v19, v96, v72, v19
	;;#ASMEND
	;;#ASMSTART
	v_dot2_f32_f16 v19, v97, v73, v19
	;;#ASMEND
	;; [unrolled: 3-line block ×16, first 2 shown]
	ds_load_b128 v[68:71], v54 offset:48
	ds_load_b128 v[72:75], v35 offset:26672
	ds_load_b128 v[76:79], v35 offset:26928
	ds_load_b128 v[80:83], v35 offset:27184
	ds_load_b128 v[84:87], v35 offset:27440
	ds_load_b128 v[88:91], v54 offset:4656
	ds_load_b128 v[92:95], v54 offset:9264
	ds_load_b128 v[96:99], v54 offset:13872
	s_wait_dscnt 0x6
	;;#ASMSTART
	v_dot2_f32_f16 v7, v68, v72, v7
	;;#ASMEND
	;;#ASMSTART
	v_dot2_f32_f16 v7, v69, v73, v7
	;;#ASMEND
	;;#ASMSTART
	v_dot2_f32_f16 v7, v70, v74, v7
	;;#ASMEND
	;;#ASMSTART
	v_dot2_f32_f16 v7, v71, v75, v7
	;;#ASMEND
	s_wait_dscnt 0x5
	;;#ASMSTART
	v_dot2_f32_f16 v62, v68, v76, v62
	;;#ASMEND
	;;#ASMSTART
	v_dot2_f32_f16 v62, v69, v77, v62
	;;#ASMEND
	;;#ASMSTART
	v_dot2_f32_f16 v62, v70, v78, v62
	;;#ASMEND
	;;#ASMSTART
	v_dot2_f32_f16 v62, v71, v79, v62
	;;#ASMEND
	;; [unrolled: 13-line block ×5, first 2 shown]
	;;#ASMSTART
	v_dot2_f32_f16 v61, v88, v76, v61
	;;#ASMEND
	;;#ASMSTART
	v_dot2_f32_f16 v61, v89, v77, v61
	;;#ASMEND
	;; [unrolled: 3-line block ×12, first 2 shown]
	s_wait_dscnt 0x1
	;;#ASMSTART
	v_dot2_f32_f16 v55, v92, v72, v55
	;;#ASMEND
	;;#ASMSTART
	v_dot2_f32_f16 v55, v93, v73, v55
	;;#ASMEND
	;; [unrolled: 3-line block ×16, first 2 shown]
	s_wait_dscnt 0x0
	;;#ASMSTART
	v_dot2_f32_f16 v19, v96, v72, v19
	;;#ASMEND
	;;#ASMSTART
	v_dot2_f32_f16 v19, v97, v73, v19
	;;#ASMEND
	;; [unrolled: 3-line block ×16, first 2 shown]
	ds_load_b128 v[68:71], v54 offset:64
	ds_load_b128 v[72:75], v35 offset:26688
	;; [unrolled: 1-line block ×8, first 2 shown]
	s_wait_dscnt 0x6
	;;#ASMSTART
	v_dot2_f32_f16 v7, v68, v72, v7
	;;#ASMEND
	;;#ASMSTART
	v_dot2_f32_f16 v7, v69, v73, v7
	;;#ASMEND
	;;#ASMSTART
	v_dot2_f32_f16 v7, v70, v74, v7
	;;#ASMEND
	;;#ASMSTART
	v_dot2_f32_f16 v7, v71, v75, v7
	;;#ASMEND
	s_wait_dscnt 0x5
	;;#ASMSTART
	v_dot2_f32_f16 v62, v68, v76, v62
	;;#ASMEND
	;;#ASMSTART
	v_dot2_f32_f16 v62, v69, v77, v62
	;;#ASMEND
	;;#ASMSTART
	v_dot2_f32_f16 v62, v70, v78, v62
	;;#ASMEND
	;;#ASMSTART
	v_dot2_f32_f16 v62, v71, v79, v62
	;;#ASMEND
	;; [unrolled: 13-line block ×5, first 2 shown]
	;;#ASMSTART
	v_dot2_f32_f16 v61, v88, v76, v61
	;;#ASMEND
	;;#ASMSTART
	v_dot2_f32_f16 v61, v89, v77, v61
	;;#ASMEND
	;; [unrolled: 3-line block ×12, first 2 shown]
	s_wait_dscnt 0x1
	;;#ASMSTART
	v_dot2_f32_f16 v55, v92, v72, v55
	;;#ASMEND
	;;#ASMSTART
	v_dot2_f32_f16 v55, v93, v73, v55
	;;#ASMEND
	;;#ASMSTART
	v_dot2_f32_f16 v55, v94, v74, v55
	;;#ASMEND
	;;#ASMSTART
	v_dot2_f32_f16 v55, v95, v75, v55
	;;#ASMEND
	;;#ASMSTART
	v_dot2_f32_f16 v60, v92, v76, v60
	;;#ASMEND
	;;#ASMSTART
	v_dot2_f32_f16 v60, v93, v77, v60
	;;#ASMEND
	;;#ASMSTART
	v_dot2_f32_f16 v60, v94, v78, v60
	;;#ASMEND
	;;#ASMSTART
	v_dot2_f32_f16 v60, v95, v79, v60
	;;#ASMEND
	;;#ASMSTART
	v_dot2_f32_f16 v15, v92, v80, v15
	;;#ASMEND
	;;#ASMSTART
	v_dot2_f32_f16 v15, v93, v81, v15
	;;#ASMEND
	;;#ASMSTART
	v_dot2_f32_f16 v15, v94, v82, v15
	;;#ASMEND
	;;#ASMSTART
	v_dot2_f32_f16 v15, v95, v83, v15
	;;#ASMEND
	;;#ASMSTART
	v_dot2_f32_f16 v11, v92, v84, v11
	;;#ASMEND
	;;#ASMSTART
	v_dot2_f32_f16 v11, v93, v85, v11
	;;#ASMEND
	;;#ASMSTART
	v_dot2_f32_f16 v11, v94, v86, v11
	;;#ASMEND
	;;#ASMSTART
	v_dot2_f32_f16 v11, v95, v87, v11
	;;#ASMEND
	s_wait_dscnt 0x0
	;;#ASMSTART
	v_dot2_f32_f16 v19, v96, v72, v19
	;;#ASMEND
	;;#ASMSTART
	v_dot2_f32_f16 v19, v97, v73, v19
	;;#ASMEND
	;; [unrolled: 3-line block ×16, first 2 shown]
	ds_load_b128 v[68:71], v54 offset:80
	ds_load_b128 v[72:75], v35 offset:26704
	;; [unrolled: 1-line block ×8, first 2 shown]
	s_wait_dscnt 0x6
	;;#ASMSTART
	v_dot2_f32_f16 v7, v68, v72, v7
	;;#ASMEND
	;;#ASMSTART
	v_dot2_f32_f16 v7, v69, v73, v7
	;;#ASMEND
	;;#ASMSTART
	v_dot2_f32_f16 v7, v70, v74, v7
	;;#ASMEND
	;;#ASMSTART
	v_dot2_f32_f16 v7, v71, v75, v7
	;;#ASMEND
	s_wait_dscnt 0x5
	;;#ASMSTART
	v_dot2_f32_f16 v62, v68, v76, v62
	;;#ASMEND
	;;#ASMSTART
	v_dot2_f32_f16 v62, v69, v77, v62
	;;#ASMEND
	;;#ASMSTART
	v_dot2_f32_f16 v62, v70, v78, v62
	;;#ASMEND
	;;#ASMSTART
	v_dot2_f32_f16 v62, v71, v79, v62
	;;#ASMEND
	s_wait_dscnt 0x4
	;;#ASMSTART
	v_dot2_f32_f16 v17, v68, v80, v17
	;;#ASMEND
	;;#ASMSTART
	v_dot2_f32_f16 v17, v69, v81, v17
	;;#ASMEND
	;;#ASMSTART
	v_dot2_f32_f16 v17, v70, v82, v17
	;;#ASMEND
	;;#ASMSTART
	v_dot2_f32_f16 v17, v71, v83, v17
	;;#ASMEND
	s_wait_dscnt 0x3
	;;#ASMSTART
	v_dot2_f32_f16 v13, v68, v84, v13
	;;#ASMEND
	;;#ASMSTART
	v_dot2_f32_f16 v13, v69, v85, v13
	;;#ASMEND
	;;#ASMSTART
	v_dot2_f32_f16 v13, v70, v86, v13
	;;#ASMEND
	;;#ASMSTART
	v_dot2_f32_f16 v13, v71, v87, v13
	;;#ASMEND
	s_wait_dscnt 0x2
	;;#ASMSTART
	v_dot2_f32_f16 v56, v88, v72, v56
	;;#ASMEND
	;;#ASMSTART
	v_dot2_f32_f16 v56, v89, v73, v56
	;;#ASMEND
	;;#ASMSTART
	v_dot2_f32_f16 v56, v90, v74, v56
	;;#ASMEND
	;;#ASMSTART
	v_dot2_f32_f16 v56, v91, v75, v56
	;;#ASMEND
	;;#ASMSTART
	v_dot2_f32_f16 v61, v88, v76, v61
	;;#ASMEND
	;;#ASMSTART
	v_dot2_f32_f16 v61, v89, v77, v61
	;;#ASMEND
	;; [unrolled: 3-line block ×12, first 2 shown]
	s_wait_dscnt 0x1
	;;#ASMSTART
	v_dot2_f32_f16 v55, v92, v72, v55
	;;#ASMEND
	;;#ASMSTART
	v_dot2_f32_f16 v55, v93, v73, v55
	;;#ASMEND
	;; [unrolled: 3-line block ×16, first 2 shown]
	s_wait_dscnt 0x0
	;;#ASMSTART
	v_dot2_f32_f16 v19, v96, v72, v19
	;;#ASMEND
	;;#ASMSTART
	v_dot2_f32_f16 v19, v97, v73, v19
	;;#ASMEND
	;; [unrolled: 3-line block ×16, first 2 shown]
	ds_load_b128 v[68:71], v54 offset:96
	ds_load_b128 v[72:75], v35 offset:26720
	;; [unrolled: 1-line block ×8, first 2 shown]
	s_wait_dscnt 0x6
	;;#ASMSTART
	v_dot2_f32_f16 v7, v68, v72, v7
	;;#ASMEND
	;;#ASMSTART
	v_dot2_f32_f16 v7, v69, v73, v7
	;;#ASMEND
	;;#ASMSTART
	v_dot2_f32_f16 v7, v70, v74, v7
	;;#ASMEND
	;;#ASMSTART
	v_dot2_f32_f16 v7, v71, v75, v7
	;;#ASMEND
	s_wait_dscnt 0x5
	;;#ASMSTART
	v_dot2_f32_f16 v62, v68, v76, v62
	;;#ASMEND
	;;#ASMSTART
	v_dot2_f32_f16 v62, v69, v77, v62
	;;#ASMEND
	;;#ASMSTART
	v_dot2_f32_f16 v62, v70, v78, v62
	;;#ASMEND
	;;#ASMSTART
	v_dot2_f32_f16 v62, v71, v79, v62
	;;#ASMEND
	;; [unrolled: 13-line block ×5, first 2 shown]
	;;#ASMSTART
	v_dot2_f32_f16 v61, v88, v76, v61
	;;#ASMEND
	;;#ASMSTART
	v_dot2_f32_f16 v61, v89, v77, v61
	;;#ASMEND
	;; [unrolled: 3-line block ×12, first 2 shown]
	s_wait_dscnt 0x1
	;;#ASMSTART
	v_dot2_f32_f16 v55, v92, v72, v55
	;;#ASMEND
	;;#ASMSTART
	v_dot2_f32_f16 v55, v93, v73, v55
	;;#ASMEND
	;; [unrolled: 3-line block ×16, first 2 shown]
	s_wait_dscnt 0x0
	;;#ASMSTART
	v_dot2_f32_f16 v19, v96, v72, v19
	;;#ASMEND
	;;#ASMSTART
	v_dot2_f32_f16 v19, v97, v73, v19
	;;#ASMEND
	;; [unrolled: 3-line block ×16, first 2 shown]
	ds_load_b128 v[68:71], v54 offset:112
	ds_load_b128 v[72:75], v35 offset:26736
	;; [unrolled: 1-line block ×8, first 2 shown]
	s_wait_dscnt 0x6
	;;#ASMSTART
	v_dot2_f32_f16 v7, v68, v72, v7
	;;#ASMEND
	;;#ASMSTART
	v_dot2_f32_f16 v7, v69, v73, v7
	;;#ASMEND
	;;#ASMSTART
	v_dot2_f32_f16 v7, v70, v74, v7
	;;#ASMEND
	;;#ASMSTART
	v_dot2_f32_f16 v7, v71, v75, v7
	;;#ASMEND
	s_wait_dscnt 0x5
	;;#ASMSTART
	v_dot2_f32_f16 v62, v68, v76, v62
	;;#ASMEND
	;;#ASMSTART
	v_dot2_f32_f16 v62, v69, v77, v62
	;;#ASMEND
	;;#ASMSTART
	v_dot2_f32_f16 v62, v70, v78, v62
	;;#ASMEND
	;;#ASMSTART
	v_dot2_f32_f16 v62, v71, v79, v62
	;;#ASMEND
	;; [unrolled: 13-line block ×5, first 2 shown]
	;;#ASMSTART
	v_dot2_f32_f16 v61, v88, v76, v61
	;;#ASMEND
	;;#ASMSTART
	v_dot2_f32_f16 v61, v89, v77, v61
	;;#ASMEND
	;; [unrolled: 3-line block ×12, first 2 shown]
	s_wait_dscnt 0x1
	;;#ASMSTART
	v_dot2_f32_f16 v55, v92, v72, v55
	;;#ASMEND
	;;#ASMSTART
	v_dot2_f32_f16 v55, v93, v73, v55
	;;#ASMEND
	;; [unrolled: 3-line block ×16, first 2 shown]
	s_wait_dscnt 0x0
	;;#ASMSTART
	v_dot2_f32_f16 v19, v96, v72, v19
	;;#ASMEND
	;;#ASMSTART
	v_dot2_f32_f16 v19, v97, v73, v19
	;;#ASMEND
	;; [unrolled: 3-line block ×16, first 2 shown]
	s_wait_loadcnt 0x0
	s_barrier_signal -1
	s_barrier_wait -1
	global_inv scope:SCOPE_SE
	s_clause 0x1
	scratch_store_b32 off, v8, off
	scratch_store_b96 off, v[4:6], off offset:4
	flat_load_b128 v[66:69], v[66:67]
	s_clause 0x1
	scratch_store_b32 off, v8, off
	scratch_store_b96 off, v[4:6], off offset:4
	s_wait_loadcnt_dscnt 0x0
	ds_store_b128 v9, v[66:69]
	flat_load_b128 v[66:69], v[57:58]
	v_add_co_u32 v57, vcc_lo, 0x80, v59
	s_wait_alu 0xfffd
	v_add_co_ci_u32_e64 v58, null, 0, v63, vcc_lo
	s_clause 0x1
	scratch_store_b32 off, v8, off
	scratch_store_b96 off, v[4:6], off offset:4
	v_cndmask_b32_e64 v57, 0, v57, s2
	v_cndmask_b32_e64 v58, s7, v58, s2
	s_wait_loadcnt_dscnt 0x0
	ds_store_b128 v9, v[66:69] offset:4608
	flat_load_b128 v[66:69], v[57:58]
	v_add_co_u32 v57, vcc_lo, 0x80, v64
	s_wait_alu 0xfffd
	v_add_co_ci_u32_e64 v58, null, 0, v65, vcc_lo
	s_clause 0x1
	scratch_store_b32 off, v8, off
	scratch_store_b96 off, v[4:6], off offset:4
	v_cndmask_b32_e64 v57, 0, v57, s3
                                        ; implicit-def: $vgpr4
	v_cndmask_b32_e64 v58, s7, v58, s3
	s_wait_loadcnt_dscnt 0x0
	ds_store_b128 v9, v[66:69] offset:9216
	flat_load_b128 v[63:66], v[57:58]
	s_wait_loadcnt_dscnt 0x0
	ds_store_b128 v9, v[63:66] offset:13824
	s_wait_storecnt_dscnt 0x0
	s_barrier_signal -1
	s_barrier_wait -1
	global_inv scope:SCOPE_SE
	ds_load_b128 v[63:66], v54
	ds_load_b128 v[67:70], v35 offset:26752
	ds_load_b128 v[71:74], v35 offset:27008
	;; [unrolled: 1-line block ×7, first 2 shown]
	s_wait_dscnt 0x6
	;;#ASMSTART
	v_dot2_f32_f16 v7, v63, v67, v7
	;;#ASMEND
	;;#ASMSTART
	v_dot2_f32_f16 v7, v64, v68, v7
	;;#ASMEND
	;;#ASMSTART
	v_dot2_f32_f16 v7, v65, v69, v7
	;;#ASMEND
	;;#ASMSTART
	v_dot2_f32_f16 v7, v66, v70, v7
	;;#ASMEND
	s_wait_dscnt 0x5
	;;#ASMSTART
	v_dot2_f32_f16 v62, v63, v71, v62
	;;#ASMEND
	;;#ASMSTART
	v_dot2_f32_f16 v62, v64, v72, v62
	;;#ASMEND
	;;#ASMSTART
	v_dot2_f32_f16 v62, v65, v73, v62
	;;#ASMEND
	;;#ASMSTART
	v_dot2_f32_f16 v62, v66, v74, v62
	;;#ASMEND
	s_wait_dscnt 0x4
	;;#ASMSTART
	v_dot2_f32_f16 v17, v63, v75, v17
	;;#ASMEND
	;;#ASMSTART
	v_dot2_f32_f16 v17, v64, v76, v17
	;;#ASMEND
	;;#ASMSTART
	v_dot2_f32_f16 v17, v65, v77, v17
	;;#ASMEND
	;;#ASMSTART
	v_dot2_f32_f16 v17, v66, v78, v17
	;;#ASMEND
	s_wait_dscnt 0x3
	;;#ASMSTART
	v_dot2_f32_f16 v13, v63, v79, v13
	;;#ASMEND
	;;#ASMSTART
	v_dot2_f32_f16 v13, v64, v80, v13
	;;#ASMEND
	;;#ASMSTART
	v_dot2_f32_f16 v13, v65, v81, v13
	;;#ASMEND
	;;#ASMSTART
	v_dot2_f32_f16 v13, v66, v82, v13
	;;#ASMEND
	s_wait_dscnt 0x2
	;;#ASMSTART
	v_dot2_f32_f16 v56, v83, v67, v56
	;;#ASMEND
	;;#ASMSTART
	v_dot2_f32_f16 v56, v84, v68, v56
	;;#ASMEND
	;;#ASMSTART
	v_dot2_f32_f16 v56, v85, v69, v56
	;;#ASMEND
	;;#ASMSTART
	v_dot2_f32_f16 v56, v86, v70, v56
	;;#ASMEND
	;;#ASMSTART
	v_dot2_f32_f16 v61, v83, v71, v61
	;;#ASMEND
	;;#ASMSTART
	v_dot2_f32_f16 v61, v84, v72, v61
	;;#ASMEND
	;; [unrolled: 3-line block ×12, first 2 shown]
	s_wait_dscnt 0x1
	;;#ASMSTART
	v_dot2_f32_f16 v55, v87, v67, v55
	;;#ASMEND
	;;#ASMSTART
	v_dot2_f32_f16 v55, v88, v68, v55
	;;#ASMEND
	;; [unrolled: 3-line block ×16, first 2 shown]
	s_wait_dscnt 0x0
	;;#ASMSTART
	v_dot2_f32_f16 v19, v91, v67, v19
	;;#ASMEND
	;;#ASMSTART
	v_dot2_f32_f16 v19, v92, v68, v19
	;;#ASMEND
	;; [unrolled: 3-line block ×16, first 2 shown]
	ds_load_b128 v[63:66], v54 offset:16
	ds_load_b128 v[67:70], v35 offset:26768
	ds_load_b128 v[71:74], v35 offset:27024
	ds_load_b128 v[75:78], v35 offset:27280
	ds_load_b128 v[79:82], v35 offset:27536
	ds_load_b128 v[83:86], v54 offset:4624
	ds_load_b128 v[87:90], v54 offset:9232
	ds_load_b128 v[91:94], v54 offset:13840
	s_wait_dscnt 0x6
	;;#ASMSTART
	v_dot2_f32_f16 v7, v63, v67, v7
	;;#ASMEND
	;;#ASMSTART
	v_dot2_f32_f16 v7, v64, v68, v7
	;;#ASMEND
	;;#ASMSTART
	v_dot2_f32_f16 v7, v65, v69, v7
	;;#ASMEND
	;;#ASMSTART
	v_dot2_f32_f16 v7, v66, v70, v7
	;;#ASMEND
	s_wait_dscnt 0x5
	;;#ASMSTART
	v_dot2_f32_f16 v62, v63, v71, v62
	;;#ASMEND
	;;#ASMSTART
	v_dot2_f32_f16 v62, v64, v72, v62
	;;#ASMEND
	;;#ASMSTART
	v_dot2_f32_f16 v62, v65, v73, v62
	;;#ASMEND
	;;#ASMSTART
	v_dot2_f32_f16 v62, v66, v74, v62
	;;#ASMEND
	;; [unrolled: 13-line block ×5, first 2 shown]
	;;#ASMSTART
	v_dot2_f32_f16 v61, v83, v71, v61
	;;#ASMEND
	;;#ASMSTART
	v_dot2_f32_f16 v61, v84, v72, v61
	;;#ASMEND
	;; [unrolled: 3-line block ×12, first 2 shown]
	s_wait_dscnt 0x1
	;;#ASMSTART
	v_dot2_f32_f16 v55, v87, v67, v55
	;;#ASMEND
	;;#ASMSTART
	v_dot2_f32_f16 v55, v88, v68, v55
	;;#ASMEND
	;; [unrolled: 3-line block ×16, first 2 shown]
	s_wait_dscnt 0x0
	;;#ASMSTART
	v_dot2_f32_f16 v19, v91, v67, v19
	;;#ASMEND
	;;#ASMSTART
	v_dot2_f32_f16 v19, v92, v68, v19
	;;#ASMEND
	;; [unrolled: 3-line block ×16, first 2 shown]
	ds_load_b128 v[63:66], v54 offset:32
	ds_load_b128 v[67:70], v35 offset:26784
	;; [unrolled: 1-line block ×8, first 2 shown]
	s_wait_dscnt 0x6
	;;#ASMSTART
	v_dot2_f32_f16 v7, v63, v67, v7
	;;#ASMEND
	;;#ASMSTART
	v_dot2_f32_f16 v7, v64, v68, v7
	;;#ASMEND
	;;#ASMSTART
	v_dot2_f32_f16 v7, v65, v69, v7
	;;#ASMEND
	;;#ASMSTART
	v_dot2_f32_f16 v7, v66, v70, v7
	;;#ASMEND
	s_wait_dscnt 0x5
	;;#ASMSTART
	v_dot2_f32_f16 v62, v63, v71, v62
	;;#ASMEND
	;;#ASMSTART
	v_dot2_f32_f16 v62, v64, v72, v62
	;;#ASMEND
	;;#ASMSTART
	v_dot2_f32_f16 v62, v65, v73, v62
	;;#ASMEND
	;;#ASMSTART
	v_dot2_f32_f16 v62, v66, v74, v62
	;;#ASMEND
	;; [unrolled: 13-line block ×5, first 2 shown]
	;;#ASMSTART
	v_dot2_f32_f16 v61, v83, v71, v61
	;;#ASMEND
	;;#ASMSTART
	v_dot2_f32_f16 v61, v84, v72, v61
	;;#ASMEND
	;; [unrolled: 3-line block ×12, first 2 shown]
	s_wait_dscnt 0x1
	;;#ASMSTART
	v_dot2_f32_f16 v55, v87, v67, v55
	;;#ASMEND
	;;#ASMSTART
	v_dot2_f32_f16 v55, v88, v68, v55
	;;#ASMEND
	;; [unrolled: 3-line block ×16, first 2 shown]
	s_wait_dscnt 0x0
	;;#ASMSTART
	v_dot2_f32_f16 v19, v91, v67, v19
	;;#ASMEND
	;;#ASMSTART
	v_dot2_f32_f16 v19, v92, v68, v19
	;;#ASMEND
	;; [unrolled: 3-line block ×16, first 2 shown]
	ds_load_b128 v[63:66], v54 offset:48
	ds_load_b128 v[67:70], v35 offset:26800
	;; [unrolled: 1-line block ×8, first 2 shown]
	s_wait_dscnt 0x6
	;;#ASMSTART
	v_dot2_f32_f16 v7, v63, v67, v7
	;;#ASMEND
	;;#ASMSTART
	v_dot2_f32_f16 v7, v64, v68, v7
	;;#ASMEND
	;;#ASMSTART
	v_dot2_f32_f16 v7, v65, v69, v7
	;;#ASMEND
	;;#ASMSTART
	v_dot2_f32_f16 v7, v66, v70, v7
	;;#ASMEND
	s_wait_dscnt 0x5
	;;#ASMSTART
	v_dot2_f32_f16 v62, v63, v71, v62
	;;#ASMEND
	;;#ASMSTART
	v_dot2_f32_f16 v62, v64, v72, v62
	;;#ASMEND
	;;#ASMSTART
	v_dot2_f32_f16 v62, v65, v73, v62
	;;#ASMEND
	;;#ASMSTART
	v_dot2_f32_f16 v62, v66, v74, v62
	;;#ASMEND
	;; [unrolled: 13-line block ×5, first 2 shown]
	;;#ASMSTART
	v_dot2_f32_f16 v61, v83, v71, v61
	;;#ASMEND
	;;#ASMSTART
	v_dot2_f32_f16 v61, v84, v72, v61
	;;#ASMEND
	;; [unrolled: 3-line block ×12, first 2 shown]
	s_wait_dscnt 0x1
	;;#ASMSTART
	v_dot2_f32_f16 v55, v87, v67, v55
	;;#ASMEND
	;;#ASMSTART
	v_dot2_f32_f16 v55, v88, v68, v55
	;;#ASMEND
	;; [unrolled: 3-line block ×16, first 2 shown]
	s_wait_dscnt 0x0
	;;#ASMSTART
	v_dot2_f32_f16 v19, v91, v67, v19
	;;#ASMEND
	;;#ASMSTART
	v_dot2_f32_f16 v19, v92, v68, v19
	;;#ASMEND
	;; [unrolled: 3-line block ×16, first 2 shown]
	ds_load_b128 v[63:66], v54 offset:64
	ds_load_b128 v[67:70], v35 offset:26816
	ds_load_b128 v[71:74], v35 offset:27072
	ds_load_b128 v[75:78], v35 offset:27328
	ds_load_b128 v[79:82], v35 offset:27584
	ds_load_b128 v[83:86], v54 offset:4672
	ds_load_b128 v[87:90], v54 offset:9280
	ds_load_b128 v[91:94], v54 offset:13888
	s_wait_dscnt 0x6
	;;#ASMSTART
	v_dot2_f32_f16 v7, v63, v67, v7
	;;#ASMEND
	;;#ASMSTART
	v_dot2_f32_f16 v7, v64, v68, v7
	;;#ASMEND
	;;#ASMSTART
	v_dot2_f32_f16 v7, v65, v69, v7
	;;#ASMEND
	;;#ASMSTART
	v_dot2_f32_f16 v7, v66, v70, v7
	;;#ASMEND
	s_wait_dscnt 0x5
	;;#ASMSTART
	v_dot2_f32_f16 v62, v63, v71, v62
	;;#ASMEND
	;;#ASMSTART
	v_dot2_f32_f16 v62, v64, v72, v62
	;;#ASMEND
	;;#ASMSTART
	v_dot2_f32_f16 v62, v65, v73, v62
	;;#ASMEND
	;;#ASMSTART
	v_dot2_f32_f16 v62, v66, v74, v62
	;;#ASMEND
	;; [unrolled: 13-line block ×5, first 2 shown]
	;;#ASMSTART
	v_dot2_f32_f16 v61, v83, v71, v61
	;;#ASMEND
	;;#ASMSTART
	v_dot2_f32_f16 v61, v84, v72, v61
	;;#ASMEND
	;; [unrolled: 3-line block ×12, first 2 shown]
	s_wait_dscnt 0x1
	;;#ASMSTART
	v_dot2_f32_f16 v55, v87, v67, v55
	;;#ASMEND
	;;#ASMSTART
	v_dot2_f32_f16 v55, v88, v68, v55
	;;#ASMEND
	;; [unrolled: 3-line block ×16, first 2 shown]
	s_wait_dscnt 0x0
	;;#ASMSTART
	v_dot2_f32_f16 v19, v91, v67, v19
	;;#ASMEND
	;;#ASMSTART
	v_dot2_f32_f16 v19, v92, v68, v19
	;;#ASMEND
	;; [unrolled: 3-line block ×16, first 2 shown]
	ds_load_b128 v[63:66], v54 offset:80
	ds_load_b128 v[67:70], v35 offset:26832
	;; [unrolled: 1-line block ×8, first 2 shown]
	s_wait_dscnt 0x6
	;;#ASMSTART
	v_dot2_f32_f16 v7, v63, v67, v7
	;;#ASMEND
	;;#ASMSTART
	v_dot2_f32_f16 v7, v64, v68, v7
	;;#ASMEND
	;;#ASMSTART
	v_dot2_f32_f16 v7, v65, v69, v7
	;;#ASMEND
	;;#ASMSTART
	v_dot2_f32_f16 v7, v66, v70, v7
	;;#ASMEND
	s_wait_dscnt 0x5
	;;#ASMSTART
	v_dot2_f32_f16 v62, v63, v71, v62
	;;#ASMEND
	;;#ASMSTART
	v_dot2_f32_f16 v62, v64, v72, v62
	;;#ASMEND
	;;#ASMSTART
	v_dot2_f32_f16 v62, v65, v73, v62
	;;#ASMEND
	;;#ASMSTART
	v_dot2_f32_f16 v62, v66, v74, v62
	;;#ASMEND
	;; [unrolled: 13-line block ×5, first 2 shown]
	;;#ASMSTART
	v_dot2_f32_f16 v61, v83, v71, v61
	;;#ASMEND
	;;#ASMSTART
	v_dot2_f32_f16 v61, v84, v72, v61
	;;#ASMEND
	;; [unrolled: 3-line block ×12, first 2 shown]
	s_wait_dscnt 0x1
	;;#ASMSTART
	v_dot2_f32_f16 v55, v87, v67, v55
	;;#ASMEND
	;;#ASMSTART
	v_dot2_f32_f16 v55, v88, v68, v55
	;;#ASMEND
	;; [unrolled: 3-line block ×16, first 2 shown]
	s_wait_dscnt 0x0
	;;#ASMSTART
	v_dot2_f32_f16 v19, v91, v67, v19
	;;#ASMEND
	;;#ASMSTART
	v_dot2_f32_f16 v19, v92, v68, v19
	;;#ASMEND
	;; [unrolled: 3-line block ×16, first 2 shown]
	ds_load_b128 v[63:66], v54 offset:96
	ds_load_b128 v[67:70], v35 offset:26848
	;; [unrolled: 1-line block ×8, first 2 shown]
	s_wait_dscnt 0x6
	;;#ASMSTART
	v_dot2_f32_f16 v7, v63, v67, v7
	;;#ASMEND
	;;#ASMSTART
	v_dot2_f32_f16 v7, v64, v68, v7
	;;#ASMEND
	;;#ASMSTART
	v_dot2_f32_f16 v7, v65, v69, v7
	;;#ASMEND
	;;#ASMSTART
	v_dot2_f32_f16 v7, v66, v70, v7
	;;#ASMEND
	s_wait_dscnt 0x5
	;;#ASMSTART
	v_dot2_f32_f16 v62, v63, v71, v62
	;;#ASMEND
	;;#ASMSTART
	v_dot2_f32_f16 v62, v64, v72, v62
	;;#ASMEND
	;;#ASMSTART
	v_dot2_f32_f16 v62, v65, v73, v62
	;;#ASMEND
	;;#ASMSTART
	v_dot2_f32_f16 v62, v66, v74, v62
	;;#ASMEND
	;; [unrolled: 13-line block ×5, first 2 shown]
	;;#ASMSTART
	v_dot2_f32_f16 v61, v83, v71, v61
	;;#ASMEND
	;;#ASMSTART
	v_dot2_f32_f16 v61, v84, v72, v61
	;;#ASMEND
	;; [unrolled: 3-line block ×12, first 2 shown]
	s_wait_dscnt 0x1
	;;#ASMSTART
	v_dot2_f32_f16 v55, v87, v67, v55
	;;#ASMEND
	;;#ASMSTART
	v_dot2_f32_f16 v55, v88, v68, v55
	;;#ASMEND
	;; [unrolled: 3-line block ×16, first 2 shown]
	s_wait_dscnt 0x0
	;;#ASMSTART
	v_dot2_f32_f16 v19, v91, v67, v19
	;;#ASMEND
	;;#ASMSTART
	v_dot2_f32_f16 v19, v92, v68, v19
	;;#ASMEND
	;; [unrolled: 3-line block ×16, first 2 shown]
	ds_load_b128 v[63:66], v54 offset:112
	ds_load_b128 v[67:70], v35 offset:26864
	;; [unrolled: 1-line block ×8, first 2 shown]
	s_wait_dscnt 0x6
	;;#ASMSTART
	v_dot2_f32_f16 v7, v63, v67, v7
	;;#ASMEND
	;;#ASMSTART
	v_dot2_f32_f16 v7, v64, v68, v7
	;;#ASMEND
	;;#ASMSTART
	v_dot2_f32_f16 v7, v65, v69, v7
	;;#ASMEND
	;;#ASMSTART
	v_dot2_f32_f16 v7, v66, v70, v7
	;;#ASMEND
	s_wait_dscnt 0x5
	;;#ASMSTART
	v_dot2_f32_f16 v62, v63, v71, v62
	;;#ASMEND
	;;#ASMSTART
	v_dot2_f32_f16 v62, v64, v72, v62
	;;#ASMEND
	;;#ASMSTART
	v_dot2_f32_f16 v62, v65, v73, v62
	;;#ASMEND
	;;#ASMSTART
	v_dot2_f32_f16 v62, v66, v74, v62
	;;#ASMEND
	;; [unrolled: 13-line block ×5, first 2 shown]
	;;#ASMSTART
	v_dot2_f32_f16 v61, v83, v71, v61
	;;#ASMEND
	;;#ASMSTART
	v_dot2_f32_f16 v61, v84, v72, v61
	;;#ASMEND
	;; [unrolled: 3-line block ×12, first 2 shown]
	s_wait_dscnt 0x1
	;;#ASMSTART
	v_dot2_f32_f16 v55, v87, v67, v55
	;;#ASMEND
	;;#ASMSTART
	v_dot2_f32_f16 v55, v88, v68, v55
	;;#ASMEND
	;; [unrolled: 3-line block ×16, first 2 shown]
	s_wait_dscnt 0x0
	;;#ASMSTART
	v_dot2_f32_f16 v19, v91, v67, v19
	;;#ASMEND
	;;#ASMSTART
	v_dot2_f32_f16 v19, v92, v68, v19
	;;#ASMEND
	;; [unrolled: 3-line block ×9, first 2 shown]
	v_cmp_ngt_f32_e64 s2, 0x3f200000, |v7|
	;;#ASMSTART
	v_dot2_f32_f16 v14, v92, v76, v14
	;;#ASMEND
	;;#ASMSTART
	v_dot2_f32_f16 v14, v93, v77, v14
	;;#ASMEND
	;; [unrolled: 3-line block ×7, first 2 shown]
	s_and_saveexec_b32 s3, s2
	s_wait_alu 0xfffe
	s_xor_b32 s2, exec_lo, s3
	s_cbranch_execz .LBB87_117
; %bb.116:
	v_add_f32_e64 v4, |v7|, |v7|
	s_delay_alu instid0(VALU_DEP_1) | instskip(SKIP_1) | instid1(VALU_DEP_2)
	v_mul_f32_e32 v5, 0x3fb8aa3b, v4
	v_cmp_ngt_f32_e32 vcc_lo, 0xc2ce8ed0, v4
	v_rndne_f32_e32 v6, v5
	v_fma_f32 v8, 0x3fb8aa3b, v4, -v5
	s_delay_alu instid0(VALU_DEP_1) | instskip(SKIP_1) | instid1(VALU_DEP_2)
	v_dual_sub_f32 v5, v5, v6 :: v_dual_fmamk_f32 v8, v4, 0x32a5705f, v8
	v_cvt_i32_f32_e32 v6, v6
	v_add_f32_e32 v5, v5, v8
	s_delay_alu instid0(VALU_DEP_1) | instskip(NEXT) | instid1(TRANS32_DEP_1)
	v_exp_f32_e32 v5, v5
	v_ldexp_f32 v5, v5, v6
	s_wait_alu 0xfffd
	s_delay_alu instid0(VALU_DEP_1) | instskip(SKIP_2) | instid1(VALU_DEP_2)
	v_cndmask_b32_e32 v5, 0, v5, vcc_lo
	v_cmp_nlt_f32_e32 vcc_lo, 0x42b17218, v4
	s_wait_alu 0xfffd
	v_cndmask_b32_e32 v4, 0x7f800000, v5, vcc_lo
	s_delay_alu instid0(VALU_DEP_1) | instskip(NEXT) | instid1(VALU_DEP_1)
	v_add_f32_e32 v4, 1.0, v4
	v_rcp_f32_e32 v4, v4
	s_delay_alu instid0(TRANS32_DEP_1)
	v_fma_f32 v4, v4, -2.0, 1.0
.LBB87_117:
	s_wait_alu 0xfffe
	s_and_not1_saveexec_b32 s2, s2
	s_cbranch_execz .LBB87_119
; %bb.118:
	v_mul_f32_e32 v4, v7, v7
	s_mov_b32 s3, 0xbbbac73d
	s_wait_alu 0xfffe
	s_delay_alu instid0(VALU_DEP_1) | instskip(NEXT) | instid1(VALU_DEP_1)
	v_fmaak_f32 v5, s3, v4, 0x3ca908c9
	v_fmaak_f32 v5, v4, v5, 0xbd5c1c4e
	s_delay_alu instid0(VALU_DEP_1) | instskip(NEXT) | instid1(VALU_DEP_1)
	v_fmaak_f32 v5, v4, v5, 0x3e088382
	v_fmaak_f32 v5, v4, v5, 0xbeaaaa99
	s_delay_alu instid0(VALU_DEP_1) | instskip(NEXT) | instid1(VALU_DEP_1)
	v_mul_f32_e64 v5, |v7|, v5
	v_fma_f32 v4, v4, v5, |v7|
.LBB87_119:
	s_wait_alu 0xfffe
	s_or_b32 exec_lo, exec_lo, s2
	s_delay_alu instid0(VALU_DEP_1)
	v_bfi_b32 v4, 0x7fffffff, v4, v7
	s_cmp_lg_u64 s[38:39], 0
	v_mad_co_u64_u32 v[8:9], null, v53, s30, s[24:25]
	s_cselect_b32 s4, -1, 0
	v_dual_mul_f32 v54, s11, v4 :: v_dual_mov_b32 v7, v3
	v_cmp_gt_i32_e64 s2, s29, v33
	s_wait_alu 0xfffe
	v_cndmask_b32_e64 v65, 0, 1, s4
	v_dual_mov_b32 v6, v2 :: v_dual_mov_b32 v5, v1
	v_mov_b32_e32 v4, v0
	s_and_saveexec_b32 s3, s2
	s_cbranch_execz .LBB87_124
; %bb.120:
	s_and_not1_b32 vcc_lo, exec_lo, s4
	s_wait_alu 0xfffe
	s_cbranch_vccnz .LBB87_122
; %bb.121:
	v_add_nc_u32_e32 v4, v8, v33
	s_delay_alu instid0(VALU_DEP_1) | instskip(NEXT) | instid1(VALU_DEP_1)
	v_ashrrev_i32_e32 v5, 31, v4
	v_lshlrev_b64_e32 v[4:5], 1, v[4:5]
	s_delay_alu instid0(VALU_DEP_1) | instskip(SKIP_1) | instid1(VALU_DEP_2)
	v_add_co_u32 v4, vcc_lo, s38, v4
	s_wait_alu 0xfffd
	v_add_co_ci_u32_e64 v5, null, s39, v5, vcc_lo
	global_load_u16 v4, v[4:5], off
	s_wait_loadcnt 0x0
	v_cvt_f32_f16_e32 v4, v4
	s_delay_alu instid0(VALU_DEP_1)
	v_mul_f32_e32 v4, v48, v4
	s_branch .LBB87_123
.LBB87_122:
	v_mov_b32_e32 v4, 0
.LBB87_123:
	s_delay_alu instid0(VALU_DEP_1) | instskip(NEXT) | instid1(VALU_DEP_1)
	v_add_f32_e32 v54, v54, v4
	v_dual_max_num_f32 v5, v0, v0 :: v_dual_add_f32 v4, 0x40051340, v54
	s_delay_alu instid0(VALU_DEP_1) | instskip(SKIP_3) | instid1(VALU_DEP_4)
	v_max_num_f32_e32 v9, v5, v4
	v_mov_b32_e32 v7, v3
	v_dual_mov_b32 v5, v1 :: v_dual_mov_b32 v4, v0
	v_mov_b32_e32 v6, v2
	v_mov_b32_e32 v4, v9
.LBB87_124:
	s_wait_alu 0xfffe
	s_or_b32 exec_lo, exec_lo, s3
	v_cmp_ngt_f32_e64 s3, 0x3f200000, |v56|
                                        ; implicit-def: $vgpr9
	s_and_saveexec_b32 s4, s3
	s_wait_alu 0xfffe
	s_xor_b32 s3, exec_lo, s4
	s_cbranch_execz .LBB87_126
; %bb.125:
	v_add_f32_e64 v9, |v56|, |v56|
	s_delay_alu instid0(VALU_DEP_1) | instskip(SKIP_1) | instid1(VALU_DEP_2)
	v_mul_f32_e32 v53, 0x3fb8aa3b, v9
	v_cmp_ngt_f32_e32 vcc_lo, 0xc2ce8ed0, v9
	v_rndne_f32_e32 v57, v53
	v_fma_f32 v58, 0x3fb8aa3b, v9, -v53
	s_delay_alu instid0(VALU_DEP_2) | instskip(NEXT) | instid1(VALU_DEP_2)
	v_sub_f32_e32 v53, v53, v57
	v_fmamk_f32 v58, v9, 0x32a5705f, v58
	v_cvt_i32_f32_e32 v57, v57
	s_delay_alu instid0(VALU_DEP_2) | instskip(NEXT) | instid1(VALU_DEP_1)
	v_add_f32_e32 v53, v53, v58
	v_exp_f32_e32 v53, v53
	s_delay_alu instid0(TRANS32_DEP_1) | instskip(SKIP_1) | instid1(VALU_DEP_1)
	v_ldexp_f32 v53, v53, v57
	s_wait_alu 0xfffd
	v_cndmask_b32_e32 v53, 0, v53, vcc_lo
	v_cmp_nlt_f32_e32 vcc_lo, 0x42b17218, v9
	s_wait_alu 0xfffd
	s_delay_alu instid0(VALU_DEP_2) | instskip(NEXT) | instid1(VALU_DEP_1)
	v_cndmask_b32_e32 v9, 0x7f800000, v53, vcc_lo
	v_add_f32_e32 v9, 1.0, v9
	s_delay_alu instid0(VALU_DEP_1) | instskip(NEXT) | instid1(TRANS32_DEP_1)
	v_rcp_f32_e32 v9, v9
	v_fma_f32 v9, v9, -2.0, 1.0
.LBB87_126:
	s_wait_alu 0xfffe
	s_and_not1_saveexec_b32 s3, s3
	s_cbranch_execz .LBB87_128
; %bb.127:
	v_mul_f32_e32 v9, v56, v56
	s_mov_b32 s4, 0xbbbac73d
	s_wait_alu 0xfffe
	s_delay_alu instid0(VALU_DEP_1) | instskip(NEXT) | instid1(VALU_DEP_1)
	v_fmaak_f32 v53, s4, v9, 0x3ca908c9
	v_fmaak_f32 v53, v9, v53, 0xbd5c1c4e
	s_delay_alu instid0(VALU_DEP_1) | instskip(NEXT) | instid1(VALU_DEP_1)
	v_fmaak_f32 v53, v9, v53, 0x3e088382
	v_fmaak_f32 v53, v9, v53, 0xbeaaaa99
	s_delay_alu instid0(VALU_DEP_1) | instskip(NEXT) | instid1(VALU_DEP_1)
	v_mul_f32_e64 v53, |v56|, v53
	v_fma_f32 v9, v9, v53, |v56|
.LBB87_128:
	s_wait_alu 0xfffe
	s_or_b32 exec_lo, exec_lo, s3
	s_delay_alu instid0(VALU_DEP_1) | instskip(SKIP_1) | instid1(VALU_DEP_2)
	v_bfi_b32 v9, 0x7fffffff, v9, v56
	v_add_nc_u32_e32 v63, 32, v33
	v_mul_f32_e32 v53, s11, v9
	s_delay_alu instid0(VALU_DEP_2)
	v_cmp_gt_i32_e64 s3, s29, v63
	s_and_saveexec_b32 s4, s3
	s_cbranch_execz .LBB87_133
; %bb.129:
	v_cmp_ne_u32_e32 vcc_lo, 1, v65
	s_cbranch_vccnz .LBB87_131
; %bb.130:
	v_ashrrev_i32_e32 v9, 31, v8
	v_add_co_u32 v56, vcc_lo, v8, v33
	s_wait_alu 0xfffd
	s_delay_alu instid0(VALU_DEP_2) | instskip(NEXT) | instid1(VALU_DEP_1)
	v_add_co_ci_u32_e64 v57, null, 0, v9, vcc_lo
	v_lshlrev_b64_e32 v[56:57], 1, v[56:57]
	s_delay_alu instid0(VALU_DEP_1) | instskip(SKIP_1) | instid1(VALU_DEP_2)
	v_add_co_u32 v56, vcc_lo, s38, v56
	s_wait_alu 0xfffd
	v_add_co_ci_u32_e64 v57, null, s39, v57, vcc_lo
	global_load_u16 v9, v[56:57], off offset:64
	s_wait_loadcnt 0x0
	v_cvt_f32_f16_e32 v9, v9
	s_delay_alu instid0(VALU_DEP_1)
	v_mul_f32_e32 v9, v48, v9
	s_branch .LBB87_132
.LBB87_131:
	v_mov_b32_e32 v9, 0
.LBB87_132:
	s_delay_alu instid0(VALU_DEP_1) | instskip(NEXT) | instid1(VALU_DEP_1)
	v_dual_add_f32 v53, v53, v9 :: v_dual_max_num_f32 v4, v4, v4
	v_add_f32_e32 v9, 0x40051340, v53
	s_delay_alu instid0(VALU_DEP_1)
	v_max_num_f32_e32 v4, v4, v9
.LBB87_133:
	s_wait_alu 0xfffe
	s_or_b32 exec_lo, exec_lo, s4
	v_cmp_ngt_f32_e64 s4, 0x3f200000, |v55|
                                        ; implicit-def: $vgpr9
	s_and_saveexec_b32 s5, s4
	s_wait_alu 0xfffe
	s_xor_b32 s4, exec_lo, s5
	s_cbranch_execz .LBB87_135
; %bb.134:
	v_add_f32_e64 v9, |v55|, |v55|
	s_delay_alu instid0(VALU_DEP_1) | instskip(SKIP_1) | instid1(VALU_DEP_2)
	v_mul_f32_e32 v56, 0x3fb8aa3b, v9
	v_cmp_ngt_f32_e32 vcc_lo, 0xc2ce8ed0, v9
	v_rndne_f32_e32 v57, v56
	v_fma_f32 v58, 0x3fb8aa3b, v9, -v56
	s_delay_alu instid0(VALU_DEP_2) | instskip(NEXT) | instid1(VALU_DEP_2)
	v_sub_f32_e32 v56, v56, v57
	v_fmamk_f32 v58, v9, 0x32a5705f, v58
	v_cvt_i32_f32_e32 v57, v57
	s_delay_alu instid0(VALU_DEP_2) | instskip(NEXT) | instid1(VALU_DEP_1)
	v_add_f32_e32 v56, v56, v58
	v_exp_f32_e32 v56, v56
	s_delay_alu instid0(TRANS32_DEP_1) | instskip(SKIP_1) | instid1(VALU_DEP_1)
	v_ldexp_f32 v56, v56, v57
	s_wait_alu 0xfffd
	v_cndmask_b32_e32 v56, 0, v56, vcc_lo
	v_cmp_nlt_f32_e32 vcc_lo, 0x42b17218, v9
	s_wait_alu 0xfffd
	s_delay_alu instid0(VALU_DEP_2) | instskip(NEXT) | instid1(VALU_DEP_1)
	v_cndmask_b32_e32 v9, 0x7f800000, v56, vcc_lo
	v_add_f32_e32 v9, 1.0, v9
	s_delay_alu instid0(VALU_DEP_1) | instskip(NEXT) | instid1(TRANS32_DEP_1)
	v_rcp_f32_e32 v9, v9
	v_fma_f32 v9, v9, -2.0, 1.0
.LBB87_135:
	s_wait_alu 0xfffe
	s_and_not1_saveexec_b32 s4, s4
	s_cbranch_execz .LBB87_137
; %bb.136:
	v_mul_f32_e32 v9, v55, v55
	s_mov_b32 s5, 0xbbbac73d
	s_wait_alu 0xfffe
	s_delay_alu instid0(VALU_DEP_1) | instskip(NEXT) | instid1(VALU_DEP_1)
	v_fmaak_f32 v56, s5, v9, 0x3ca908c9
	v_fmaak_f32 v56, v9, v56, 0xbd5c1c4e
	s_delay_alu instid0(VALU_DEP_1) | instskip(NEXT) | instid1(VALU_DEP_1)
	v_fmaak_f32 v56, v9, v56, 0x3e088382
	v_fmaak_f32 v56, v9, v56, 0xbeaaaa99
	s_delay_alu instid0(VALU_DEP_1) | instskip(NEXT) | instid1(VALU_DEP_1)
	v_mul_f32_e64 v56, |v55|, v56
	v_fma_f32 v9, v9, v56, |v55|
.LBB87_137:
	s_wait_alu 0xfffe
	s_or_b32 exec_lo, exec_lo, s4
	s_delay_alu instid0(VALU_DEP_1) | instskip(SKIP_1) | instid1(VALU_DEP_2)
	v_bfi_b32 v9, 0x7fffffff, v9, v55
	v_add_nc_u32_e32 v66, 64, v33
	v_mul_f32_e32 v64, s11, v9
	s_delay_alu instid0(VALU_DEP_2)
	v_cmp_gt_i32_e64 s4, s29, v66
	s_and_saveexec_b32 s5, s4
	s_cbranch_execz .LBB87_142
; %bb.138:
	v_cmp_ne_u32_e32 vcc_lo, 1, v65
	s_cbranch_vccnz .LBB87_140
; %bb.139:
	v_ashrrev_i32_e32 v9, 31, v8
	v_add_co_u32 v55, vcc_lo, v8, v33
	s_wait_alu 0xfffd
	s_delay_alu instid0(VALU_DEP_2) | instskip(NEXT) | instid1(VALU_DEP_1)
	v_add_co_ci_u32_e64 v56, null, 0, v9, vcc_lo
	v_lshlrev_b64_e32 v[55:56], 1, v[55:56]
	s_delay_alu instid0(VALU_DEP_1) | instskip(SKIP_1) | instid1(VALU_DEP_2)
	v_add_co_u32 v55, vcc_lo, s38, v55
	s_wait_alu 0xfffd
	v_add_co_ci_u32_e64 v56, null, s39, v56, vcc_lo
	global_load_u16 v9, v[55:56], off offset:128
	s_wait_loadcnt 0x0
	v_cvt_f32_f16_e32 v9, v9
	s_delay_alu instid0(VALU_DEP_1)
	v_mul_f32_e32 v9, v48, v9
	s_branch .LBB87_141
.LBB87_140:
	v_mov_b32_e32 v9, 0
.LBB87_141:
	s_delay_alu instid0(VALU_DEP_1) | instskip(SKIP_1) | instid1(VALU_DEP_2)
	v_add_f32_e32 v64, v64, v9
	v_max_num_f32_e32 v4, v4, v4
	v_add_f32_e32 v9, 0x40051340, v64
	s_delay_alu instid0(VALU_DEP_1)
	v_max_num_f32_e32 v4, v4, v9
.LBB87_142:
	s_wait_alu 0xfffe
	s_or_b32 exec_lo, exec_lo, s5
	v_cmp_ngt_f32_e64 s5, 0x3f200000, |v19|
                                        ; implicit-def: $vgpr9
	s_and_saveexec_b32 s6, s5
	s_wait_alu 0xfffe
	s_xor_b32 s5, exec_lo, s6
	s_cbranch_execz .LBB87_144
; %bb.143:
	v_add_f32_e64 v9, |v19|, |v19|
	s_delay_alu instid0(VALU_DEP_1) | instskip(SKIP_1) | instid1(VALU_DEP_2)
	v_mul_f32_e32 v55, 0x3fb8aa3b, v9
	v_cmp_ngt_f32_e32 vcc_lo, 0xc2ce8ed0, v9
	v_rndne_f32_e32 v56, v55
	v_fma_f32 v57, 0x3fb8aa3b, v9, -v55
	s_delay_alu instid0(VALU_DEP_2) | instskip(NEXT) | instid1(VALU_DEP_2)
	v_sub_f32_e32 v55, v55, v56
	v_fmamk_f32 v57, v9, 0x32a5705f, v57
	v_cvt_i32_f32_e32 v56, v56
	s_delay_alu instid0(VALU_DEP_2) | instskip(NEXT) | instid1(VALU_DEP_1)
	v_add_f32_e32 v55, v55, v57
	v_exp_f32_e32 v55, v55
	s_delay_alu instid0(TRANS32_DEP_1) | instskip(SKIP_1) | instid1(VALU_DEP_1)
	v_ldexp_f32 v55, v55, v56
	s_wait_alu 0xfffd
	v_cndmask_b32_e32 v55, 0, v55, vcc_lo
	v_cmp_nlt_f32_e32 vcc_lo, 0x42b17218, v9
	s_wait_alu 0xfffd
	s_delay_alu instid0(VALU_DEP_2) | instskip(NEXT) | instid1(VALU_DEP_1)
	v_cndmask_b32_e32 v9, 0x7f800000, v55, vcc_lo
	v_add_f32_e32 v9, 1.0, v9
	s_delay_alu instid0(VALU_DEP_1) | instskip(NEXT) | instid1(TRANS32_DEP_1)
	v_rcp_f32_e32 v9, v9
	v_fma_f32 v9, v9, -2.0, 1.0
.LBB87_144:
	s_wait_alu 0xfffe
	s_and_not1_saveexec_b32 s5, s5
	s_cbranch_execz .LBB87_146
; %bb.145:
	v_mul_f32_e32 v9, v19, v19
	s_mov_b32 s6, 0xbbbac73d
	s_wait_alu 0xfffe
	s_delay_alu instid0(VALU_DEP_1) | instskip(NEXT) | instid1(VALU_DEP_1)
	v_fmaak_f32 v55, s6, v9, 0x3ca908c9
	v_fmaak_f32 v55, v9, v55, 0xbd5c1c4e
	s_delay_alu instid0(VALU_DEP_1) | instskip(NEXT) | instid1(VALU_DEP_1)
	v_fmaak_f32 v55, v9, v55, 0x3e088382
	v_fmaak_f32 v55, v9, v55, 0xbeaaaa99
	s_delay_alu instid0(VALU_DEP_1) | instskip(NEXT) | instid1(VALU_DEP_1)
	v_mul_f32_e64 v55, |v19|, v55
	v_fma_f32 v9, v9, v55, |v19|
.LBB87_146:
	s_wait_alu 0xfffe
	s_or_b32 exec_lo, exec_lo, s5
	s_delay_alu instid0(VALU_DEP_1) | instskip(SKIP_1) | instid1(VALU_DEP_2)
	v_bfi_b32 v9, 0x7fffffff, v9, v19
	v_add_nc_u32_e32 v70, 0x60, v33
	v_mul_f32_e32 v67, s11, v9
	s_delay_alu instid0(VALU_DEP_2)
	v_cmp_gt_i32_e64 s5, s29, v70
	s_and_saveexec_b32 s6, s5
	s_cbranch_execz .LBB87_151
; %bb.147:
	v_cmp_ne_u32_e32 vcc_lo, 1, v65
	s_cbranch_vccnz .LBB87_149
; %bb.148:
	v_ashrrev_i32_e32 v9, 31, v8
	v_add_co_u32 v8, vcc_lo, v8, v33
	s_wait_alu 0xfffd
	s_delay_alu instid0(VALU_DEP_2) | instskip(NEXT) | instid1(VALU_DEP_1)
	v_add_co_ci_u32_e64 v9, null, 0, v9, vcc_lo
	v_lshlrev_b64_e32 v[8:9], 1, v[8:9]
	s_delay_alu instid0(VALU_DEP_1) | instskip(SKIP_1) | instid1(VALU_DEP_2)
	v_add_co_u32 v8, vcc_lo, s38, v8
	s_wait_alu 0xfffd
	v_add_co_ci_u32_e64 v9, null, s39, v9, vcc_lo
	global_load_u16 v8, v[8:9], off offset:192
	s_wait_loadcnt 0x0
	v_cvt_f32_f16_e32 v8, v8
	s_delay_alu instid0(VALU_DEP_1)
	v_mul_f32_e32 v8, v48, v8
	s_branch .LBB87_150
.LBB87_149:
	v_mov_b32_e32 v8, 0
.LBB87_150:
	s_delay_alu instid0(VALU_DEP_1) | instskip(SKIP_1) | instid1(VALU_DEP_2)
	v_add_f32_e32 v67, v67, v8
	v_max_num_f32_e32 v4, v4, v4
	v_add_f32_e32 v8, 0x40051340, v67
	s_delay_alu instid0(VALU_DEP_1)
	v_max_num_f32_e32 v4, v4, v8
.LBB87_151:
	s_wait_alu 0xfffe
	s_or_b32 exec_lo, exec_lo, s6
	v_xor_b32_e32 v59, 16, v34
	v_xor_b32_e32 v58, 8, v34
	;; [unrolled: 1-line block ×5, first 2 shown]
	v_cmp_gt_i32_e32 vcc_lo, 32, v59
	v_cmp_ngt_f32_e64 s6, 0x3f200000, |v62|
	s_wait_alu 0xfffd
	v_dual_mov_b32 v19, 32 :: v_dual_cndmask_b32 v8, v34, v59
	v_cmp_gt_i32_e32 vcc_lo, 32, v58
	s_wait_alu 0xfffd
	v_cndmask_b32_e32 v9, v34, v58, vcc_lo
	v_cmp_gt_i32_e32 vcc_lo, 32, v57
	s_delay_alu instid0(VALU_DEP_2)
	v_lshlrev_b32_e32 v69, 2, v9
	s_wait_alu 0xfffd
	v_dual_cndmask_b32 v9, v34, v57 :: v_dual_lshlrev_b32 v68, 2, v8
	v_cmp_gt_i32_e32 vcc_lo, 32, v56
	ds_bpermute_b32 v8, v68, v4
	v_dual_max_num_f32 v4, v4, v4 :: v_dual_lshlrev_b32 v71, 2, v9
	s_wait_alu 0xfffd
	v_cndmask_b32_e32 v9, v34, v56, vcc_lo
	v_cmp_gt_i32_e32 vcc_lo, 32, v55
	s_wait_alu 0xfffd
	s_delay_alu instid0(VALU_DEP_2) | instskip(NEXT) | instid1(VALU_DEP_1)
	v_dual_cndmask_b32 v9, v34, v55 :: v_dual_lshlrev_b32 v72, 2, v9
	v_lshlrev_b32_e32 v73, 2, v9
                                        ; implicit-def: $vgpr9
	s_wait_dscnt 0x0
	v_max_num_f32_e32 v8, v8, v8
	s_delay_alu instid0(VALU_DEP_1) | instskip(SKIP_3) | instid1(VALU_DEP_1)
	v_max_num_f32_e32 v4, v4, v8
	ds_bpermute_b32 v8, v69, v4
	s_wait_dscnt 0x0
	v_max_num_f32_e32 v8, v8, v8
	v_max_num_f32_e32 v4, v4, v8
	ds_bpermute_b32 v8, v71, v4
	s_wait_dscnt 0x0
	v_max_num_f32_e32 v8, v8, v8
	s_delay_alu instid0(VALU_DEP_1) | instskip(SKIP_3) | instid1(VALU_DEP_1)
	v_max_num_f32_e32 v4, v4, v8
	ds_bpermute_b32 v8, v72, v4
	s_wait_dscnt 0x0
	v_max_num_f32_e32 v8, v8, v8
	v_max_num_f32_e32 v4, v4, v8
	ds_bpermute_b32 v8, v73, v4
	s_and_saveexec_b32 s7, s6
	s_wait_alu 0xfffe
	s_xor_b32 s6, exec_lo, s7
	s_cbranch_execz .LBB87_153
; %bb.152:
	v_add_f32_e64 v9, |v62|, |v62|
	s_delay_alu instid0(VALU_DEP_1) | instskip(SKIP_1) | instid1(VALU_DEP_2)
	v_mul_f32_e32 v74, 0x3fb8aa3b, v9
	v_cmp_ngt_f32_e32 vcc_lo, 0xc2ce8ed0, v9
	v_rndne_f32_e32 v75, v74
	v_fma_f32 v76, 0x3fb8aa3b, v9, -v74
	s_delay_alu instid0(VALU_DEP_2) | instskip(NEXT) | instid1(VALU_DEP_2)
	v_sub_f32_e32 v74, v74, v75
	v_fmamk_f32 v76, v9, 0x32a5705f, v76
	v_cvt_i32_f32_e32 v75, v75
	s_delay_alu instid0(VALU_DEP_2) | instskip(NEXT) | instid1(VALU_DEP_1)
	v_add_f32_e32 v74, v74, v76
	v_exp_f32_e32 v74, v74
	s_delay_alu instid0(TRANS32_DEP_1) | instskip(SKIP_1) | instid1(VALU_DEP_1)
	v_ldexp_f32 v74, v74, v75
	s_wait_alu 0xfffd
	v_cndmask_b32_e32 v74, 0, v74, vcc_lo
	v_cmp_nlt_f32_e32 vcc_lo, 0x42b17218, v9
	s_wait_alu 0xfffd
	s_delay_alu instid0(VALU_DEP_2) | instskip(NEXT) | instid1(VALU_DEP_1)
	v_cndmask_b32_e32 v9, 0x7f800000, v74, vcc_lo
	v_add_f32_e32 v9, 1.0, v9
	s_delay_alu instid0(VALU_DEP_1) | instskip(NEXT) | instid1(TRANS32_DEP_1)
	v_rcp_f32_e32 v9, v9
	v_fma_f32 v9, v9, -2.0, 1.0
.LBB87_153:
	s_wait_alu 0xfffe
	s_and_not1_saveexec_b32 s6, s6
	s_cbranch_execz .LBB87_155
; %bb.154:
	v_mul_f32_e32 v9, v62, v62
	s_mov_b32 s7, 0xbbbac73d
	s_wait_alu 0xfffe
	s_delay_alu instid0(VALU_DEP_1) | instskip(NEXT) | instid1(VALU_DEP_1)
	v_fmaak_f32 v74, s7, v9, 0x3ca908c9
	v_fmaak_f32 v74, v9, v74, 0xbd5c1c4e
	s_delay_alu instid0(VALU_DEP_1) | instskip(NEXT) | instid1(VALU_DEP_1)
	v_fmaak_f32 v74, v9, v74, 0x3e088382
	v_fmaak_f32 v74, v9, v74, 0xbeaaaa99
	s_delay_alu instid0(VALU_DEP_1) | instskip(NEXT) | instid1(VALU_DEP_1)
	v_mul_f32_e64 v74, |v62|, v74
	v_fma_f32 v9, v9, v74, |v62|
.LBB87_155:
	s_wait_alu 0xfffe
	s_or_b32 exec_lo, exec_lo, s6
	v_mul_hi_u32 v74, s20, v52
	v_max_num_f32_e32 v4, v4, v4
	v_bfi_b32 v62, 0x7fffffff, v9, v62
	s_delay_alu instid0(VALU_DEP_3) | instskip(NEXT) | instid1(VALU_DEP_1)
	v_add_nc_u32_e32 v74, v52, v74
	v_lshrrev_b32_e32 v74, s21, v74
	s_delay_alu instid0(VALU_DEP_1) | instskip(NEXT) | instid1(VALU_DEP_1)
	v_mul_lo_u32 v74, v74, s22
	v_sub_nc_u32_e32 v52, v52, v74
	s_wait_dscnt 0x0
	v_max_num_f32_e32 v74, v8, v8
	s_delay_alu instid0(VALU_DEP_2) | instskip(NEXT) | instid1(VALU_DEP_2)
	v_mad_co_u64_u32 v[8:9], null, v52, s30, s[24:25]
	v_max_num_f32_e32 v4, v4, v74
	v_mul_f32_e32 v52, s11, v62
	s_and_saveexec_b32 s6, s2
	s_cbranch_execz .LBB87_160
; %bb.156:
	v_cmp_ne_u32_e32 vcc_lo, 1, v65
	s_cbranch_vccnz .LBB87_158
; %bb.157:
	s_delay_alu instid0(VALU_DEP_4) | instskip(NEXT) | instid1(VALU_DEP_1)
	v_add_nc_u32_e32 v74, v8, v33
	v_ashrrev_i32_e32 v75, 31, v74
	s_delay_alu instid0(VALU_DEP_1) | instskip(NEXT) | instid1(VALU_DEP_1)
	v_lshlrev_b64_e32 v[74:75], 1, v[74:75]
	v_add_co_u32 v74, vcc_lo, s38, v74
	s_wait_alu 0xfffd
	s_delay_alu instid0(VALU_DEP_2) | instskip(SKIP_3) | instid1(VALU_DEP_1)
	v_add_co_ci_u32_e64 v75, null, s39, v75, vcc_lo
	global_load_u16 v9, v[74:75], off
	s_wait_loadcnt 0x0
	v_cvt_f32_f16_e32 v9, v9
	v_mul_f32_e32 v9, v48, v9
	s_branch .LBB87_159
.LBB87_158:
	v_mov_b32_e32 v9, 0
.LBB87_159:
	s_delay_alu instid0(VALU_DEP_1) | instskip(SKIP_1) | instid1(VALU_DEP_2)
	v_add_f32_e32 v52, v52, v9
	v_max_num_f32_e32 v5, v5, v5
	v_add_f32_e32 v9, 0x40051340, v52
	s_delay_alu instid0(VALU_DEP_1)
	v_max_num_f32_e32 v5, v5, v9
.LBB87_160:
	s_wait_alu 0xfffe
	s_or_b32 exec_lo, exec_lo, s6
	v_cmp_ngt_f32_e64 s6, 0x3f200000, |v61|
                                        ; implicit-def: $vgpr9
	s_and_saveexec_b32 s7, s6
	s_wait_alu 0xfffe
	s_xor_b32 s6, exec_lo, s7
	s_cbranch_execz .LBB87_162
; %bb.161:
	v_add_f32_e64 v9, |v61|, |v61|
	s_delay_alu instid0(VALU_DEP_1) | instskip(SKIP_1) | instid1(VALU_DEP_2)
	v_mul_f32_e32 v62, 0x3fb8aa3b, v9
	v_cmp_ngt_f32_e32 vcc_lo, 0xc2ce8ed0, v9
	v_rndne_f32_e32 v74, v62
	v_fma_f32 v75, 0x3fb8aa3b, v9, -v62
	s_delay_alu instid0(VALU_DEP_1) | instskip(SKIP_1) | instid1(VALU_DEP_2)
	v_dual_sub_f32 v62, v62, v74 :: v_dual_fmamk_f32 v75, v9, 0x32a5705f, v75
	v_cvt_i32_f32_e32 v74, v74
	v_add_f32_e32 v62, v62, v75
	s_delay_alu instid0(VALU_DEP_1) | instskip(NEXT) | instid1(TRANS32_DEP_1)
	v_exp_f32_e32 v62, v62
	v_ldexp_f32 v62, v62, v74
	s_wait_alu 0xfffd
	s_delay_alu instid0(VALU_DEP_1) | instskip(SKIP_2) | instid1(VALU_DEP_2)
	v_cndmask_b32_e32 v62, 0, v62, vcc_lo
	v_cmp_nlt_f32_e32 vcc_lo, 0x42b17218, v9
	s_wait_alu 0xfffd
	v_cndmask_b32_e32 v9, 0x7f800000, v62, vcc_lo
	s_delay_alu instid0(VALU_DEP_1) | instskip(NEXT) | instid1(VALU_DEP_1)
	v_add_f32_e32 v9, 1.0, v9
	v_rcp_f32_e32 v9, v9
	s_delay_alu instid0(TRANS32_DEP_1)
	v_fma_f32 v9, v9, -2.0, 1.0
.LBB87_162:
	s_wait_alu 0xfffe
	s_and_not1_saveexec_b32 s6, s6
	s_cbranch_execz .LBB87_164
; %bb.163:
	v_mul_f32_e32 v9, v61, v61
	s_mov_b32 s7, 0xbbbac73d
	s_wait_alu 0xfffe
	s_delay_alu instid0(VALU_DEP_1) | instskip(NEXT) | instid1(VALU_DEP_1)
	v_fmaak_f32 v62, s7, v9, 0x3ca908c9
	v_fmaak_f32 v62, v9, v62, 0xbd5c1c4e
	s_delay_alu instid0(VALU_DEP_1) | instskip(NEXT) | instid1(VALU_DEP_1)
	v_fmaak_f32 v62, v9, v62, 0x3e088382
	v_fmaak_f32 v62, v9, v62, 0xbeaaaa99
	s_delay_alu instid0(VALU_DEP_1) | instskip(NEXT) | instid1(VALU_DEP_1)
	v_mul_f32_e64 v62, |v61|, v62
	v_fma_f32 v9, v9, v62, |v61|
.LBB87_164:
	s_wait_alu 0xfffe
	s_or_b32 exec_lo, exec_lo, s6
	s_delay_alu instid0(VALU_DEP_1) | instskip(NEXT) | instid1(VALU_DEP_1)
	v_bfi_b32 v9, 0x7fffffff, v9, v61
	v_mul_f32_e32 v61, s11, v9
	s_and_saveexec_b32 s6, s3
	s_cbranch_execz .LBB87_169
; %bb.165:
	v_cmp_ne_u32_e32 vcc_lo, 1, v65
	s_cbranch_vccnz .LBB87_167
; %bb.166:
	v_ashrrev_i32_e32 v9, 31, v8
	v_add_co_u32 v74, vcc_lo, v8, v33
	s_wait_alu 0xfffd
	s_delay_alu instid0(VALU_DEP_2) | instskip(NEXT) | instid1(VALU_DEP_1)
	v_add_co_ci_u32_e64 v75, null, 0, v9, vcc_lo
	v_lshlrev_b64_e32 v[74:75], 1, v[74:75]
	s_delay_alu instid0(VALU_DEP_1) | instskip(SKIP_1) | instid1(VALU_DEP_2)
	v_add_co_u32 v74, vcc_lo, s38, v74
	s_wait_alu 0xfffd
	v_add_co_ci_u32_e64 v75, null, s39, v75, vcc_lo
	global_load_u16 v9, v[74:75], off offset:64
	s_wait_loadcnt 0x0
	v_cvt_f32_f16_e32 v9, v9
	s_delay_alu instid0(VALU_DEP_1)
	v_mul_f32_e32 v9, v48, v9
	s_branch .LBB87_168
.LBB87_167:
	v_mov_b32_e32 v9, 0
.LBB87_168:
	s_delay_alu instid0(VALU_DEP_1) | instskip(SKIP_1) | instid1(VALU_DEP_2)
	v_add_f32_e32 v61, v61, v9
	v_max_num_f32_e32 v5, v5, v5
	v_add_f32_e32 v9, 0x40051340, v61
	s_delay_alu instid0(VALU_DEP_1)
	v_max_num_f32_e32 v5, v5, v9
.LBB87_169:
	s_wait_alu 0xfffe
	s_or_b32 exec_lo, exec_lo, s6
	v_cmp_ngt_f32_e64 s6, 0x3f200000, |v60|
                                        ; implicit-def: $vgpr9
	s_and_saveexec_b32 s7, s6
	s_wait_alu 0xfffe
	s_xor_b32 s6, exec_lo, s7
	s_cbranch_execz .LBB87_171
; %bb.170:
	v_add_f32_e64 v9, |v60|, |v60|
	s_delay_alu instid0(VALU_DEP_1) | instskip(SKIP_1) | instid1(VALU_DEP_2)
	v_mul_f32_e32 v62, 0x3fb8aa3b, v9
	v_cmp_ngt_f32_e32 vcc_lo, 0xc2ce8ed0, v9
	v_rndne_f32_e32 v74, v62
	v_fma_f32 v75, 0x3fb8aa3b, v9, -v62
	s_delay_alu instid0(VALU_DEP_1) | instskip(SKIP_1) | instid1(VALU_DEP_2)
	v_dual_sub_f32 v62, v62, v74 :: v_dual_fmamk_f32 v75, v9, 0x32a5705f, v75
	v_cvt_i32_f32_e32 v74, v74
	v_add_f32_e32 v62, v62, v75
	s_delay_alu instid0(VALU_DEP_1) | instskip(NEXT) | instid1(TRANS32_DEP_1)
	v_exp_f32_e32 v62, v62
	v_ldexp_f32 v62, v62, v74
	s_wait_alu 0xfffd
	s_delay_alu instid0(VALU_DEP_1) | instskip(SKIP_2) | instid1(VALU_DEP_2)
	v_cndmask_b32_e32 v62, 0, v62, vcc_lo
	v_cmp_nlt_f32_e32 vcc_lo, 0x42b17218, v9
	s_wait_alu 0xfffd
	v_cndmask_b32_e32 v9, 0x7f800000, v62, vcc_lo
	s_delay_alu instid0(VALU_DEP_1) | instskip(NEXT) | instid1(VALU_DEP_1)
	v_add_f32_e32 v9, 1.0, v9
	v_rcp_f32_e32 v9, v9
	s_delay_alu instid0(TRANS32_DEP_1)
	v_fma_f32 v9, v9, -2.0, 1.0
.LBB87_171:
	s_wait_alu 0xfffe
	s_and_not1_saveexec_b32 s6, s6
	s_cbranch_execz .LBB87_173
; %bb.172:
	v_mul_f32_e32 v9, v60, v60
	s_mov_b32 s7, 0xbbbac73d
	s_wait_alu 0xfffe
	s_delay_alu instid0(VALU_DEP_1) | instskip(NEXT) | instid1(VALU_DEP_1)
	v_fmaak_f32 v62, s7, v9, 0x3ca908c9
	v_fmaak_f32 v62, v9, v62, 0xbd5c1c4e
	s_delay_alu instid0(VALU_DEP_1) | instskip(NEXT) | instid1(VALU_DEP_1)
	v_fmaak_f32 v62, v9, v62, 0x3e088382
	v_fmaak_f32 v62, v9, v62, 0xbeaaaa99
	s_delay_alu instid0(VALU_DEP_1) | instskip(NEXT) | instid1(VALU_DEP_1)
	v_mul_f32_e64 v62, |v60|, v62
	v_fma_f32 v9, v9, v62, |v60|
.LBB87_173:
	s_wait_alu 0xfffe
	s_or_b32 exec_lo, exec_lo, s6
	s_delay_alu instid0(VALU_DEP_1) | instskip(NEXT) | instid1(VALU_DEP_1)
	v_bfi_b32 v9, 0x7fffffff, v9, v60
	v_mul_f32_e32 v62, s11, v9
	s_and_saveexec_b32 s6, s4
	s_cbranch_execz .LBB87_178
; %bb.174:
	v_cmp_ne_u32_e32 vcc_lo, 1, v65
	s_cbranch_vccnz .LBB87_176
; %bb.175:
	v_ashrrev_i32_e32 v9, 31, v8
	v_add_co_u32 v74, vcc_lo, v8, v33
	s_wait_alu 0xfffd
	s_delay_alu instid0(VALU_DEP_2) | instskip(NEXT) | instid1(VALU_DEP_1)
	v_add_co_ci_u32_e64 v75, null, 0, v9, vcc_lo
	v_lshlrev_b64_e32 v[74:75], 1, v[74:75]
	s_delay_alu instid0(VALU_DEP_1) | instskip(SKIP_1) | instid1(VALU_DEP_2)
	v_add_co_u32 v74, vcc_lo, s38, v74
	s_wait_alu 0xfffd
	v_add_co_ci_u32_e64 v75, null, s39, v75, vcc_lo
	global_load_u16 v9, v[74:75], off offset:128
	s_wait_loadcnt 0x0
	v_cvt_f32_f16_e32 v9, v9
	s_delay_alu instid0(VALU_DEP_1)
	v_mul_f32_e32 v9, v48, v9
	s_branch .LBB87_177
.LBB87_176:
	v_mov_b32_e32 v9, 0
.LBB87_177:
	s_delay_alu instid0(VALU_DEP_1) | instskip(SKIP_1) | instid1(VALU_DEP_2)
	v_add_f32_e32 v62, v62, v9
	v_max_num_f32_e32 v5, v5, v5
	v_add_f32_e32 v9, 0x40051340, v62
	s_delay_alu instid0(VALU_DEP_1)
	v_max_num_f32_e32 v5, v5, v9
.LBB87_178:
	s_wait_alu 0xfffe
	s_or_b32 exec_lo, exec_lo, s6
	v_cmp_ngt_f32_e64 s6, 0x3f200000, |v18|
                                        ; implicit-def: $vgpr9
	s_and_saveexec_b32 s7, s6
	s_wait_alu 0xfffe
	s_xor_b32 s6, exec_lo, s7
	s_cbranch_execz .LBB87_180
; %bb.179:
	v_add_f32_e64 v9, |v18|, |v18|
	s_delay_alu instid0(VALU_DEP_1) | instskip(SKIP_1) | instid1(VALU_DEP_2)
	v_mul_f32_e32 v60, 0x3fb8aa3b, v9
	v_cmp_ngt_f32_e32 vcc_lo, 0xc2ce8ed0, v9
	v_rndne_f32_e32 v74, v60
	v_fma_f32 v75, 0x3fb8aa3b, v9, -v60
	s_delay_alu instid0(VALU_DEP_1) | instskip(SKIP_1) | instid1(VALU_DEP_2)
	v_dual_sub_f32 v60, v60, v74 :: v_dual_fmamk_f32 v75, v9, 0x32a5705f, v75
	v_cvt_i32_f32_e32 v74, v74
	v_add_f32_e32 v60, v60, v75
	s_delay_alu instid0(VALU_DEP_1) | instskip(NEXT) | instid1(TRANS32_DEP_1)
	v_exp_f32_e32 v60, v60
	v_ldexp_f32 v60, v60, v74
	s_wait_alu 0xfffd
	s_delay_alu instid0(VALU_DEP_1) | instskip(SKIP_2) | instid1(VALU_DEP_2)
	v_cndmask_b32_e32 v60, 0, v60, vcc_lo
	v_cmp_nlt_f32_e32 vcc_lo, 0x42b17218, v9
	s_wait_alu 0xfffd
	v_cndmask_b32_e32 v9, 0x7f800000, v60, vcc_lo
	s_delay_alu instid0(VALU_DEP_1) | instskip(NEXT) | instid1(VALU_DEP_1)
	v_add_f32_e32 v9, 1.0, v9
	v_rcp_f32_e32 v9, v9
	s_delay_alu instid0(TRANS32_DEP_1)
	v_fma_f32 v9, v9, -2.0, 1.0
.LBB87_180:
	s_wait_alu 0xfffe
	s_and_not1_saveexec_b32 s6, s6
	s_cbranch_execz .LBB87_182
; %bb.181:
	v_mul_f32_e32 v9, v18, v18
	s_mov_b32 s7, 0xbbbac73d
	s_wait_alu 0xfffe
	s_delay_alu instid0(VALU_DEP_1) | instskip(NEXT) | instid1(VALU_DEP_1)
	v_fmaak_f32 v60, s7, v9, 0x3ca908c9
	v_fmaak_f32 v60, v9, v60, 0xbd5c1c4e
	s_delay_alu instid0(VALU_DEP_1) | instskip(NEXT) | instid1(VALU_DEP_1)
	v_fmaak_f32 v60, v9, v60, 0x3e088382
	v_fmaak_f32 v60, v9, v60, 0xbeaaaa99
	s_delay_alu instid0(VALU_DEP_1) | instskip(NEXT) | instid1(VALU_DEP_1)
	v_mul_f32_e64 v60, |v18|, v60
	v_fma_f32 v9, v9, v60, |v18|
.LBB87_182:
	s_wait_alu 0xfffe
	s_or_b32 exec_lo, exec_lo, s6
	s_delay_alu instid0(VALU_DEP_1) | instskip(NEXT) | instid1(VALU_DEP_1)
	v_bfi_b32 v9, 0x7fffffff, v9, v18
	v_mul_f32_e32 v18, s11, v9
	s_and_saveexec_b32 s6, s5
	s_cbranch_execz .LBB87_187
; %bb.183:
	v_cmp_ne_u32_e32 vcc_lo, 1, v65
	s_cbranch_vccnz .LBB87_185
; %bb.184:
	v_ashrrev_i32_e32 v9, 31, v8
	v_add_co_u32 v8, vcc_lo, v8, v33
	s_wait_alu 0xfffd
	s_delay_alu instid0(VALU_DEP_2) | instskip(NEXT) | instid1(VALU_DEP_1)
	v_add_co_ci_u32_e64 v9, null, 0, v9, vcc_lo
	v_lshlrev_b64_e32 v[8:9], 1, v[8:9]
	s_delay_alu instid0(VALU_DEP_1) | instskip(SKIP_1) | instid1(VALU_DEP_2)
	v_add_co_u32 v8, vcc_lo, s38, v8
	s_wait_alu 0xfffd
	v_add_co_ci_u32_e64 v9, null, s39, v9, vcc_lo
	global_load_u16 v8, v[8:9], off offset:192
	s_wait_loadcnt 0x0
	v_cvt_f32_f16_e32 v8, v8
	s_delay_alu instid0(VALU_DEP_1)
	v_mul_f32_e32 v8, v48, v8
	s_branch .LBB87_186
.LBB87_185:
	v_mov_b32_e32 v8, 0
.LBB87_186:
	s_delay_alu instid0(VALU_DEP_1) | instskip(NEXT) | instid1(VALU_DEP_1)
	v_dual_add_f32 v18, v18, v8 :: v_dual_max_num_f32 v5, v5, v5
	v_add_f32_e32 v8, 0x40051340, v18
	s_delay_alu instid0(VALU_DEP_1)
	v_max_num_f32_e32 v5, v5, v8
.LBB87_187:
	s_wait_alu 0xfffe
	s_or_b32 exec_lo, exec_lo, s6
	ds_bpermute_b32 v8, v68, v5
	v_cmp_ngt_f32_e64 s6, 0x3f200000, |v17|
                                        ; implicit-def: $vgpr9
	s_wait_dscnt 0x0
	v_dual_max_num_f32 v5, v5, v5 :: v_dual_max_num_f32 v8, v8, v8
	s_delay_alu instid0(VALU_DEP_1) | instskip(SKIP_3) | instid1(VALU_DEP_1)
	v_max_num_f32_e32 v5, v5, v8
	ds_bpermute_b32 v8, v69, v5
	s_wait_dscnt 0x0
	v_max_num_f32_e32 v8, v8, v8
	v_max_num_f32_e32 v5, v5, v8
	ds_bpermute_b32 v8, v71, v5
	s_wait_dscnt 0x0
	v_max_num_f32_e32 v8, v8, v8
	s_delay_alu instid0(VALU_DEP_1) | instskip(SKIP_3) | instid1(VALU_DEP_1)
	v_max_num_f32_e32 v5, v5, v8
	ds_bpermute_b32 v8, v72, v5
	s_wait_dscnt 0x0
	v_max_num_f32_e32 v8, v8, v8
	v_max_num_f32_e32 v5, v5, v8
	ds_bpermute_b32 v8, v73, v5
	s_and_saveexec_b32 s7, s6
	s_wait_alu 0xfffe
	s_xor_b32 s6, exec_lo, s7
	s_cbranch_execz .LBB87_189
; %bb.188:
	v_add_f32_e64 v9, |v17|, |v17|
	s_delay_alu instid0(VALU_DEP_1) | instskip(SKIP_1) | instid1(VALU_DEP_2)
	v_mul_f32_e32 v60, 0x3fb8aa3b, v9
	v_cmp_ngt_f32_e32 vcc_lo, 0xc2ce8ed0, v9
	v_rndne_f32_e32 v74, v60
	v_fma_f32 v75, 0x3fb8aa3b, v9, -v60
	s_delay_alu instid0(VALU_DEP_1) | instskip(SKIP_1) | instid1(VALU_DEP_2)
	v_dual_sub_f32 v60, v60, v74 :: v_dual_fmamk_f32 v75, v9, 0x32a5705f, v75
	v_cvt_i32_f32_e32 v74, v74
	v_add_f32_e32 v60, v60, v75
	s_delay_alu instid0(VALU_DEP_1) | instskip(NEXT) | instid1(TRANS32_DEP_1)
	v_exp_f32_e32 v60, v60
	v_ldexp_f32 v60, v60, v74
	s_wait_alu 0xfffd
	s_delay_alu instid0(VALU_DEP_1) | instskip(SKIP_2) | instid1(VALU_DEP_2)
	v_cndmask_b32_e32 v60, 0, v60, vcc_lo
	v_cmp_nlt_f32_e32 vcc_lo, 0x42b17218, v9
	s_wait_alu 0xfffd
	v_cndmask_b32_e32 v9, 0x7f800000, v60, vcc_lo
	s_delay_alu instid0(VALU_DEP_1) | instskip(NEXT) | instid1(VALU_DEP_1)
	v_add_f32_e32 v9, 1.0, v9
	v_rcp_f32_e32 v9, v9
	s_delay_alu instid0(TRANS32_DEP_1)
	v_fma_f32 v9, v9, -2.0, 1.0
.LBB87_189:
	s_wait_alu 0xfffe
	s_and_not1_saveexec_b32 s6, s6
	s_cbranch_execz .LBB87_191
; %bb.190:
	v_mul_f32_e32 v9, v17, v17
	s_mov_b32 s7, 0xbbbac73d
	s_wait_alu 0xfffe
	s_delay_alu instid0(VALU_DEP_1) | instskip(NEXT) | instid1(VALU_DEP_1)
	v_fmaak_f32 v60, s7, v9, 0x3ca908c9
	v_fmaak_f32 v60, v9, v60, 0xbd5c1c4e
	s_delay_alu instid0(VALU_DEP_1) | instskip(NEXT) | instid1(VALU_DEP_1)
	v_fmaak_f32 v60, v9, v60, 0x3e088382
	v_fmaak_f32 v60, v9, v60, 0xbeaaaa99
	s_delay_alu instid0(VALU_DEP_1) | instskip(NEXT) | instid1(VALU_DEP_1)
	v_mul_f32_e64 v60, |v17|, v60
	v_fma_f32 v9, v9, v60, |v17|
.LBB87_191:
	s_wait_alu 0xfffe
	s_or_b32 exec_lo, exec_lo, s6
	v_mul_hi_u32 v60, s20, v51
	s_delay_alu instid0(VALU_DEP_2) | instskip(SKIP_1) | instid1(VALU_DEP_2)
	v_bfi_b32 v17, 0x7fffffff, v9, v17
	v_max_num_f32_e32 v5, v5, v5
	v_dual_mul_f32 v17, s11, v17 :: v_dual_add_nc_u32 v60, v51, v60
	s_delay_alu instid0(VALU_DEP_1) | instskip(NEXT) | instid1(VALU_DEP_1)
	v_lshrrev_b32_e32 v60, s21, v60
	v_mul_lo_u32 v60, v60, s22
	s_delay_alu instid0(VALU_DEP_1) | instskip(SKIP_2) | instid1(VALU_DEP_2)
	v_sub_nc_u32_e32 v51, v51, v60
	s_wait_dscnt 0x0
	v_max_num_f32_e32 v60, v8, v8
	v_mad_co_u64_u32 v[8:9], null, v51, s30, s[24:25]
	s_delay_alu instid0(VALU_DEP_2)
	v_max_num_f32_e32 v5, v5, v60
	s_and_saveexec_b32 s6, s2
	s_cbranch_execz .LBB87_196
; %bb.192:
	v_cmp_ne_u32_e32 vcc_lo, 1, v65
	s_cbranch_vccnz .LBB87_194
; %bb.193:
	s_delay_alu instid0(VALU_DEP_3) | instskip(NEXT) | instid1(VALU_DEP_1)
	v_add_nc_u32_e32 v74, v8, v33
	v_ashrrev_i32_e32 v75, 31, v74
	s_delay_alu instid0(VALU_DEP_1) | instskip(NEXT) | instid1(VALU_DEP_1)
	v_lshlrev_b64_e32 v[74:75], 1, v[74:75]
	v_add_co_u32 v74, vcc_lo, s38, v74
	s_wait_alu 0xfffd
	s_delay_alu instid0(VALU_DEP_2) | instskip(SKIP_3) | instid1(VALU_DEP_1)
	v_add_co_ci_u32_e64 v75, null, s39, v75, vcc_lo
	global_load_u16 v9, v[74:75], off
	s_wait_loadcnt 0x0
	v_cvt_f32_f16_e32 v9, v9
	v_mul_f32_e32 v9, v48, v9
	s_branch .LBB87_195
.LBB87_194:
	v_mov_b32_e32 v9, 0
.LBB87_195:
	s_delay_alu instid0(VALU_DEP_1) | instskip(NEXT) | instid1(VALU_DEP_1)
	v_dual_add_f32 v17, v17, v9 :: v_dual_max_num_f32 v6, v6, v6
	v_add_f32_e32 v9, 0x40051340, v17
	s_delay_alu instid0(VALU_DEP_1)
	v_max_num_f32_e32 v6, v6, v9
.LBB87_196:
	s_wait_alu 0xfffe
	s_or_b32 exec_lo, exec_lo, s6
	v_cmp_ngt_f32_e64 s6, 0x3f200000, |v16|
                                        ; implicit-def: $vgpr9
	s_and_saveexec_b32 s7, s6
	s_wait_alu 0xfffe
	s_xor_b32 s6, exec_lo, s7
	s_cbranch_execz .LBB87_198
; %bb.197:
	v_add_f32_e64 v9, |v16|, |v16|
	s_delay_alu instid0(VALU_DEP_1) | instskip(SKIP_1) | instid1(VALU_DEP_2)
	v_mul_f32_e32 v51, 0x3fb8aa3b, v9
	v_cmp_ngt_f32_e32 vcc_lo, 0xc2ce8ed0, v9
	v_rndne_f32_e32 v60, v51
	v_fma_f32 v74, 0x3fb8aa3b, v9, -v51
	s_delay_alu instid0(VALU_DEP_1) | instskip(SKIP_1) | instid1(VALU_DEP_2)
	v_dual_sub_f32 v51, v51, v60 :: v_dual_fmamk_f32 v74, v9, 0x32a5705f, v74
	v_cvt_i32_f32_e32 v60, v60
	v_add_f32_e32 v51, v51, v74
	s_delay_alu instid0(VALU_DEP_1) | instskip(NEXT) | instid1(TRANS32_DEP_1)
	v_exp_f32_e32 v51, v51
	v_ldexp_f32 v51, v51, v60
	s_wait_alu 0xfffd
	s_delay_alu instid0(VALU_DEP_1) | instskip(SKIP_2) | instid1(VALU_DEP_2)
	v_cndmask_b32_e32 v51, 0, v51, vcc_lo
	v_cmp_nlt_f32_e32 vcc_lo, 0x42b17218, v9
	s_wait_alu 0xfffd
	v_cndmask_b32_e32 v9, 0x7f800000, v51, vcc_lo
	s_delay_alu instid0(VALU_DEP_1) | instskip(NEXT) | instid1(VALU_DEP_1)
	v_add_f32_e32 v9, 1.0, v9
	v_rcp_f32_e32 v9, v9
	s_delay_alu instid0(TRANS32_DEP_1)
	v_fma_f32 v9, v9, -2.0, 1.0
.LBB87_198:
	s_wait_alu 0xfffe
	s_and_not1_saveexec_b32 s6, s6
	s_cbranch_execz .LBB87_200
; %bb.199:
	v_mul_f32_e32 v9, v16, v16
	s_mov_b32 s7, 0xbbbac73d
	s_wait_alu 0xfffe
	s_delay_alu instid0(VALU_DEP_1) | instskip(NEXT) | instid1(VALU_DEP_1)
	v_fmaak_f32 v51, s7, v9, 0x3ca908c9
	v_fmaak_f32 v51, v9, v51, 0xbd5c1c4e
	s_delay_alu instid0(VALU_DEP_1) | instskip(NEXT) | instid1(VALU_DEP_1)
	v_fmaak_f32 v51, v9, v51, 0x3e088382
	v_fmaak_f32 v51, v9, v51, 0xbeaaaa99
	s_delay_alu instid0(VALU_DEP_1) | instskip(NEXT) | instid1(VALU_DEP_1)
	v_mul_f32_e64 v51, |v16|, v51
	v_fma_f32 v9, v9, v51, |v16|
.LBB87_200:
	s_wait_alu 0xfffe
	s_or_b32 exec_lo, exec_lo, s6
	s_delay_alu instid0(VALU_DEP_1) | instskip(NEXT) | instid1(VALU_DEP_1)
	v_bfi_b32 v9, 0x7fffffff, v9, v16
	v_mul_f32_e32 v16, s11, v9
	s_and_saveexec_b32 s6, s3
	s_cbranch_execz .LBB87_205
; %bb.201:
	v_cmp_ne_u32_e32 vcc_lo, 1, v65
	s_cbranch_vccnz .LBB87_203
; %bb.202:
	v_ashrrev_i32_e32 v9, 31, v8
	v_add_co_u32 v74, vcc_lo, v8, v33
	s_wait_alu 0xfffd
	s_delay_alu instid0(VALU_DEP_2) | instskip(NEXT) | instid1(VALU_DEP_1)
	v_add_co_ci_u32_e64 v75, null, 0, v9, vcc_lo
	v_lshlrev_b64_e32 v[74:75], 1, v[74:75]
	s_delay_alu instid0(VALU_DEP_1) | instskip(SKIP_1) | instid1(VALU_DEP_2)
	v_add_co_u32 v74, vcc_lo, s38, v74
	s_wait_alu 0xfffd
	v_add_co_ci_u32_e64 v75, null, s39, v75, vcc_lo
	global_load_u16 v9, v[74:75], off offset:64
	s_wait_loadcnt 0x0
	v_cvt_f32_f16_e32 v9, v9
	s_delay_alu instid0(VALU_DEP_1)
	v_mul_f32_e32 v9, v48, v9
	s_branch .LBB87_204
.LBB87_203:
	v_mov_b32_e32 v9, 0
.LBB87_204:
	s_delay_alu instid0(VALU_DEP_1) | instskip(NEXT) | instid1(VALU_DEP_1)
	v_add_f32_e32 v16, v16, v9
	v_dual_max_num_f32 v6, v6, v6 :: v_dual_add_f32 v9, 0x40051340, v16
	s_delay_alu instid0(VALU_DEP_1)
	v_max_num_f32_e32 v6, v6, v9
.LBB87_205:
	s_wait_alu 0xfffe
	s_or_b32 exec_lo, exec_lo, s6
	v_cmp_ngt_f32_e64 s6, 0x3f200000, |v15|
                                        ; implicit-def: $vgpr9
	s_and_saveexec_b32 s7, s6
	s_wait_alu 0xfffe
	s_xor_b32 s6, exec_lo, s7
	s_cbranch_execz .LBB87_207
; %bb.206:
	v_add_f32_e64 v9, |v15|, |v15|
	s_delay_alu instid0(VALU_DEP_1) | instskip(SKIP_1) | instid1(VALU_DEP_2)
	v_mul_f32_e32 v51, 0x3fb8aa3b, v9
	v_cmp_ngt_f32_e32 vcc_lo, 0xc2ce8ed0, v9
	v_rndne_f32_e32 v60, v51
	v_fma_f32 v74, 0x3fb8aa3b, v9, -v51
	s_delay_alu instid0(VALU_DEP_1) | instskip(SKIP_1) | instid1(VALU_DEP_2)
	v_dual_sub_f32 v51, v51, v60 :: v_dual_fmamk_f32 v74, v9, 0x32a5705f, v74
	v_cvt_i32_f32_e32 v60, v60
	v_add_f32_e32 v51, v51, v74
	s_delay_alu instid0(VALU_DEP_1) | instskip(NEXT) | instid1(TRANS32_DEP_1)
	v_exp_f32_e32 v51, v51
	v_ldexp_f32 v51, v51, v60
	s_wait_alu 0xfffd
	s_delay_alu instid0(VALU_DEP_1) | instskip(SKIP_2) | instid1(VALU_DEP_2)
	v_cndmask_b32_e32 v51, 0, v51, vcc_lo
	v_cmp_nlt_f32_e32 vcc_lo, 0x42b17218, v9
	s_wait_alu 0xfffd
	v_cndmask_b32_e32 v9, 0x7f800000, v51, vcc_lo
	s_delay_alu instid0(VALU_DEP_1) | instskip(NEXT) | instid1(VALU_DEP_1)
	v_add_f32_e32 v9, 1.0, v9
	v_rcp_f32_e32 v9, v9
	s_delay_alu instid0(TRANS32_DEP_1)
	v_fma_f32 v9, v9, -2.0, 1.0
.LBB87_207:
	s_wait_alu 0xfffe
	s_and_not1_saveexec_b32 s6, s6
	s_cbranch_execz .LBB87_209
; %bb.208:
	v_mul_f32_e32 v9, v15, v15
	s_mov_b32 s7, 0xbbbac73d
	s_wait_alu 0xfffe
	s_delay_alu instid0(VALU_DEP_1) | instskip(NEXT) | instid1(VALU_DEP_1)
	v_fmaak_f32 v51, s7, v9, 0x3ca908c9
	v_fmaak_f32 v51, v9, v51, 0xbd5c1c4e
	s_delay_alu instid0(VALU_DEP_1) | instskip(NEXT) | instid1(VALU_DEP_1)
	v_fmaak_f32 v51, v9, v51, 0x3e088382
	v_fmaak_f32 v51, v9, v51, 0xbeaaaa99
	s_delay_alu instid0(VALU_DEP_1) | instskip(NEXT) | instid1(VALU_DEP_1)
	v_mul_f32_e64 v51, |v15|, v51
	v_fma_f32 v9, v9, v51, |v15|
.LBB87_209:
	s_wait_alu 0xfffe
	s_or_b32 exec_lo, exec_lo, s6
	s_delay_alu instid0(VALU_DEP_1) | instskip(NEXT) | instid1(VALU_DEP_1)
	v_bfi_b32 v9, 0x7fffffff, v9, v15
	v_mul_f32_e32 v15, s11, v9
	s_and_saveexec_b32 s6, s4
	s_cbranch_execz .LBB87_214
; %bb.210:
	v_cmp_ne_u32_e32 vcc_lo, 1, v65
	s_cbranch_vccnz .LBB87_212
; %bb.211:
	v_ashrrev_i32_e32 v9, 31, v8
	v_add_co_u32 v74, vcc_lo, v8, v33
	s_wait_alu 0xfffd
	s_delay_alu instid0(VALU_DEP_2) | instskip(NEXT) | instid1(VALU_DEP_1)
	v_add_co_ci_u32_e64 v75, null, 0, v9, vcc_lo
	v_lshlrev_b64_e32 v[74:75], 1, v[74:75]
	s_delay_alu instid0(VALU_DEP_1) | instskip(SKIP_1) | instid1(VALU_DEP_2)
	v_add_co_u32 v74, vcc_lo, s38, v74
	s_wait_alu 0xfffd
	v_add_co_ci_u32_e64 v75, null, s39, v75, vcc_lo
	global_load_u16 v9, v[74:75], off offset:128
	s_wait_loadcnt 0x0
	v_cvt_f32_f16_e32 v9, v9
	s_delay_alu instid0(VALU_DEP_1)
	v_mul_f32_e32 v9, v48, v9
	s_branch .LBB87_213
.LBB87_212:
	v_mov_b32_e32 v9, 0
.LBB87_213:
	s_delay_alu instid0(VALU_DEP_1) | instskip(NEXT) | instid1(VALU_DEP_1)
	v_dual_add_f32 v15, v15, v9 :: v_dual_max_num_f32 v6, v6, v6
	v_add_f32_e32 v9, 0x40051340, v15
	s_delay_alu instid0(VALU_DEP_1)
	v_max_num_f32_e32 v6, v6, v9
.LBB87_214:
	s_wait_alu 0xfffe
	s_or_b32 exec_lo, exec_lo, s6
	v_cmp_ngt_f32_e64 s6, 0x3f200000, |v14|
                                        ; implicit-def: $vgpr9
	s_and_saveexec_b32 s7, s6
	s_wait_alu 0xfffe
	s_xor_b32 s6, exec_lo, s7
	s_cbranch_execz .LBB87_216
; %bb.215:
	v_add_f32_e64 v9, |v14|, |v14|
	s_delay_alu instid0(VALU_DEP_1) | instskip(SKIP_1) | instid1(VALU_DEP_2)
	v_mul_f32_e32 v51, 0x3fb8aa3b, v9
	v_cmp_ngt_f32_e32 vcc_lo, 0xc2ce8ed0, v9
	v_rndne_f32_e32 v60, v51
	v_fma_f32 v74, 0x3fb8aa3b, v9, -v51
	s_delay_alu instid0(VALU_DEP_1) | instskip(SKIP_1) | instid1(VALU_DEP_2)
	v_dual_sub_f32 v51, v51, v60 :: v_dual_fmamk_f32 v74, v9, 0x32a5705f, v74
	v_cvt_i32_f32_e32 v60, v60
	v_add_f32_e32 v51, v51, v74
	s_delay_alu instid0(VALU_DEP_1) | instskip(NEXT) | instid1(TRANS32_DEP_1)
	v_exp_f32_e32 v51, v51
	v_ldexp_f32 v51, v51, v60
	s_wait_alu 0xfffd
	s_delay_alu instid0(VALU_DEP_1) | instskip(SKIP_2) | instid1(VALU_DEP_2)
	v_cndmask_b32_e32 v51, 0, v51, vcc_lo
	v_cmp_nlt_f32_e32 vcc_lo, 0x42b17218, v9
	s_wait_alu 0xfffd
	v_cndmask_b32_e32 v9, 0x7f800000, v51, vcc_lo
	s_delay_alu instid0(VALU_DEP_1) | instskip(NEXT) | instid1(VALU_DEP_1)
	v_add_f32_e32 v9, 1.0, v9
	v_rcp_f32_e32 v9, v9
	s_delay_alu instid0(TRANS32_DEP_1)
	v_fma_f32 v9, v9, -2.0, 1.0
.LBB87_216:
	s_wait_alu 0xfffe
	s_and_not1_saveexec_b32 s6, s6
	s_cbranch_execz .LBB87_218
; %bb.217:
	v_mul_f32_e32 v9, v14, v14
	s_mov_b32 s7, 0xbbbac73d
	s_wait_alu 0xfffe
	s_delay_alu instid0(VALU_DEP_1) | instskip(NEXT) | instid1(VALU_DEP_1)
	v_fmaak_f32 v51, s7, v9, 0x3ca908c9
	v_fmaak_f32 v51, v9, v51, 0xbd5c1c4e
	s_delay_alu instid0(VALU_DEP_1) | instskip(NEXT) | instid1(VALU_DEP_1)
	v_fmaak_f32 v51, v9, v51, 0x3e088382
	v_fmaak_f32 v51, v9, v51, 0xbeaaaa99
	s_delay_alu instid0(VALU_DEP_1) | instskip(NEXT) | instid1(VALU_DEP_1)
	v_mul_f32_e64 v51, |v14|, v51
	v_fma_f32 v9, v9, v51, |v14|
.LBB87_218:
	s_wait_alu 0xfffe
	s_or_b32 exec_lo, exec_lo, s6
	s_delay_alu instid0(VALU_DEP_1) | instskip(NEXT) | instid1(VALU_DEP_1)
	v_bfi_b32 v9, 0x7fffffff, v9, v14
	v_mul_f32_e32 v14, s11, v9
	s_and_saveexec_b32 s6, s5
	s_cbranch_execz .LBB87_223
; %bb.219:
	v_cmp_ne_u32_e32 vcc_lo, 1, v65
	s_cbranch_vccnz .LBB87_221
; %bb.220:
	v_ashrrev_i32_e32 v9, 31, v8
	v_add_co_u32 v8, vcc_lo, v8, v33
	s_wait_alu 0xfffd
	s_delay_alu instid0(VALU_DEP_2) | instskip(NEXT) | instid1(VALU_DEP_1)
	v_add_co_ci_u32_e64 v9, null, 0, v9, vcc_lo
	v_lshlrev_b64_e32 v[8:9], 1, v[8:9]
	s_delay_alu instid0(VALU_DEP_1) | instskip(SKIP_1) | instid1(VALU_DEP_2)
	v_add_co_u32 v8, vcc_lo, s38, v8
	s_wait_alu 0xfffd
	v_add_co_ci_u32_e64 v9, null, s39, v9, vcc_lo
	global_load_u16 v8, v[8:9], off offset:192
	s_wait_loadcnt 0x0
	v_cvt_f32_f16_e32 v8, v8
	s_delay_alu instid0(VALU_DEP_1)
	v_mul_f32_e32 v8, v48, v8
	s_branch .LBB87_222
.LBB87_221:
	v_mov_b32_e32 v8, 0
.LBB87_222:
	s_delay_alu instid0(VALU_DEP_1) | instskip(SKIP_1) | instid1(VALU_DEP_2)
	v_add_f32_e32 v14, v14, v8
	v_max_num_f32_e32 v6, v6, v6
	v_add_f32_e32 v8, 0x40051340, v14
	s_delay_alu instid0(VALU_DEP_1)
	v_max_num_f32_e32 v6, v6, v8
.LBB87_223:
	s_wait_alu 0xfffe
	s_or_b32 exec_lo, exec_lo, s6
	ds_bpermute_b32 v8, v68, v6
	v_max_num_f32_e32 v6, v6, v6
	v_cmp_ngt_f32_e64 s6, 0x3f200000, |v13|
                                        ; implicit-def: $vgpr9
	s_wait_dscnt 0x0
	v_max_num_f32_e32 v8, v8, v8
	s_delay_alu instid0(VALU_DEP_1) | instskip(SKIP_3) | instid1(VALU_DEP_1)
	v_max_num_f32_e32 v6, v6, v8
	ds_bpermute_b32 v8, v69, v6
	s_wait_dscnt 0x0
	v_max_num_f32_e32 v8, v8, v8
	v_max_num_f32_e32 v6, v6, v8
	ds_bpermute_b32 v8, v71, v6
	s_wait_dscnt 0x0
	v_max_num_f32_e32 v8, v8, v8
	s_delay_alu instid0(VALU_DEP_1) | instskip(SKIP_3) | instid1(VALU_DEP_1)
	v_max_num_f32_e32 v6, v6, v8
	ds_bpermute_b32 v8, v72, v6
	s_wait_dscnt 0x0
	v_max_num_f32_e32 v8, v8, v8
	v_max_num_f32_e32 v6, v6, v8
	ds_bpermute_b32 v8, v73, v6
	s_and_saveexec_b32 s7, s6
	s_wait_alu 0xfffe
	s_xor_b32 s6, exec_lo, s7
	s_cbranch_execz .LBB87_225
; %bb.224:
	v_add_f32_e64 v9, |v13|, |v13|
	s_delay_alu instid0(VALU_DEP_1) | instskip(SKIP_1) | instid1(VALU_DEP_2)
	v_mul_f32_e32 v51, 0x3fb8aa3b, v9
	v_cmp_ngt_f32_e32 vcc_lo, 0xc2ce8ed0, v9
	v_rndne_f32_e32 v60, v51
	v_fma_f32 v74, 0x3fb8aa3b, v9, -v51
	s_delay_alu instid0(VALU_DEP_1) | instskip(SKIP_1) | instid1(VALU_DEP_2)
	v_dual_sub_f32 v51, v51, v60 :: v_dual_fmamk_f32 v74, v9, 0x32a5705f, v74
	v_cvt_i32_f32_e32 v60, v60
	v_add_f32_e32 v51, v51, v74
	s_delay_alu instid0(VALU_DEP_1) | instskip(NEXT) | instid1(TRANS32_DEP_1)
	v_exp_f32_e32 v51, v51
	v_ldexp_f32 v51, v51, v60
	s_wait_alu 0xfffd
	s_delay_alu instid0(VALU_DEP_1) | instskip(SKIP_2) | instid1(VALU_DEP_2)
	v_cndmask_b32_e32 v51, 0, v51, vcc_lo
	v_cmp_nlt_f32_e32 vcc_lo, 0x42b17218, v9
	s_wait_alu 0xfffd
	v_cndmask_b32_e32 v9, 0x7f800000, v51, vcc_lo
	s_delay_alu instid0(VALU_DEP_1) | instskip(NEXT) | instid1(VALU_DEP_1)
	v_add_f32_e32 v9, 1.0, v9
	v_rcp_f32_e32 v9, v9
	s_delay_alu instid0(TRANS32_DEP_1)
	v_fma_f32 v9, v9, -2.0, 1.0
.LBB87_225:
	s_wait_alu 0xfffe
	s_and_not1_saveexec_b32 s6, s6
	s_cbranch_execz .LBB87_227
; %bb.226:
	v_mul_f32_e32 v9, v13, v13
	s_mov_b32 s7, 0xbbbac73d
	s_wait_alu 0xfffe
	s_delay_alu instid0(VALU_DEP_1) | instskip(NEXT) | instid1(VALU_DEP_1)
	v_fmaak_f32 v51, s7, v9, 0x3ca908c9
	v_fmaak_f32 v51, v9, v51, 0xbd5c1c4e
	s_delay_alu instid0(VALU_DEP_1) | instskip(NEXT) | instid1(VALU_DEP_1)
	v_fmaak_f32 v51, v9, v51, 0x3e088382
	v_fmaak_f32 v51, v9, v51, 0xbeaaaa99
	s_delay_alu instid0(VALU_DEP_1) | instskip(NEXT) | instid1(VALU_DEP_1)
	v_mul_f32_e64 v51, |v13|, v51
	v_fma_f32 v9, v9, v51, |v13|
.LBB87_227:
	s_wait_alu 0xfffe
	s_or_b32 exec_lo, exec_lo, s6
	v_mul_hi_u32 v51, s20, v50
	s_delay_alu instid0(VALU_DEP_2) | instskip(NEXT) | instid1(VALU_DEP_1)
	v_bfi_b32 v13, 0x7fffffff, v9, v13
	v_dual_max_num_f32 v6, v6, v6 :: v_dual_mul_f32 v13, s11, v13
	s_delay_alu instid0(VALU_DEP_3) | instskip(NEXT) | instid1(VALU_DEP_1)
	v_add_nc_u32_e32 v51, v50, v51
	v_lshrrev_b32_e32 v51, s21, v51
	s_delay_alu instid0(VALU_DEP_1) | instskip(NEXT) | instid1(VALU_DEP_1)
	v_mul_lo_u32 v51, v51, s22
	v_sub_nc_u32_e32 v50, v50, v51
	s_wait_dscnt 0x0
	v_max_num_f32_e32 v51, v8, v8
	s_delay_alu instid0(VALU_DEP_2) | instskip(NEXT) | instid1(VALU_DEP_2)
	v_mad_co_u64_u32 v[8:9], null, v50, s30, s[24:25]
	v_max_num_f32_e32 v6, v6, v51
	s_and_saveexec_b32 s6, s2
	s_cbranch_execz .LBB87_232
; %bb.228:
	v_cmp_ne_u32_e32 vcc_lo, 1, v65
	s_cbranch_vccnz .LBB87_230
; %bb.229:
	s_delay_alu instid0(VALU_DEP_3) | instskip(NEXT) | instid1(VALU_DEP_1)
	v_add_nc_u32_e32 v50, v8, v33
	v_ashrrev_i32_e32 v51, 31, v50
	s_delay_alu instid0(VALU_DEP_1) | instskip(NEXT) | instid1(VALU_DEP_1)
	v_lshlrev_b64_e32 v[50:51], 1, v[50:51]
	v_add_co_u32 v50, vcc_lo, s38, v50
	s_wait_alu 0xfffd
	s_delay_alu instid0(VALU_DEP_2) | instskip(SKIP_3) | instid1(VALU_DEP_1)
	v_add_co_ci_u32_e64 v51, null, s39, v51, vcc_lo
	global_load_u16 v9, v[50:51], off
	s_wait_loadcnt 0x0
	v_cvt_f32_f16_e32 v9, v9
	v_mul_f32_e32 v9, v48, v9
	s_branch .LBB87_231
.LBB87_230:
	v_mov_b32_e32 v9, 0
.LBB87_231:
	s_delay_alu instid0(VALU_DEP_1) | instskip(SKIP_1) | instid1(VALU_DEP_2)
	v_add_f32_e32 v13, v13, v9
	v_max_num_f32_e32 v7, v7, v7
	v_add_f32_e32 v9, 0x40051340, v13
	s_delay_alu instid0(VALU_DEP_1)
	v_max_num_f32_e32 v7, v7, v9
.LBB87_232:
	s_wait_alu 0xfffe
	s_or_b32 exec_lo, exec_lo, s6
	v_cmp_ngt_f32_e64 s2, 0x3f200000, |v12|
                                        ; implicit-def: $vgpr9
	s_and_saveexec_b32 s6, s2
	s_wait_alu 0xfffe
	s_xor_b32 s2, exec_lo, s6
	s_cbranch_execz .LBB87_234
; %bb.233:
	v_add_f32_e64 v9, |v12|, |v12|
	s_delay_alu instid0(VALU_DEP_1) | instskip(SKIP_1) | instid1(VALU_DEP_2)
	v_mul_f32_e32 v50, 0x3fb8aa3b, v9
	v_cmp_ngt_f32_e32 vcc_lo, 0xc2ce8ed0, v9
	v_rndne_f32_e32 v51, v50
	v_fma_f32 v60, 0x3fb8aa3b, v9, -v50
	s_delay_alu instid0(VALU_DEP_2) | instskip(NEXT) | instid1(VALU_DEP_2)
	v_sub_f32_e32 v50, v50, v51
	v_fmamk_f32 v60, v9, 0x32a5705f, v60
	v_cvt_i32_f32_e32 v51, v51
	s_delay_alu instid0(VALU_DEP_2) | instskip(NEXT) | instid1(VALU_DEP_1)
	v_add_f32_e32 v50, v50, v60
	v_exp_f32_e32 v50, v50
	s_delay_alu instid0(TRANS32_DEP_1) | instskip(SKIP_1) | instid1(VALU_DEP_1)
	v_ldexp_f32 v50, v50, v51
	s_wait_alu 0xfffd
	v_cndmask_b32_e32 v50, 0, v50, vcc_lo
	v_cmp_nlt_f32_e32 vcc_lo, 0x42b17218, v9
	s_wait_alu 0xfffd
	s_delay_alu instid0(VALU_DEP_2) | instskip(NEXT) | instid1(VALU_DEP_1)
	v_cndmask_b32_e32 v9, 0x7f800000, v50, vcc_lo
	v_add_f32_e32 v9, 1.0, v9
	s_delay_alu instid0(VALU_DEP_1) | instskip(NEXT) | instid1(TRANS32_DEP_1)
	v_rcp_f32_e32 v9, v9
	v_fma_f32 v9, v9, -2.0, 1.0
.LBB87_234:
	s_wait_alu 0xfffe
	s_and_not1_saveexec_b32 s2, s2
	s_cbranch_execz .LBB87_236
; %bb.235:
	v_mul_f32_e32 v9, v12, v12
	s_mov_b32 s6, 0xbbbac73d
	s_wait_alu 0xfffe
	s_delay_alu instid0(VALU_DEP_1) | instskip(NEXT) | instid1(VALU_DEP_1)
	v_fmaak_f32 v50, s6, v9, 0x3ca908c9
	v_fmaak_f32 v50, v9, v50, 0xbd5c1c4e
	s_delay_alu instid0(VALU_DEP_1) | instskip(NEXT) | instid1(VALU_DEP_1)
	v_fmaak_f32 v50, v9, v50, 0x3e088382
	v_fmaak_f32 v50, v9, v50, 0xbeaaaa99
	s_delay_alu instid0(VALU_DEP_1) | instskip(NEXT) | instid1(VALU_DEP_1)
	v_mul_f32_e64 v50, |v12|, v50
	v_fma_f32 v9, v9, v50, |v12|
.LBB87_236:
	s_wait_alu 0xfffe
	s_or_b32 exec_lo, exec_lo, s2
	s_delay_alu instid0(VALU_DEP_1) | instskip(NEXT) | instid1(VALU_DEP_1)
	v_bfi_b32 v9, 0x7fffffff, v9, v12
	v_mul_f32_e32 v9, s11, v9
	s_and_saveexec_b32 s2, s3
	s_cbranch_execz .LBB87_241
; %bb.237:
	v_cmp_ne_u32_e32 vcc_lo, 1, v65
	s_cbranch_vccnz .LBB87_239
; %bb.238:
	v_ashrrev_i32_e32 v12, 31, v8
	v_add_co_u32 v50, vcc_lo, v8, v33
	s_wait_alu 0xfffd
	s_delay_alu instid0(VALU_DEP_2) | instskip(NEXT) | instid1(VALU_DEP_1)
	v_add_co_ci_u32_e64 v51, null, 0, v12, vcc_lo
	v_lshlrev_b64_e32 v[50:51], 1, v[50:51]
	s_delay_alu instid0(VALU_DEP_1) | instskip(SKIP_1) | instid1(VALU_DEP_2)
	v_add_co_u32 v50, vcc_lo, s38, v50
	s_wait_alu 0xfffd
	v_add_co_ci_u32_e64 v51, null, s39, v51, vcc_lo
	global_load_u16 v12, v[50:51], off offset:64
	s_wait_loadcnt 0x0
	v_cvt_f32_f16_e32 v12, v12
	s_delay_alu instid0(VALU_DEP_1)
	v_mul_f32_e32 v12, v48, v12
	s_branch .LBB87_240
.LBB87_239:
	v_mov_b32_e32 v12, 0
.LBB87_240:
	s_delay_alu instid0(VALU_DEP_1) | instskip(NEXT) | instid1(VALU_DEP_1)
	v_add_f32_e32 v9, v9, v12
	v_dual_max_num_f32 v7, v7, v7 :: v_dual_add_f32 v12, 0x40051340, v9
	s_delay_alu instid0(VALU_DEP_1)
	v_max_num_f32_e32 v7, v7, v12
.LBB87_241:
	s_wait_alu 0xfffe
	s_or_b32 exec_lo, exec_lo, s2
	v_cmp_ngt_f32_e64 s2, 0x3f200000, |v11|
                                        ; implicit-def: $vgpr12
	s_and_saveexec_b32 s3, s2
	s_wait_alu 0xfffe
	s_xor_b32 s2, exec_lo, s3
	s_cbranch_execz .LBB87_243
; %bb.242:
	v_add_f32_e64 v12, |v11|, |v11|
	s_delay_alu instid0(VALU_DEP_1) | instskip(SKIP_1) | instid1(VALU_DEP_2)
	v_mul_f32_e32 v50, 0x3fb8aa3b, v12
	v_cmp_ngt_f32_e32 vcc_lo, 0xc2ce8ed0, v12
	v_rndne_f32_e32 v51, v50
	v_fma_f32 v60, 0x3fb8aa3b, v12, -v50
	s_delay_alu instid0(VALU_DEP_2) | instskip(NEXT) | instid1(VALU_DEP_2)
	v_sub_f32_e32 v50, v50, v51
	v_fmamk_f32 v60, v12, 0x32a5705f, v60
	v_cvt_i32_f32_e32 v51, v51
	s_delay_alu instid0(VALU_DEP_2) | instskip(NEXT) | instid1(VALU_DEP_1)
	v_add_f32_e32 v50, v50, v60
	v_exp_f32_e32 v50, v50
	s_delay_alu instid0(TRANS32_DEP_1) | instskip(SKIP_1) | instid1(VALU_DEP_1)
	v_ldexp_f32 v50, v50, v51
	s_wait_alu 0xfffd
	v_cndmask_b32_e32 v50, 0, v50, vcc_lo
	v_cmp_nlt_f32_e32 vcc_lo, 0x42b17218, v12
	s_wait_alu 0xfffd
	s_delay_alu instid0(VALU_DEP_2) | instskip(NEXT) | instid1(VALU_DEP_1)
	v_cndmask_b32_e32 v12, 0x7f800000, v50, vcc_lo
	v_add_f32_e32 v12, 1.0, v12
	s_delay_alu instid0(VALU_DEP_1) | instskip(NEXT) | instid1(TRANS32_DEP_1)
	v_rcp_f32_e32 v12, v12
	v_fma_f32 v12, v12, -2.0, 1.0
.LBB87_243:
	s_wait_alu 0xfffe
	s_and_not1_saveexec_b32 s2, s2
	s_cbranch_execz .LBB87_245
; %bb.244:
	v_mul_f32_e32 v12, v11, v11
	s_mov_b32 s3, 0xbbbac73d
	s_wait_alu 0xfffe
	s_delay_alu instid0(VALU_DEP_1) | instskip(NEXT) | instid1(VALU_DEP_1)
	v_fmaak_f32 v50, s3, v12, 0x3ca908c9
	v_fmaak_f32 v50, v12, v50, 0xbd5c1c4e
	s_delay_alu instid0(VALU_DEP_1) | instskip(NEXT) | instid1(VALU_DEP_1)
	v_fmaak_f32 v50, v12, v50, 0x3e088382
	v_fmaak_f32 v50, v12, v50, 0xbeaaaa99
	s_delay_alu instid0(VALU_DEP_1) | instskip(NEXT) | instid1(VALU_DEP_1)
	v_mul_f32_e64 v50, |v11|, v50
	v_fma_f32 v12, v12, v50, |v11|
.LBB87_245:
	s_wait_alu 0xfffe
	s_or_b32 exec_lo, exec_lo, s2
	s_delay_alu instid0(VALU_DEP_1) | instskip(NEXT) | instid1(VALU_DEP_1)
	v_bfi_b32 v11, 0x7fffffff, v12, v11
	v_mul_f32_e32 v11, s11, v11
	s_and_saveexec_b32 s2, s4
	s_cbranch_execz .LBB87_250
; %bb.246:
	v_cmp_ne_u32_e32 vcc_lo, 1, v65
	s_cbranch_vccnz .LBB87_248
; %bb.247:
	v_ashrrev_i32_e32 v12, 31, v8
	v_add_co_u32 v50, vcc_lo, v8, v33
	s_wait_alu 0xfffd
	s_delay_alu instid0(VALU_DEP_2) | instskip(NEXT) | instid1(VALU_DEP_1)
	v_add_co_ci_u32_e64 v51, null, 0, v12, vcc_lo
	v_lshlrev_b64_e32 v[50:51], 1, v[50:51]
	s_delay_alu instid0(VALU_DEP_1) | instskip(SKIP_1) | instid1(VALU_DEP_2)
	v_add_co_u32 v50, vcc_lo, s38, v50
	s_wait_alu 0xfffd
	v_add_co_ci_u32_e64 v51, null, s39, v51, vcc_lo
	global_load_u16 v12, v[50:51], off offset:128
	s_wait_loadcnt 0x0
	v_cvt_f32_f16_e32 v12, v12
	s_delay_alu instid0(VALU_DEP_1)
	v_mul_f32_e32 v12, v48, v12
	s_branch .LBB87_249
.LBB87_248:
	v_mov_b32_e32 v12, 0
.LBB87_249:
	s_delay_alu instid0(VALU_DEP_1) | instskip(SKIP_1) | instid1(VALU_DEP_2)
	v_add_f32_e32 v11, v11, v12
	v_max_num_f32_e32 v7, v7, v7
	v_add_f32_e32 v12, 0x40051340, v11
	s_delay_alu instid0(VALU_DEP_1)
	v_max_num_f32_e32 v7, v7, v12
.LBB87_250:
	s_wait_alu 0xfffe
	s_or_b32 exec_lo, exec_lo, s2
	v_cmp_ngt_f32_e64 s2, 0x3f200000, |v10|
                                        ; implicit-def: $vgpr12
	s_and_saveexec_b32 s3, s2
	s_wait_alu 0xfffe
	s_xor_b32 s2, exec_lo, s3
	s_cbranch_execz .LBB87_252
; %bb.251:
	v_add_f32_e64 v12, |v10|, |v10|
	s_delay_alu instid0(VALU_DEP_1) | instskip(SKIP_1) | instid1(VALU_DEP_2)
	v_mul_f32_e32 v50, 0x3fb8aa3b, v12
	v_cmp_ngt_f32_e32 vcc_lo, 0xc2ce8ed0, v12
	v_rndne_f32_e32 v51, v50
	v_fma_f32 v60, 0x3fb8aa3b, v12, -v50
	s_delay_alu instid0(VALU_DEP_2) | instskip(NEXT) | instid1(VALU_DEP_2)
	v_sub_f32_e32 v50, v50, v51
	v_fmamk_f32 v60, v12, 0x32a5705f, v60
	v_cvt_i32_f32_e32 v51, v51
	s_delay_alu instid0(VALU_DEP_2) | instskip(NEXT) | instid1(VALU_DEP_1)
	v_add_f32_e32 v50, v50, v60
	v_exp_f32_e32 v50, v50
	s_delay_alu instid0(TRANS32_DEP_1) | instskip(SKIP_1) | instid1(VALU_DEP_1)
	v_ldexp_f32 v50, v50, v51
	s_wait_alu 0xfffd
	v_cndmask_b32_e32 v50, 0, v50, vcc_lo
	v_cmp_nlt_f32_e32 vcc_lo, 0x42b17218, v12
	s_wait_alu 0xfffd
	s_delay_alu instid0(VALU_DEP_2) | instskip(NEXT) | instid1(VALU_DEP_1)
	v_cndmask_b32_e32 v12, 0x7f800000, v50, vcc_lo
	v_add_f32_e32 v12, 1.0, v12
	s_delay_alu instid0(VALU_DEP_1) | instskip(NEXT) | instid1(TRANS32_DEP_1)
	v_rcp_f32_e32 v12, v12
	v_fma_f32 v12, v12, -2.0, 1.0
.LBB87_252:
	s_wait_alu 0xfffe
	s_and_not1_saveexec_b32 s2, s2
	s_cbranch_execz .LBB87_254
; %bb.253:
	v_mul_f32_e32 v12, v10, v10
	s_mov_b32 s3, 0xbbbac73d
	s_wait_alu 0xfffe
	s_delay_alu instid0(VALU_DEP_1) | instskip(NEXT) | instid1(VALU_DEP_1)
	v_fmaak_f32 v50, s3, v12, 0x3ca908c9
	v_fmaak_f32 v50, v12, v50, 0xbd5c1c4e
	s_delay_alu instid0(VALU_DEP_1) | instskip(NEXT) | instid1(VALU_DEP_1)
	v_fmaak_f32 v50, v12, v50, 0x3e088382
	v_fmaak_f32 v50, v12, v50, 0xbeaaaa99
	s_delay_alu instid0(VALU_DEP_1) | instskip(NEXT) | instid1(VALU_DEP_1)
	v_mul_f32_e64 v50, |v10|, v50
	v_fma_f32 v12, v12, v50, |v10|
.LBB87_254:
	s_wait_alu 0xfffe
	s_or_b32 exec_lo, exec_lo, s2
	s_delay_alu instid0(VALU_DEP_1) | instskip(NEXT) | instid1(VALU_DEP_1)
	v_bfi_b32 v10, 0x7fffffff, v12, v10
	v_mul_f32_e32 v10, s11, v10
	s_and_saveexec_b32 s2, s5
	s_cbranch_execz .LBB87_259
; %bb.255:
	v_cmp_ne_u32_e32 vcc_lo, 1, v65
	s_cbranch_vccnz .LBB87_257
; %bb.256:
	v_ashrrev_i32_e32 v12, 31, v8
	v_add_co_u32 v50, vcc_lo, v8, v33
	s_wait_alu 0xfffd
	s_delay_alu instid0(VALU_DEP_2) | instskip(NEXT) | instid1(VALU_DEP_1)
	v_add_co_ci_u32_e64 v51, null, 0, v12, vcc_lo
	v_lshlrev_b64_e32 v[50:51], 1, v[50:51]
	s_delay_alu instid0(VALU_DEP_1) | instskip(SKIP_1) | instid1(VALU_DEP_2)
	v_add_co_u32 v50, vcc_lo, s38, v50
	s_wait_alu 0xfffd
	v_add_co_ci_u32_e64 v51, null, s39, v51, vcc_lo
	global_load_u16 v8, v[50:51], off offset:192
	s_wait_loadcnt 0x0
	v_cvt_f32_f16_e32 v8, v8
	s_delay_alu instid0(VALU_DEP_1)
	v_mul_f32_e32 v8, v48, v8
	s_branch .LBB87_258
.LBB87_257:
	v_mov_b32_e32 v8, 0
.LBB87_258:
	s_delay_alu instid0(VALU_DEP_1) | instskip(NEXT) | instid1(VALU_DEP_1)
	v_dual_add_f32 v10, v10, v8 :: v_dual_max_num_f32 v7, v7, v7
	v_add_f32_e32 v8, 0x40051340, v10
	s_delay_alu instid0(VALU_DEP_1)
	v_max_num_f32_e32 v7, v7, v8
.LBB87_259:
	s_wait_alu 0xfffe
	s_or_b32 exec_lo, exec_lo, s2
	ds_bpermute_b32 v8, v68, v7
	v_max_num_f32_e32 v7, v7, v7
	s_mov_b64 s[8:9], src_private_base
	s_wait_loadcnt_dscnt 0x0
	s_barrier_signal -1
	s_barrier_wait -1
	global_inv scope:SCOPE_SE
	v_lshl_add_u32 v75, v37, 1, v39
	s_mov_b32 s41, s40
	s_mov_b32 s42, s40
	s_ashr_i32 s15, s14, 31
	v_dual_mov_b32 v38, 0 :: v_dual_lshlrev_b32 v37, 2, v38
	s_delay_alu instid0(VALU_DEP_1) | instskip(SKIP_1) | instid1(VALU_DEP_1)
	v_lshl_or_b32 v74, v75, 8, v37
	v_max_num_f32_e32 v8, v8, v8
	v_max_num_f32_e32 v7, v7, v8
	ds_bpermute_b32 v8, v69, v7
	s_wait_dscnt 0x0
	v_max_num_f32_e32 v8, v8, v8
	s_delay_alu instid0(VALU_DEP_1) | instskip(SKIP_3) | instid1(VALU_DEP_1)
	v_max_num_f32_e32 v7, v7, v8
	ds_bpermute_b32 v8, v71, v7
	s_wait_dscnt 0x0
	v_dual_max_num_f32 v8, v8, v8 :: v_dual_add_nc_u32 v71, 32, v75
	v_max_num_f32_e32 v7, v7, v8
	ds_bpermute_b32 v8, v72, v7
	s_wait_dscnt 0x0
	v_max_num_f32_e32 v8, v8, v8
	s_delay_alu instid0(VALU_DEP_1) | instskip(SKIP_4) | instid1(VALU_DEP_1)
	v_max_num_f32_e32 v7, v7, v8
	ds_bpermute_b32 v8, v73, v7
	v_lshl_or_b32 v73, v71, 8, v37
	s_wait_dscnt 0x0
	v_max_num_f32_e32 v8, v8, v8
	v_max_num_f32_e32 v7, v7, v8
	s_delay_alu instid0(VALU_DEP_1) | instskip(NEXT) | instid1(VALU_DEP_1)
	v_dual_sub_f32 v8, v54, v4 :: v_dual_sub_f32 v13, v13, v7
	v_mul_f32_e32 v12, 0x3fb8aa3b, v8
	v_cmp_ngt_f32_e64 s2, 0xc2ce8ed0, v8
	v_cmp_nlt_f32_e32 vcc_lo, 0x42b17218, v8
	s_delay_alu instid0(VALU_DEP_4) | instskip(NEXT) | instid1(VALU_DEP_4)
	v_cmp_ngt_f32_e64 s7, 0xc2ce8ed0, v13
	v_fma_f32 v48, 0x3fb8aa3b, v8, -v12
	v_cmp_nlt_f32_e64 s8, 0x42b17218, v13
	s_delay_alu instid0(VALU_DEP_2) | instskip(SKIP_1) | instid1(VALU_DEP_1)
	v_fmac_f32_e32 v48, 0x32a5705f, v8
	v_sub_f32_e32 v8, v52, v5
	v_mul_f32_e32 v50, 0x3fb8aa3b, v8
	v_cmp_ngt_f32_e64 s3, 0xc2ce8ed0, v8
	v_cmp_nlt_f32_e64 s4, 0x42b17218, v8
	s_delay_alu instid0(VALU_DEP_3) | instskip(NEXT) | instid1(VALU_DEP_1)
	v_fma_f32 v51, 0x3fb8aa3b, v8, -v50
	v_dual_fmac_f32 v51, 0x32a5705f, v8 :: v_dual_sub_f32 v8, v17, v6
	s_delay_alu instid0(VALU_DEP_1) | instskip(SKIP_2) | instid1(VALU_DEP_3)
	v_mul_f32_e32 v17, 0x3fb8aa3b, v8
	v_cmp_ngt_f32_e64 s5, 0xc2ce8ed0, v8
	v_cmp_nlt_f32_e64 s6, 0x42b17218, v8
	v_fma_f32 v52, 0x3fb8aa3b, v8, -v17
	s_delay_alu instid0(VALU_DEP_1) | instskip(SKIP_1) | instid1(VALU_DEP_1)
	v_fmac_f32_e32 v52, 0x32a5705f, v8
	v_rndne_f32_e32 v8, v12
	v_sub_f32_e32 v12, v12, v8
	v_cvt_i32_f32_e32 v8, v8
	s_delay_alu instid0(VALU_DEP_2) | instskip(SKIP_1) | instid1(VALU_DEP_2)
	v_add_f32_e32 v12, v12, v48
	v_rndne_f32_e32 v48, v50
	v_exp_f32_e32 v12, v12
	s_delay_alu instid0(VALU_DEP_1) | instskip(SKIP_1) | instid1(VALU_DEP_2)
	v_sub_f32_e32 v50, v50, v48
	v_cvt_i32_f32_e32 v48, v48
	v_add_f32_e32 v50, v50, v51
	v_rndne_f32_e32 v51, v17
	s_delay_alu instid0(TRANS32_DEP_1) | instskip(NEXT) | instid1(VALU_DEP_3)
	v_ldexp_f32 v8, v12, v8
	v_exp_f32_e32 v12, v50
	s_delay_alu instid0(VALU_DEP_2) | instskip(SKIP_1) | instid1(VALU_DEP_2)
	v_sub_f32_e32 v17, v17, v51
	s_wait_alu 0xf1ff
	v_cndmask_b32_e64 v8, 0, v8, s2
	v_cmp_gt_u32_e64 s2, s29, v33
	s_delay_alu instid0(VALU_DEP_3) | instskip(SKIP_1) | instid1(VALU_DEP_3)
	v_add_f32_e32 v17, v17, v52
	s_wait_alu 0xfffd
	v_cndmask_b32_e32 v8, 0x7f800000, v8, vcc_lo
	s_delay_alu instid0(TRANS32_DEP_1) | instskip(SKIP_2) | instid1(VALU_DEP_2)
	v_ldexp_f32 v12, v12, v48
	v_mul_f32_e32 v48, 0x3fb8aa3b, v13
	v_exp_f32_e32 v17, v17
	v_cndmask_b32_e64 v12, 0, v12, s3
	s_delay_alu instid0(VALU_DEP_2) | instskip(SKIP_1) | instid1(VALU_DEP_3)
	v_fma_f32 v50, 0x3fb8aa3b, v13, -v48
	v_rndne_f32_e32 v52, v48
	v_cndmask_b32_e64 v12, 0x7f800000, v12, s4
	s_delay_alu instid0(VALU_DEP_3) | instskip(NEXT) | instid1(VALU_DEP_3)
	v_dual_fmac_f32 v50, 0x32a5705f, v13 :: v_dual_sub_f32 v11, v11, v7
	v_dual_sub_f32 v48, v48, v52 :: v_dual_sub_f32 v9, v9, v7
	v_sub_f32_e32 v10, v10, v7
	v_sub_f32_e32 v80, v3, v7
	s_delay_alu instid0(VALU_DEP_3) | instskip(SKIP_3) | instid1(VALU_DEP_3)
	v_add_f32_e32 v48, v48, v50
	v_cvt_i32_f32_e32 v50, v51
	s_wait_alu 0xf1ff
	v_cndmask_b32_e64 v51, 0, v12, s2
	v_exp_f32_e32 v13, v48
	v_cvt_i32_f32_e32 v48, v52
	v_ldexp_f32 v17, v17, v50
	v_cndmask_b32_e64 v52, 0, v8, s2
	v_cvt_f16_f32_e32 v12, v51
	s_delay_alu instid0(VALU_DEP_3) | instskip(NEXT) | instid1(VALU_DEP_3)
	v_cndmask_b32_e64 v17, 0, v17, s5
	v_cvt_f16_f32_e32 v8, v52
	s_delay_alu instid0(TRANS32_DEP_1) | instskip(NEXT) | instid1(VALU_DEP_3)
	v_ldexp_f32 v13, v13, v48
	v_cndmask_b32_e64 v17, 0x7f800000, v17, s6
	s_delay_alu instid0(VALU_DEP_3) | instskip(NEXT) | instid1(VALU_DEP_3)
	v_pack_b32_f16 v12, v8, v12
	v_cndmask_b32_e64 v13, 0, v13, s7
	v_cmp_ngt_f32_e64 s7, 0xc2ce8ed0, v9
	s_delay_alu instid0(VALU_DEP_4) | instskip(SKIP_1) | instid1(VALU_DEP_3)
	v_cndmask_b32_e64 v50, 0, v17, s2
	s_wait_alu 0xfffe
	v_cndmask_b32_e64 v13, 0x7f800000, v13, s8
	v_cmp_nlt_f32_e64 s8, 0x42b17218, v9
	s_delay_alu instid0(VALU_DEP_3) | instskip(NEXT) | instid1(VALU_DEP_3)
	v_cvt_f16_f32_e32 v8, v50
	v_cndmask_b32_e64 v48, 0, v13, s2
	s_delay_alu instid0(VALU_DEP_1) | instskip(NEXT) | instid1(VALU_DEP_1)
	v_cvt_f16_f32_e32 v13, v48
	v_pack_b32_f16 v13, v8, v13
	v_add_nc_u32_e32 v8, v44, v36
	ds_store_b64 v8, v[12:13]
	v_sub_f32_e32 v8, v53, v4
	s_delay_alu instid0(VALU_DEP_1) | instskip(SKIP_2) | instid1(VALU_DEP_3)
	v_mul_f32_e32 v12, 0x3fb8aa3b, v8
	v_cmp_ngt_f32_e32 vcc_lo, 0xc2ce8ed0, v8
	v_cmp_nlt_f32_e64 s2, 0x42b17218, v8
	v_fma_f32 v13, 0x3fb8aa3b, v8, -v12
	s_delay_alu instid0(VALU_DEP_1) | instskip(NEXT) | instid1(VALU_DEP_1)
	v_dual_fmac_f32 v13, 0x32a5705f, v8 :: v_dual_sub_f32 v8, v61, v5
	v_mul_f32_e32 v17, 0x3fb8aa3b, v8
	v_cmp_ngt_f32_e64 s3, 0xc2ce8ed0, v8
	v_cmp_nlt_f32_e64 s4, 0x42b17218, v8
	s_delay_alu instid0(VALU_DEP_3) | instskip(NEXT) | instid1(VALU_DEP_1)
	v_fma_f32 v53, 0x3fb8aa3b, v8, -v17
	v_dual_fmac_f32 v53, 0x32a5705f, v8 :: v_dual_sub_f32 v8, v16, v6
	s_delay_alu instid0(VALU_DEP_1) | instskip(SKIP_2) | instid1(VALU_DEP_3)
	v_mul_f32_e32 v16, 0x3fb8aa3b, v8
	v_cmp_ngt_f32_e64 s5, 0xc2ce8ed0, v8
	v_cmp_nlt_f32_e64 s6, 0x42b17218, v8
	v_fma_f32 v54, 0x3fb8aa3b, v8, -v16
	s_delay_alu instid0(VALU_DEP_1) | instskip(SKIP_1) | instid1(VALU_DEP_1)
	v_fmac_f32_e32 v54, 0x32a5705f, v8
	v_rndne_f32_e32 v8, v12
	v_sub_f32_e32 v12, v12, v8
	v_cvt_i32_f32_e32 v8, v8
	s_delay_alu instid0(VALU_DEP_2) | instskip(SKIP_1) | instid1(VALU_DEP_2)
	v_add_f32_e32 v12, v12, v13
	v_rndne_f32_e32 v13, v17
	v_exp_f32_e32 v12, v12
	s_delay_alu instid0(VALU_DEP_1) | instskip(SKIP_1) | instid1(VALU_DEP_2)
	v_sub_f32_e32 v17, v17, v13
	v_cvt_i32_f32_e32 v13, v13
	v_add_f32_e32 v17, v17, v53
	v_rndne_f32_e32 v53, v16
	s_delay_alu instid0(TRANS32_DEP_1) | instskip(NEXT) | instid1(VALU_DEP_3)
	v_ldexp_f32 v8, v12, v8
	v_exp_f32_e32 v12, v17
	s_delay_alu instid0(VALU_DEP_2) | instskip(SKIP_1) | instid1(VALU_DEP_2)
	v_sub_f32_e32 v16, v16, v53
	s_wait_alu 0xfffd
	v_cndmask_b32_e32 v8, 0, v8, vcc_lo
	v_cmp_gt_u32_e32 vcc_lo, s29, v63
	s_delay_alu instid0(VALU_DEP_3) | instskip(SKIP_1) | instid1(VALU_DEP_3)
	v_add_f32_e32 v16, v16, v54
	s_wait_alu 0xf1ff
	v_cndmask_b32_e64 v8, 0x7f800000, v8, s2
	s_delay_alu instid0(TRANS32_DEP_1) | instskip(SKIP_2) | instid1(VALU_DEP_2)
	v_ldexp_f32 v12, v12, v13
	v_mul_f32_e32 v13, 0x3fb8aa3b, v9
	v_exp_f32_e32 v16, v16
	v_cndmask_b32_e64 v12, 0, v12, s3
	s_delay_alu instid0(VALU_DEP_2) | instskip(SKIP_1) | instid1(VALU_DEP_3)
	v_fma_f32 v17, 0x3fb8aa3b, v9, -v13
	v_rndne_f32_e32 v54, v13
	v_cndmask_b32_e64 v12, 0x7f800000, v12, s4
	s_delay_alu instid0(VALU_DEP_3) | instskip(SKIP_1) | instid1(VALU_DEP_2)
	v_fmac_f32_e32 v17, 0x32a5705f, v9
	s_wait_alu 0xfffd
	v_dual_sub_f32 v13, v13, v54 :: v_dual_cndmask_b32 v60, 0, v12
	s_delay_alu instid0(VALU_DEP_1) | instskip(SKIP_1) | instid1(VALU_DEP_2)
	v_add_f32_e32 v13, v13, v17
	v_cvt_i32_f32_e32 v17, v53
	v_exp_f32_e32 v9, v13
	v_cvt_i32_f32_e32 v13, v54
	s_delay_alu instid0(VALU_DEP_2)
	v_ldexp_f32 v16, v16, v17
	s_delay_alu instid0(TRANS32_DEP_1) | instid1(VALU_DEP_2)
	v_ldexp_f32 v9, v9, v13
	s_delay_alu instid0(VALU_DEP_2) | instskip(NEXT) | instid1(VALU_DEP_2)
	v_cndmask_b32_e64 v13, 0, v16, s5
	v_cndmask_b32_e64 v9, 0, v9, s7
	s_delay_alu instid0(VALU_DEP_2) | instskip(SKIP_2) | instid1(VALU_DEP_4)
	v_cndmask_b32_e64 v13, 0x7f800000, v13, s6
	v_cndmask_b32_e32 v61, 0, v8, vcc_lo
	v_cmp_ngt_f32_e64 s7, 0xc2ce8ed0, v11
	v_cndmask_b32_e64 v9, 0x7f800000, v9, s8
	s_delay_alu instid0(VALU_DEP_4) | instskip(NEXT) | instid1(VALU_DEP_4)
	v_cndmask_b32_e32 v54, 0, v13, vcc_lo
	v_cvt_f16_f32_e32 v8, v61
	v_cmp_nlt_f32_e64 s8, 0x42b17218, v11
	s_delay_alu instid0(VALU_DEP_4) | instskip(SKIP_1) | instid1(VALU_DEP_2)
	v_cndmask_b32_e32 v53, 0, v9, vcc_lo
	v_cvt_f16_f32_e32 v9, v60
	v_cvt_f16_f32_e32 v12, v53
	s_delay_alu instid0(VALU_DEP_2) | instskip(SKIP_1) | instid1(VALU_DEP_1)
	v_pack_b32_f16 v8, v8, v9
	v_cvt_f16_f32_e32 v9, v54
	v_pack_b32_f16 v9, v9, v12
	v_lshl_add_u32 v12, v63, 3, v44
	ds_store_b64 v12, v[8:9]
	v_sub_f32_e32 v8, v64, v4
	s_delay_alu instid0(VALU_DEP_1) | instskip(SKIP_2) | instid1(VALU_DEP_3)
	v_mul_f32_e32 v9, 0x3fb8aa3b, v8
	v_cmp_ngt_f32_e32 vcc_lo, 0xc2ce8ed0, v8
	v_cmp_nlt_f32_e64 s2, 0x42b17218, v8
	v_fma_f32 v12, 0x3fb8aa3b, v8, -v9
	s_delay_alu instid0(VALU_DEP_1) | instskip(SKIP_1) | instid1(VALU_DEP_1)
	v_fmac_f32_e32 v12, 0x32a5705f, v8
	v_sub_f32_e32 v8, v62, v5
	v_mul_f32_e32 v13, 0x3fb8aa3b, v8
	v_cmp_ngt_f32_e64 s3, 0xc2ce8ed0, v8
	v_cmp_nlt_f32_e64 s4, 0x42b17218, v8
	s_delay_alu instid0(VALU_DEP_3) | instskip(NEXT) | instid1(VALU_DEP_1)
	v_fma_f32 v16, 0x3fb8aa3b, v8, -v13
	v_fmac_f32_e32 v16, 0x32a5705f, v8
	v_sub_f32_e32 v8, v15, v6
	s_delay_alu instid0(VALU_DEP_1) | instskip(SKIP_2) | instid1(VALU_DEP_3)
	v_mul_f32_e32 v15, 0x3fb8aa3b, v8
	v_cmp_ngt_f32_e64 s5, 0xc2ce8ed0, v8
	v_cmp_nlt_f32_e64 s6, 0x42b17218, v8
	v_fma_f32 v17, 0x3fb8aa3b, v8, -v15
	s_delay_alu instid0(VALU_DEP_1) | instskip(SKIP_1) | instid1(VALU_DEP_1)
	v_fmac_f32_e32 v17, 0x32a5705f, v8
	v_rndne_f32_e32 v8, v9
	v_sub_f32_e32 v9, v9, v8
	v_cvt_i32_f32_e32 v8, v8
	s_delay_alu instid0(VALU_DEP_2) | instskip(SKIP_1) | instid1(VALU_DEP_2)
	v_add_f32_e32 v9, v9, v12
	v_rndne_f32_e32 v12, v13
	v_exp_f32_e32 v9, v9
	s_delay_alu instid0(VALU_DEP_1) | instskip(SKIP_1) | instid1(VALU_DEP_2)
	v_sub_f32_e32 v13, v13, v12
	v_cvt_i32_f32_e32 v12, v12
	v_add_f32_e32 v13, v13, v16
	s_delay_alu instid0(TRANS32_DEP_1) | instskip(NEXT) | instid1(VALU_DEP_2)
	v_ldexp_f32 v8, v9, v8
	v_exp_f32_e32 v9, v13
	s_wait_alu 0xfffd
	s_delay_alu instid0(VALU_DEP_1) | instskip(SKIP_1) | instid1(VALU_DEP_1)
	v_cndmask_b32_e32 v8, 0, v8, vcc_lo
	s_wait_alu 0xf1ff
	v_cndmask_b32_e64 v8, 0x7f800000, v8, s2
	s_delay_alu instid0(TRANS32_DEP_1) | instskip(SKIP_2) | instid1(VALU_DEP_3)
	v_ldexp_f32 v9, v9, v12
	v_mul_f32_e32 v12, 0x3fb8aa3b, v11
	v_rndne_f32_e32 v16, v15
	v_cndmask_b32_e64 v9, 0, v9, s3
	s_delay_alu instid0(VALU_DEP_3) | instskip(NEXT) | instid1(VALU_DEP_3)
	v_fma_f32 v13, 0x3fb8aa3b, v11, -v12
	v_sub_f32_e32 v15, v15, v16
	s_delay_alu instid0(VALU_DEP_3) | instskip(NEXT) | instid1(VALU_DEP_3)
	v_cndmask_b32_e64 v9, 0x7f800000, v9, s4
	v_fmac_f32_e32 v13, 0x32a5705f, v11
	s_delay_alu instid0(VALU_DEP_3) | instskip(SKIP_1) | instid1(VALU_DEP_1)
	v_add_f32_e32 v15, v15, v17
	v_rndne_f32_e32 v17, v12
	v_sub_f32_e32 v12, v12, v17
	s_delay_alu instid0(VALU_DEP_1) | instskip(NEXT) | instid1(VALU_DEP_4)
	v_add_f32_e32 v12, v12, v13
	v_exp_f32_e32 v13, v15
	v_cvt_i32_f32_e32 v15, v16
	s_delay_alu instid0(VALU_DEP_2)
	v_exp_f32_e32 v12, v12
	s_delay_alu instid0(TRANS32_DEP_2) | instid1(VALU_DEP_1)
	v_ldexp_f32 v13, v13, v15
	v_cvt_i32_f32_e32 v15, v17
	s_delay_alu instid0(VALU_DEP_2)
	v_cndmask_b32_e64 v11, 0, v13, s5
	s_delay_alu instid0(TRANS32_DEP_1) | instid1(VALU_DEP_2)
	v_ldexp_f32 v12, v12, v15
	v_cmp_gt_u32_e64 s5, s29, v66
	s_delay_alu instid0(VALU_DEP_3) | instskip(NEXT) | instid1(VALU_DEP_3)
	v_cndmask_b32_e64 v11, 0x7f800000, v11, s6
	v_cndmask_b32_e64 v12, 0, v12, s7
	s_wait_alu 0xf1ff
	s_delay_alu instid0(VALU_DEP_3) | instskip(SKIP_3) | instid1(VALU_DEP_3)
	v_cndmask_b32_e64 v65, 0, v8, s5
	v_cndmask_b32_e64 v64, 0, v9, s5
	;; [unrolled: 1-line block ×4, first 2 shown]
	v_cvt_f16_f32_e32 v11, v64
	s_delay_alu instid0(VALU_DEP_3) | instskip(NEXT) | instid1(VALU_DEP_3)
	v_cvt_f16_f32_e32 v8, v63
	v_cndmask_b32_e64 v62, 0, v12, s5
	s_delay_alu instid0(VALU_DEP_1) | instskip(NEXT) | instid1(VALU_DEP_1)
	v_cvt_f16_f32_e32 v9, v62
	v_pack_b32_f16 v9, v8, v9
	v_cvt_f16_f32_e32 v8, v65
	s_delay_alu instid0(VALU_DEP_1) | instskip(SKIP_3) | instid1(VALU_DEP_1)
	v_pack_b32_f16 v8, v8, v11
	v_lshl_add_u32 v11, v66, 3, v44
	ds_store_b64 v11, v[8:9]
	v_sub_f32_e32 v8, v67, v4
	v_mul_f32_e32 v9, 0x3fb8aa3b, v8
	v_cmp_ngt_f32_e32 vcc_lo, 0xc2ce8ed0, v8
	v_cmp_nlt_f32_e64 s2, 0x42b17218, v8
	s_delay_alu instid0(VALU_DEP_3) | instskip(SKIP_1) | instid1(VALU_DEP_2)
	v_fma_f32 v11, 0x3fb8aa3b, v8, -v9
	v_rndne_f32_e32 v12, v9
	v_fmac_f32_e32 v11, 0x32a5705f, v8
	s_delay_alu instid0(VALU_DEP_2) | instskip(SKIP_1) | instid1(VALU_DEP_2)
	v_sub_f32_e32 v9, v9, v12
	v_cvt_i32_f32_e32 v12, v12
	v_add_f32_e32 v9, v9, v11
	v_sub_f32_e32 v11, v18, v5
	s_delay_alu instid0(VALU_DEP_2) | instskip(NEXT) | instid1(VALU_DEP_1)
	v_exp_f32_e32 v9, v9
	v_mul_f32_e32 v13, 0x3fb8aa3b, v11
	v_cmp_ngt_f32_e64 s3, 0xc2ce8ed0, v11
	v_cmp_nlt_f32_e64 s4, 0x42b17218, v11
	s_delay_alu instid0(VALU_DEP_3) | instskip(SKIP_1) | instid1(TRANS32_DEP_1)
	v_fma_f32 v15, 0x3fb8aa3b, v11, -v13
	v_rndne_f32_e32 v16, v13
	v_ldexp_f32 v9, v9, v12
	s_delay_alu instid0(VALU_DEP_3) | instskip(NEXT) | instid1(VALU_DEP_3)
	v_fmac_f32_e32 v15, 0x32a5705f, v11
	v_sub_f32_e32 v13, v13, v16
	v_cvt_i32_f32_e32 v12, v16
	v_sub_f32_e32 v11, v14, v6
	s_wait_alu 0xfffd
	v_cndmask_b32_e32 v9, 0, v9, vcc_lo
	v_cmp_gt_i32_e32 vcc_lo, s29, v75
	v_add_f32_e32 v13, v13, v15
	v_cmp_ngt_f32_e64 s5, 0xc2ce8ed0, v11
	v_cmp_nlt_f32_e64 s6, 0x42b17218, v11
	s_wait_alu 0xf1ff
	v_cndmask_b32_e64 v9, 0x7f800000, v9, s2
	v_exp_f32_e32 v8, v13
	s_delay_alu instid0(TRANS32_DEP_1) | instskip(SKIP_1) | instid1(VALU_DEP_2)
	v_ldexp_f32 v8, v8, v12
	v_mul_f32_e32 v12, 0x3fb8aa3b, v11
	v_cndmask_b32_e64 v8, 0, v8, s3
	s_delay_alu instid0(VALU_DEP_2) | instskip(SKIP_2) | instid1(VALU_DEP_3)
	v_fma_f32 v13, 0x3fb8aa3b, v11, -v12
	v_rndne_f32_e32 v14, v12
	s_mul_u64 s[2:3], s[24:25], s[14:15]
	v_cndmask_b32_e64 v8, 0x7f800000, v8, s4
	s_delay_alu instid0(VALU_DEP_2) | instskip(SKIP_3) | instid1(VALU_DEP_2)
	v_dual_fmac_f32 v13, 0x32a5705f, v11 :: v_dual_sub_f32 v12, v12, v14
	v_cvt_i32_f32_e32 v14, v14
	s_wait_alu 0xfffe
	s_lshl_b64 s[2:3], s[2:3], 2
	v_dual_add_f32 v12, v12, v13 :: v_dual_mul_f32 v13, 0x3fb8aa3b, v10
	s_delay_alu instid0(VALU_DEP_1) | instskip(NEXT) | instid1(VALU_DEP_1)
	v_exp_f32_e32 v12, v12
	v_fma_f32 v15, 0x3fb8aa3b, v10, -v13
	v_rndne_f32_e32 v16, v13
	s_delay_alu instid0(VALU_DEP_1) | instskip(NEXT) | instid1(VALU_DEP_3)
	v_sub_f32_e32 v13, v13, v16
	v_fmac_f32_e32 v15, 0x32a5705f, v10
	v_cmp_ngt_f32_e64 s7, 0xc2ce8ed0, v10
	s_delay_alu instid0(TRANS32_DEP_1) | instskip(SKIP_1) | instid1(VALU_DEP_4)
	v_ldexp_f32 v12, v12, v14
	v_cmp_nlt_f32_e64 s8, 0x42b17218, v10
	v_add_f32_e32 v13, v13, v15
	v_mul_lo_u32 v15, s14, v75
	s_delay_alu instid0(VALU_DEP_4) | instskip(SKIP_1) | instid1(VALU_DEP_4)
	v_cndmask_b32_e64 v10, 0, v12, s5
	v_cmp_gt_u32_e64 s5, s29, v70
	v_exp_f32_e32 v11, v13
	v_cvt_i32_f32_e32 v13, v16
	s_delay_alu instid0(VALU_DEP_3)
	v_cndmask_b32_e64 v10, 0x7f800000, v10, s6
	s_wait_alu 0xf1ff
	v_cndmask_b32_e64 v69, 0, v9, s5
	v_cndmask_b32_e64 v68, 0, v8, s5
	v_ashrrev_i32_e32 v16, 31, v15
	s_lshl_b32 s6, s14, 4
	v_cndmask_b32_e64 v67, 0, v10, s5
	s_delay_alu instid0(VALU_DEP_3) | instskip(SKIP_2) | instid1(VALU_DEP_4)
	v_cvt_f16_f32_e32 v10, v68
	v_ldexp_f32 v11, v11, v13
	v_lshlrev_b64_e32 v[17:18], 2, v[15:16]
	v_cvt_f16_f32_e32 v8, v67
	s_delay_alu instid0(VALU_DEP_3) | instskip(NEXT) | instid1(VALU_DEP_1)
	v_cndmask_b32_e64 v11, 0, v11, s7
	v_cndmask_b32_e64 v11, 0x7f800000, v11, s8
	s_delay_alu instid0(VALU_DEP_1) | instskip(SKIP_2) | instid1(VALU_DEP_1)
	v_cndmask_b32_e64 v66, 0, v11, s5
	s_wait_alu 0xfffe
	s_add_nc_u64 s[4:5], s[26:27], s[2:3]
	v_cvt_f16_f32_e32 v9, v66
	s_delay_alu instid0(VALU_DEP_1) | instskip(SKIP_1) | instid1(VALU_DEP_1)
	v_pack_b32_f16 v9, v8, v9
	v_cvt_f16_f32_e32 v8, v69
	v_pack_b32_f16 v8, v8, v10
	v_lshl_add_u32 v10, v70, 3, v44
	v_add_nc_u32_e32 v70, 16, v75
	ds_store_b64 v10, v[8:9]
	s_wait_alu 0xfffe
	v_add_co_u32 v8, s2, s4, v17
	s_wait_alu 0xf1ff
	v_add_co_ci_u32_e64 v9, null, s5, v18, s2
	v_lshl_or_b32 v72, v70, 8, v37
	s_delay_alu instid0(VALU_DEP_3) | instskip(SKIP_1) | instid1(VALU_DEP_3)
	v_add_co_u32 v8, s3, v8, v37
	s_wait_alu 0xf1ff
	v_add_co_ci_u32_e64 v9, null, 0, v9, s3
	s_wait_alu 0xfffd
	s_delay_alu instid0(VALU_DEP_2) | instskip(NEXT) | instid1(VALU_DEP_2)
	v_cndmask_b32_e32 v11, 0, v8, vcc_lo
	v_cndmask_b32_e32 v12, s9, v9, vcc_lo
	v_dual_mov_b32 v8, s40 :: v_dual_mov_b32 v9, s41
	v_mov_b32_e32 v10, s42
	scratch_store_b32 off, v38, off
	v_cmp_gt_i32_e32 vcc_lo, s29, v70
	scratch_store_b96 off, v[8:10], off offset:4
	flat_load_b128 v[11:14], v[11:12]
	s_wait_loadcnt_dscnt 0x0
	ds_store_b128 v74, v[11:14]
	v_add_nc_u32_e32 v11, s6, v15
	s_clause 0x1
	scratch_store_b32 off, v38, off
	scratch_store_b96 off, v[8:10], off offset:4
	v_ashrrev_i32_e32 v12, 31, v11
	s_delay_alu instid0(VALU_DEP_1) | instskip(NEXT) | instid1(VALU_DEP_1)
	v_lshlrev_b64_e32 v[13:14], 2, v[11:12]
	v_add_co_u32 v12, s2, s4, v13
	s_wait_alu 0xf1ff
	s_delay_alu instid0(VALU_DEP_2) | instskip(NEXT) | instid1(VALU_DEP_2)
	v_add_co_ci_u32_e64 v15, null, s5, v14, s2
	v_add_co_u32 v12, s3, v12, v37
	s_wait_alu 0xf1ff
	s_delay_alu instid0(VALU_DEP_2) | instskip(SKIP_1) | instid1(VALU_DEP_2)
	v_add_co_ci_u32_e64 v16, null, 0, v15, s3
	s_wait_alu 0xfffd
	v_cndmask_b32_e32 v15, 0, v12, vcc_lo
	s_delay_alu instid0(VALU_DEP_2) | instskip(SKIP_4) | instid1(VALU_DEP_1)
	v_cndmask_b32_e32 v16, s9, v16, vcc_lo
	v_cmp_gt_i32_e32 vcc_lo, s29, v71
	v_add_nc_u32_e32 v11, s6, v11
	flat_load_b128 v[76:79], v[15:16]
	v_ashrrev_i32_e32 v12, 31, v11
	v_lshlrev_b64_e32 v[15:16], 2, v[11:12]
	s_delay_alu instid0(VALU_DEP_1) | instskip(SKIP_1) | instid1(VALU_DEP_2)
	v_add_co_u32 v12, s2, s4, v15
	s_wait_alu 0xf1ff
	v_add_co_ci_u32_e64 v39, null, s5, v16, s2
	s_delay_alu instid0(VALU_DEP_2) | instskip(SKIP_1) | instid1(VALU_DEP_2)
	v_add_co_u32 v12, s3, v12, v37
	s_wait_alu 0xf1ff
	v_add_co_ci_u32_e64 v39, null, 0, v39, s3
	s_wait_loadcnt_dscnt 0x0
	ds_store_b128 v72, v[76:79]
	s_wait_alu 0xfffd
	v_cndmask_b32_e32 v76, 0, v12, vcc_lo
	v_cndmask_b32_e32 v77, s9, v39, vcc_lo
	s_clause 0x1
	scratch_store_b32 off, v38, off
	scratch_store_b96 off, v[8:10], off offset:4
	v_add_nc_u32_e32 v39, 48, v75
	flat_load_b128 v[76:79], v[76:77]
	v_cmp_gt_i32_e32 vcc_lo, s29, v39
	v_add_nc_u32_e32 v11, s6, v11
	s_delay_alu instid0(VALU_DEP_1) | instskip(NEXT) | instid1(VALU_DEP_1)
	v_ashrrev_i32_e32 v12, 31, v11
	v_lshlrev_b64_e32 v[11:12], 2, v[11:12]
	s_delay_alu instid0(VALU_DEP_1) | instskip(NEXT) | instid1(VALU_DEP_1)
	v_add_co_u32 v44, s2, s4, v11
	v_add_co_u32 v44, s3, v44, v37
	s_wait_loadcnt_dscnt 0x0
	ds_store_b128 v73, v[76:79]
	s_wait_alu 0xf1ff
	v_add_co_ci_u32_e64 v76, null, s5, v12, s2
	s_clause 0x1
	scratch_store_b32 off, v38, off
	scratch_store_b96 off, v[8:10], off offset:4
	v_add_co_ci_u32_e64 v77, null, 0, v76, s3
	s_wait_alu 0xfffd
	v_cndmask_b32_e32 v76, 0, v44, vcc_lo
	v_lshl_or_b32 v44, v39, 8, v37
	s_delay_alu instid0(VALU_DEP_3)
	v_cndmask_b32_e32 v77, s9, v77, vcc_lo
	flat_load_b128 v[76:79], v[76:77]
	s_wait_loadcnt_dscnt 0x0
	ds_store_b128 v44, v[76:79]
	v_dual_sub_f32 v76, v0, v4 :: v_dual_sub_f32 v77, v1, v5
	v_sub_f32_e32 v78, v2, v6
	s_wait_storecnt_dscnt 0x0
	s_barrier_signal -1
	s_barrier_wait -1
	global_inv scope:SCOPE_SE
	ds_load_b128 v[0:3], v35 offset:18432
	v_cmp_ngt_f32_e32 vcc_lo, 0xc2ce8ed0, v76
	v_cmp_nlt_f32_e64 s2, 0x42b17218, v76
	v_cmp_ngt_f32_e64 s5, 0xc2ce8ed0, v78
	v_cmp_nlt_f32_e64 s6, 0x42b17218, v78
	s_wait_dscnt 0x0
	v_lshrrev_b32_e32 v84, 16, v2
	v_and_b32_e32 v86, 0xffff, v2
	v_mul_f32_e32 v2, 0x3fb8aa3b, v77
	v_lshrrev_b32_e32 v81, 16, v0
	v_and_b32_e32 v79, 0xffff, v0
	v_lshrrev_b32_e32 v85, 16, v3
	v_and_b32_e32 v87, 0xffff, v3
	v_mul_f32_e32 v0, 0x3fb8aa3b, v76
	v_fma_f32 v3, 0x3fb8aa3b, v77, -v2
	v_lshrrev_b32_e32 v82, 16, v1
	v_cmp_ngt_f32_e64 s3, 0xc2ce8ed0, v77
	v_cmp_nlt_f32_e64 s4, 0x42b17218, v77
	v_mul_u32_u24_e32 v81, 0x10001, v81
	v_fmac_f32_e32 v3, 0x32a5705f, v77
	v_and_b32_e32 v83, 0xffff, v1
	v_fma_f32 v1, 0x3fb8aa3b, v76, -v0
	s_delay_alu instid0(VALU_DEP_1) | instskip(SKIP_1) | instid1(VALU_DEP_1)
	v_fmac_f32_e32 v1, 0x32a5705f, v76
	v_mul_f32_e32 v76, 0x3fb8aa3b, v78
	v_fma_f32 v77, 0x3fb8aa3b, v78, -v76
	s_delay_alu instid0(VALU_DEP_1) | instskip(SKIP_1) | instid1(VALU_DEP_1)
	v_fmac_f32_e32 v77, 0x32a5705f, v78
	v_rndne_f32_e32 v78, v0
	v_sub_f32_e32 v0, v0, v78
	s_delay_alu instid0(VALU_DEP_1) | instskip(SKIP_2) | instid1(VALU_DEP_3)
	v_add_f32_e32 v0, v0, v1
	v_rndne_f32_e32 v1, v2
	v_mul_u32_u24_e32 v88, 0x10001, v79
	v_exp_f32_e32 v0, v0
	s_delay_alu instid0(VALU_DEP_2) | instskip(SKIP_1) | instid1(VALU_DEP_2)
	v_sub_f32_e32 v2, v2, v1
	v_cvt_i32_f32_e32 v1, v1
	v_add_f32_e32 v2, v2, v3
	v_rndne_f32_e32 v3, v76
	v_mul_u32_u24_e32 v83, 0x10001, v83
	s_delay_alu instid0(VALU_DEP_3) | instskip(NEXT) | instid1(VALU_DEP_2)
	v_exp_f32_e32 v2, v2
	v_sub_f32_e32 v76, v76, v3
	v_cvt_i32_f32_e32 v3, v3
	s_delay_alu instid0(VALU_DEP_2) | instskip(SKIP_1) | instid1(TRANS32_DEP_1)
	v_add_f32_e32 v76, v76, v77
	v_cvt_i32_f32_e32 v77, v78
	v_ldexp_f32 v1, v2, v1
	s_delay_alu instid0(VALU_DEP_3) | instskip(NEXT) | instid1(VALU_DEP_2)
	v_exp_f32_e32 v2, v76
	v_ldexp_f32 v0, v0, v77
	ds_load_2addr_b64 v[76:79], v36 offset1:32
	s_wait_alu 0xf1ff
	v_cndmask_b32_e64 v1, 0, v1, s3
	s_wait_alu 0xfffd
	v_cndmask_b32_e32 v0, 0, v0, vcc_lo
	v_cmp_ngt_f32_e32 vcc_lo, 0xc2ce8ed0, v80
	s_delay_alu instid0(VALU_DEP_3) | instskip(SKIP_1) | instid1(VALU_DEP_4)
	v_cndmask_b32_e64 v1, 0x7f800000, v1, s4
	v_ldexp_f32 v2, v2, v3
	v_cndmask_b32_e64 v0, 0x7f800000, v0, s2
	v_cmp_nlt_f32_e64 s2, 0x42b17218, v80
	s_delay_alu instid0(VALU_DEP_3) | instskip(NEXT) | instid1(VALU_DEP_3)
	v_cndmask_b32_e64 v2, 0, v2, s5
	v_cvt_f16_f32_e32 v3, v0
	s_delay_alu instid0(VALU_DEP_2) | instskip(NEXT) | instid1(VALU_DEP_2)
	v_cndmask_b32_e64 v2, 0x7f800000, v2, s6
	v_and_b32_e32 v3, 0xffff, v3
	s_wait_dscnt 0x0
	v_pk_mul_f16 v89, v76, v88
	v_pk_mul_f16 v91, v76, v83
	s_delay_alu instid0(VALU_DEP_3) | instskip(NEXT) | instid1(VALU_DEP_1)
	v_mul_u32_u24_e32 v3, 0x10001, v3
	v_pk_fma_f16 v47, v47, v3, v89
	v_pk_mul_f16 v49, v49, v3
	v_cvt_f16_f32_e32 v3, v1
	v_pk_mul_f16 v89, v76, v81
	s_delay_alu instid0(VALU_DEP_3) | instskip(NEXT) | instid1(VALU_DEP_3)
	v_pk_fma_f16 v49, v77, v88, v49
	v_and_b32_e32 v3, 0xffff, v3
	s_delay_alu instid0(VALU_DEP_1) | instskip(NEXT) | instid1(VALU_DEP_1)
	v_mul_u32_u24_e32 v3, 0x10001, v3
	v_pk_fma_f16 v45, v45, v3, v89
	v_pk_mul_f16 v46, v46, v3
	v_mul_f32_e32 v3, 0x3fb8aa3b, v80
	s_delay_alu instid0(VALU_DEP_2) | instskip(NEXT) | instid1(VALU_DEP_2)
	v_pk_fma_f16 v46, v77, v81, v46
	v_fma_f32 v89, 0x3fb8aa3b, v80, -v3
	v_rndne_f32_e32 v90, v3
	s_delay_alu instid0(VALU_DEP_2) | instskip(NEXT) | instid1(VALU_DEP_2)
	v_fmac_f32_e32 v89, 0x32a5705f, v80
	v_sub_f32_e32 v3, v3, v90
	s_delay_alu instid0(VALU_DEP_1) | instskip(SKIP_1) | instid1(VALU_DEP_2)
	v_add_f32_e32 v3, v3, v89
	v_cvt_f16_f32_e32 v89, v2
	v_exp_f32_e32 v3, v3
	s_delay_alu instid0(VALU_DEP_1) | instskip(NEXT) | instid1(VALU_DEP_1)
	v_and_b32_e32 v89, 0xffff, v89
	v_mul_u32_u24_e32 v89, 0x10001, v89
	s_delay_alu instid0(VALU_DEP_1) | instskip(SKIP_2) | instid1(VALU_DEP_2)
	v_pk_fma_f16 v42, v42, v89, v91
	v_pk_mul_f16 v43, v43, v89
	v_cvt_i32_f32_e32 v89, v90
	v_pk_fma_f16 v43, v77, v83, v43
	s_delay_alu instid0(TRANS32_DEP_1) | instid1(VALU_DEP_2)
	v_ldexp_f32 v3, v3, v89
	s_wait_alu 0xfffd
	s_delay_alu instid0(VALU_DEP_1) | instskip(SKIP_1) | instid1(VALU_DEP_1)
	v_cndmask_b32_e32 v3, 0, v3, vcc_lo
	s_wait_alu 0xf1ff
	v_cndmask_b32_e64 v3, 0x7f800000, v3, s2
	s_or_b32 s2, s24, 64
	s_wait_alu 0xfffe
	s_ashr_i32 s3, s2, 31
	s_delay_alu instid0(VALU_DEP_1)
	v_cvt_f16_f32_e32 v80, v3
	s_wait_alu 0xfffe
	s_mul_u64 s[2:3], s[2:3], s[14:15]
	s_wait_alu 0xfffe
	s_lshl_b64 s[2:3], s[2:3], 2
	v_and_b32_e32 v80, 0xffff, v80
	s_wait_alu 0xfffe
	s_add_nc_u64 s[4:5], s[26:27], s[2:3]
	s_sub_co_i32 s3, s29, 64
	s_wait_alu 0xfffe
	v_add_co_u32 v17, vcc_lo, s4, v17
	v_mul_u32_u24_e32 v80, 0x10001, v80
	s_wait_alu 0xfffd
	v_add_co_ci_u32_e64 v18, null, s5, v18, vcc_lo
	v_cmp_gt_i32_e32 vcc_lo, s3, v75
	v_add_co_u32 v17, s2, v17, v37
	v_pk_mul_f16 v41, v41, v80
	v_pk_mul_f16 v40, v40, v80
	v_mul_u32_u24_e32 v80, 0x10001, v82
	s_wait_alu 0xfffd
	v_cndmask_b32_e32 v17, 0, v17, vcc_lo
	s_wait_alu 0xf1ff
	v_add_co_ci_u32_e64 v18, null, 0, v18, s2
	v_pk_fma_f16 v41, v76, v80, v41
	v_pk_fma_f16 v40, v77, v80, v40
	v_mul_u32_u24_e32 v76, 0x10001, v85
	s_delay_alu instid0(VALU_DEP_4)
	v_cndmask_b32_e32 v18, s9, v18, vcc_lo
	v_add_co_u32 v13, vcc_lo, s4, v13
	s_wait_alu 0xfffd
	v_add_co_ci_u32_e64 v14, null, s5, v14, vcc_lo
	v_pk_fma_f16 v77, v78, v76, v41
	v_pk_fma_f16 v76, v79, v76, v40
	v_mul_u32_u24_e32 v40, 0x10001, v86
	v_cmp_gt_i32_e32 vcc_lo, s3, v70
	v_add_co_u32 v13, s2, v13, v37
	s_wait_alu 0xf1ff
	v_add_co_ci_u32_e64 v14, null, 0, v14, s2
	v_pk_fma_f16 v49, v79, v40, v49
	v_pk_fma_f16 v47, v78, v40, v47
	v_mul_u32_u24_e32 v40, 0x10001, v84
	s_wait_alu 0xfffd
	v_cndmask_b32_e32 v14, s9, v14, vcc_lo
	v_cndmask_b32_e32 v13, 0, v13, vcc_lo
	s_delay_alu instid0(VALU_DEP_3) | instskip(SKIP_2) | instid1(VALU_DEP_1)
	v_pk_fma_f16 v46, v79, v40, v46
	v_pk_fma_f16 v45, v78, v40, v45
	v_mul_u32_u24_e32 v40, 0x10001, v87
	v_pk_fma_f16 v79, v79, v40, v43
	v_pk_fma_f16 v78, v78, v40, v42
	ds_load_b128 v[40:43], v35 offset:18448
	s_wait_dscnt 0x0
	v_lshrrev_b32_e32 v80, 16, v40
	v_lshrrev_b32_e32 v81, 16, v41
	v_and_b32_e32 v82, 0xffff, v40
	v_and_b32_e32 v83, 0xffff, v41
	v_lshrrev_b32_e32 v84, 16, v42
	v_lshrrev_b32_e32 v85, 16, v43
	v_and_b32_e32 v86, 0xffff, v42
	v_and_b32_e32 v87, 0xffff, v43
	ds_load_2addr_b64 v[40:43], v36 offset0:64 offset1:96
	v_mul_u32_u24_e32 v81, 0x10001, v81
	v_mul_u32_u24_e32 v80, 0x10001, v80
	s_wait_dscnt 0x0
	s_delay_alu instid0(VALU_DEP_2)
	v_pk_fma_f16 v77, v40, v81, v77
	v_pk_fma_f16 v76, v41, v81, v76
	v_mul_u32_u24_e32 v81, 0x10001, v82
	v_pk_fma_f16 v46, v41, v80, v46
	v_pk_fma_f16 v45, v40, v80, v45
	v_mul_u32_u24_e32 v80, 0x10001, v83
	s_delay_alu instid0(VALU_DEP_4) | instskip(SKIP_1) | instid1(VALU_DEP_3)
	v_pk_fma_f16 v47, v40, v81, v47
	v_pk_fma_f16 v49, v41, v81, v49
	;; [unrolled: 1-line block ×3, first 2 shown]
	v_mul_u32_u24_e32 v78, 0x10001, v85
	v_pk_fma_f16 v41, v41, v80, v79
	s_delay_alu instid0(VALU_DEP_2) | instskip(SKIP_2) | instid1(VALU_DEP_1)
	v_pk_fma_f16 v77, v42, v78, v77
	v_pk_fma_f16 v76, v43, v78, v76
	v_mul_u32_u24_e32 v78, 0x10001, v86
	v_pk_fma_f16 v49, v43, v78, v49
	v_pk_fma_f16 v47, v42, v78, v47
	v_mul_u32_u24_e32 v78, 0x10001, v84
	s_delay_alu instid0(VALU_DEP_1) | instskip(SKIP_2) | instid1(VALU_DEP_1)
	v_pk_fma_f16 v46, v43, v78, v46
	v_pk_fma_f16 v45, v42, v78, v45
	v_mul_u32_u24_e32 v78, 0x10001, v87
	v_pk_fma_f16 v79, v43, v78, v41
	v_pk_fma_f16 v78, v42, v78, v40
	ds_load_b128 v[40:43], v35 offset:18464
	s_wait_dscnt 0x0
	v_lshrrev_b32_e32 v80, 16, v40
	v_lshrrev_b32_e32 v81, 16, v41
	v_and_b32_e32 v82, 0xffff, v40
	v_and_b32_e32 v83, 0xffff, v41
	v_lshrrev_b32_e32 v84, 16, v42
	v_lshrrev_b32_e32 v85, 16, v43
	v_and_b32_e32 v86, 0xffff, v42
	v_and_b32_e32 v87, 0xffff, v43
	ds_load_2addr_b64 v[40:43], v36 offset0:128 offset1:160
	v_mul_u32_u24_e32 v81, 0x10001, v81
	v_mul_u32_u24_e32 v80, 0x10001, v80
	s_wait_dscnt 0x0
	s_delay_alu instid0(VALU_DEP_2)
	v_pk_fma_f16 v77, v40, v81, v77
	v_pk_fma_f16 v76, v41, v81, v76
	v_mul_u32_u24_e32 v81, 0x10001, v82
	v_pk_fma_f16 v46, v41, v80, v46
	v_pk_fma_f16 v45, v40, v80, v45
	v_mul_u32_u24_e32 v80, 0x10001, v83
	s_delay_alu instid0(VALU_DEP_4) | instskip(SKIP_1) | instid1(VALU_DEP_3)
	v_pk_fma_f16 v47, v40, v81, v47
	v_pk_fma_f16 v49, v41, v81, v49
	;; [unrolled: 1-line block ×3, first 2 shown]
	v_mul_u32_u24_e32 v78, 0x10001, v85
	v_pk_fma_f16 v41, v41, v80, v79
	s_delay_alu instid0(VALU_DEP_2) | instskip(SKIP_2) | instid1(VALU_DEP_1)
	v_pk_fma_f16 v77, v42, v78, v77
	v_pk_fma_f16 v76, v43, v78, v76
	v_mul_u32_u24_e32 v78, 0x10001, v86
	v_pk_fma_f16 v49, v43, v78, v49
	v_pk_fma_f16 v47, v42, v78, v47
	v_mul_u32_u24_e32 v78, 0x10001, v84
	s_delay_alu instid0(VALU_DEP_1) | instskip(SKIP_2) | instid1(VALU_DEP_1)
	v_pk_fma_f16 v46, v43, v78, v46
	v_pk_fma_f16 v45, v42, v78, v45
	v_mul_u32_u24_e32 v78, 0x10001, v87
	v_pk_fma_f16 v79, v43, v78, v41
	v_pk_fma_f16 v78, v42, v78, v40
	ds_load_b128 v[40:43], v35 offset:18480
	s_wait_dscnt 0x0
	v_lshrrev_b32_e32 v80, 16, v40
	v_lshrrev_b32_e32 v81, 16, v41
	v_and_b32_e32 v82, 0xffff, v40
	v_and_b32_e32 v83, 0xffff, v41
	v_lshrrev_b32_e32 v84, 16, v42
	v_lshrrev_b32_e32 v85, 16, v43
	v_and_b32_e32 v86, 0xffff, v42
	v_and_b32_e32 v87, 0xffff, v43
	ds_load_2addr_b64 v[40:43], v36 offset0:192 offset1:224
	v_mul_u32_u24_e32 v81, 0x10001, v81
	v_mul_u32_u24_e32 v80, 0x10001, v80
	s_wait_dscnt 0x0
	s_delay_alu instid0(VALU_DEP_2)
	v_pk_fma_f16 v77, v40, v81, v77
	v_pk_fma_f16 v76, v41, v81, v76
	v_mul_u32_u24_e32 v81, 0x10001, v82
	v_pk_fma_f16 v46, v41, v80, v46
	v_pk_fma_f16 v45, v40, v80, v45
	v_mul_u32_u24_e32 v80, 0x10001, v83
	s_delay_alu instid0(VALU_DEP_4) | instskip(SKIP_1) | instid1(VALU_DEP_3)
	v_pk_fma_f16 v47, v40, v81, v47
	v_pk_fma_f16 v49, v41, v81, v49
	;; [unrolled: 1-line block ×3, first 2 shown]
	v_mul_u32_u24_e32 v78, 0x10001, v85
	v_pk_fma_f16 v41, v41, v80, v79
	s_delay_alu instid0(VALU_DEP_2) | instskip(SKIP_2) | instid1(VALU_DEP_2)
	v_pk_fma_f16 v81, v43, v78, v76
	v_mul_u32_u24_e32 v76, 0x10001, v86
	v_pk_fma_f16 v80, v42, v78, v77
	v_pk_fma_f16 v49, v43, v76, v49
	;; [unrolled: 1-line block ×3, first 2 shown]
	v_mul_u32_u24_e32 v76, 0x10001, v84
	s_delay_alu instid0(VALU_DEP_1) | instskip(SKIP_2) | instid1(VALU_DEP_1)
	v_pk_fma_f16 v46, v43, v76, v46
	v_pk_fma_f16 v45, v42, v76, v45
	v_mul_u32_u24_e32 v76, 0x10001, v87
	v_pk_fma_f16 v82, v43, v76, v41
	v_pk_fma_f16 v83, v42, v76, v40
	ds_load_b128 v[40:43], v35 offset:18496
	s_wait_dscnt 0x0
	v_lshrrev_b32_e32 v84, 16, v40
	v_lshrrev_b32_e32 v76, 16, v41
	v_and_b32_e32 v85, 0xffff, v40
	v_add_nc_u32_e32 v40, 0x800, v36
	v_and_b32_e32 v41, 0xffff, v41
	v_lshrrev_b32_e32 v86, 16, v42
	v_mul_u32_u24_e32 v88, 0x10001, v76
	v_and_b32_e32 v42, 0xffff, v42
	ds_load_2addr_b64 v[76:79], v40 offset1:32
	v_mul_u32_u24_e32 v85, 0x10001, v85
	v_lshrrev_b32_e32 v87, 16, v43
	v_and_b32_e32 v43, 0xffff, v43
	v_mul_u32_u24_e32 v84, 0x10001, v84
	v_mul_u32_u24_e32 v41, 0x10001, v41
	;; [unrolled: 1-line block ×3, first 2 shown]
	s_delay_alu instid0(VALU_DEP_4)
	v_mul_u32_u24_e32 v43, 0x10001, v43
	s_wait_dscnt 0x0
	v_pk_fma_f16 v49, v77, v85, v49
	v_pk_fma_f16 v47, v76, v85, v47
	;; [unrolled: 1-line block ×8, first 2 shown]
	v_mul_u32_u24_e32 v76, 0x10001, v87
	v_pk_fma_f16 v49, v79, v42, v49
	v_pk_fma_f16 v42, v78, v42, v47
	v_mul_u32_u24_e32 v47, 0x10001, v86
	v_pk_fma_f16 v41, v78, v43, v41
	v_pk_fma_f16 v80, v78, v76, v80
	v_pk_fma_f16 v81, v79, v76, v81
	s_delay_alu instid0(VALU_DEP_4)
	v_pk_fma_f16 v46, v79, v47, v46
	v_pk_fma_f16 v45, v78, v47, v45
	;; [unrolled: 1-line block ×3, first 2 shown]
	ds_load_b128 v[76:79], v35 offset:18512
	s_wait_dscnt 0x0
	v_lshrrev_b32_e32 v43, 16, v76
	v_lshrrev_b32_e32 v82, 16, v77
	v_and_b32_e32 v83, 0xffff, v76
	v_and_b32_e32 v84, 0xffff, v77
	v_lshrrev_b32_e32 v85, 16, v78
	v_lshrrev_b32_e32 v86, 16, v79
	v_and_b32_e32 v87, 0xffff, v78
	v_and_b32_e32 v88, 0xffff, v79
	ds_load_2addr_b64 v[76:79], v40 offset0:64 offset1:96
	v_mul_u32_u24_e32 v82, 0x10001, v82
	v_mul_u32_u24_e32 v43, 0x10001, v43
	s_wait_dscnt 0x0
	s_delay_alu instid0(VALU_DEP_2)
	v_pk_fma_f16 v80, v76, v82, v80
	v_pk_fma_f16 v81, v77, v82, v81
	v_mul_u32_u24_e32 v82, 0x10001, v83
	v_pk_fma_f16 v46, v77, v43, v46
	v_pk_fma_f16 v43, v76, v43, v45
	v_mul_u32_u24_e32 v45, 0x10001, v84
	s_delay_alu instid0(VALU_DEP_4) | instskip(SKIP_1) | instid1(VALU_DEP_3)
	v_pk_fma_f16 v49, v77, v82, v49
	v_pk_fma_f16 v42, v76, v82, v42
	;; [unrolled: 1-line block ×3, first 2 shown]
	v_mul_u32_u24_e32 v76, 0x10001, v87
	v_pk_fma_f16 v47, v77, v45, v47
	v_mul_u32_u24_e32 v45, 0x10001, v86
	s_delay_alu instid0(VALU_DEP_3) | instskip(SKIP_2) | instid1(VALU_DEP_4)
	v_pk_fma_f16 v49, v79, v76, v49
	v_pk_fma_f16 v42, v78, v76, v42
	v_mul_u32_u24_e32 v76, 0x10001, v85
	v_pk_fma_f16 v80, v78, v45, v80
	v_pk_fma_f16 v45, v79, v45, v81
	s_delay_alu instid0(VALU_DEP_3) | instskip(SKIP_2) | instid1(VALU_DEP_1)
	v_pk_fma_f16 v46, v79, v76, v46
	v_pk_fma_f16 v43, v78, v76, v43
	v_mul_u32_u24_e32 v76, 0x10001, v88
	v_pk_fma_f16 v47, v79, v76, v47
	v_pk_fma_f16 v41, v78, v76, v41
	ds_load_b128 v[76:79], v35 offset:18528
	s_wait_dscnt 0x0
	v_lshrrev_b32_e32 v81, 16, v76
	v_lshrrev_b32_e32 v82, 16, v77
	v_and_b32_e32 v83, 0xffff, v76
	v_and_b32_e32 v84, 0xffff, v77
	v_lshrrev_b32_e32 v85, 16, v78
	v_lshrrev_b32_e32 v86, 16, v79
	v_and_b32_e32 v87, 0xffff, v78
	v_and_b32_e32 v88, 0xffff, v79
	ds_load_2addr_b64 v[76:79], v40 offset0:128 offset1:160
	v_mul_u32_u24_e32 v82, 0x10001, v82
	v_mul_u32_u24_e32 v81, 0x10001, v81
	s_wait_dscnt 0x0
	s_delay_alu instid0(VALU_DEP_2)
	v_pk_fma_f16 v80, v76, v82, v80
	v_pk_fma_f16 v45, v77, v82, v45
	v_mul_u32_u24_e32 v82, 0x10001, v83
	v_pk_fma_f16 v46, v77, v81, v46
	v_pk_fma_f16 v43, v76, v81, v43
	v_mul_u32_u24_e32 v81, 0x10001, v84
	s_delay_alu instid0(VALU_DEP_4) | instskip(SKIP_1) | instid1(VALU_DEP_3)
	v_pk_fma_f16 v42, v76, v82, v42
	v_pk_fma_f16 v49, v77, v82, v49
	;; [unrolled: 1-line block ×3, first 2 shown]
	v_mul_u32_u24_e32 v76, 0x10001, v86
	v_pk_fma_f16 v47, v77, v81, v47
	s_delay_alu instid0(VALU_DEP_2) | instskip(SKIP_2) | instid1(VALU_DEP_1)
	v_pk_fma_f16 v80, v78, v76, v80
	v_pk_fma_f16 v45, v79, v76, v45
	v_mul_u32_u24_e32 v76, 0x10001, v87
	v_pk_fma_f16 v49, v79, v76, v49
	v_pk_fma_f16 v42, v78, v76, v42
	v_mul_u32_u24_e32 v76, 0x10001, v85
	s_delay_alu instid0(VALU_DEP_1) | instskip(SKIP_2) | instid1(VALU_DEP_1)
	v_pk_fma_f16 v46, v79, v76, v46
	v_pk_fma_f16 v43, v78, v76, v43
	v_mul_u32_u24_e32 v76, 0x10001, v88
	v_pk_fma_f16 v47, v79, v76, v47
	v_pk_fma_f16 v41, v78, v76, v41
	ds_load_b128 v[76:79], v35 offset:18544
	s_wait_dscnt 0x0
	v_lshrrev_b32_e32 v81, 16, v76
	v_lshrrev_b32_e32 v82, 16, v77
	v_and_b32_e32 v83, 0xffff, v76
	v_and_b32_e32 v84, 0xffff, v77
	v_lshrrev_b32_e32 v85, 16, v78
	v_lshrrev_b32_e32 v86, 16, v79
	v_and_b32_e32 v87, 0xffff, v78
	v_and_b32_e32 v88, 0xffff, v79
	ds_load_2addr_b64 v[76:79], v40 offset0:192 offset1:224
	v_mul_u32_u24_e32 v82, 0x10001, v82
	v_mul_u32_u24_e32 v81, 0x10001, v81
	s_wait_dscnt 0x0
	s_delay_alu instid0(VALU_DEP_2)
	v_pk_fma_f16 v80, v76, v82, v80
	v_pk_fma_f16 v45, v77, v82, v45
	v_mul_u32_u24_e32 v82, 0x10001, v83
	v_pk_fma_f16 v46, v77, v81, v46
	v_pk_fma_f16 v43, v76, v81, v43
	v_mul_u32_u24_e32 v81, 0x10001, v84
	s_delay_alu instid0(VALU_DEP_4) | instskip(SKIP_1) | instid1(VALU_DEP_3)
	v_pk_fma_f16 v42, v76, v82, v42
	v_pk_fma_f16 v49, v77, v82, v49
	;; [unrolled: 1-line block ×3, first 2 shown]
	v_mul_u32_u24_e32 v76, 0x10001, v86
	v_pk_fma_f16 v47, v77, v81, v47
	s_delay_alu instid0(VALU_DEP_2) | instskip(SKIP_2) | instid1(VALU_DEP_1)
	v_pk_fma_f16 v80, v78, v76, v80
	v_pk_fma_f16 v45, v79, v76, v45
	v_mul_u32_u24_e32 v76, 0x10001, v87
	v_pk_fma_f16 v49, v79, v76, v49
	v_pk_fma_f16 v42, v78, v76, v42
	v_mul_u32_u24_e32 v76, 0x10001, v85
	s_delay_alu instid0(VALU_DEP_1) | instskip(SKIP_2) | instid1(VALU_DEP_1)
	v_pk_fma_f16 v46, v79, v76, v46
	v_pk_fma_f16 v43, v78, v76, v43
	v_mul_u32_u24_e32 v76, 0x10001, v88
	v_pk_fma_f16 v47, v79, v76, v47
	v_pk_fma_f16 v81, v78, v76, v41
	ds_load_b128 v[76:79], v35 offset:18560
	s_wait_dscnt 0x0
	v_lshrrev_b32_e32 v41, 16, v77
	v_lshrrev_b32_e32 v82, 16, v76
	v_and_b32_e32 v83, 0xffff, v76
	v_and_b32_e32 v84, 0xffff, v77
	v_lshrrev_b32_e32 v85, 16, v78
	v_mul_u32_u24_e32 v89, 0x10001, v41
	v_add_nc_u32_e32 v41, 0x1000, v36
	v_lshrrev_b32_e32 v86, 16, v79
	v_and_b32_e32 v87, 0xffff, v78
	v_and_b32_e32 v88, 0xffff, v79
	v_mul_u32_u24_e32 v82, 0x10001, v82
	ds_load_2addr_b64 v[76:79], v41 offset1:32
	v_mul_u32_u24_e32 v83, 0x10001, v83
	s_wait_dscnt 0x0
	v_pk_fma_f16 v46, v77, v82, v46
	v_pk_fma_f16 v43, v76, v82, v43
	v_mul_u32_u24_e32 v82, 0x10001, v84
	v_pk_fma_f16 v80, v76, v89, v80
	v_pk_fma_f16 v45, v77, v89, v45
	;; [unrolled: 1-line block ×5, first 2 shown]
	v_mul_u32_u24_e32 v77, 0x10001, v86
	v_pk_fma_f16 v76, v76, v82, v81
	s_delay_alu instid0(VALU_DEP_2) | instskip(SKIP_2) | instid1(VALU_DEP_1)
	v_pk_fma_f16 v80, v78, v77, v80
	v_pk_fma_f16 v45, v79, v77, v45
	v_mul_u32_u24_e32 v77, 0x10001, v87
	v_pk_fma_f16 v49, v79, v77, v49
	v_pk_fma_f16 v42, v78, v77, v42
	v_mul_u32_u24_e32 v77, 0x10001, v85
	s_delay_alu instid0(VALU_DEP_1) | instskip(SKIP_2) | instid1(VALU_DEP_1)
	v_pk_fma_f16 v46, v79, v77, v46
	v_pk_fma_f16 v43, v78, v77, v43
	v_mul_u32_u24_e32 v77, 0x10001, v88
	v_pk_fma_f16 v47, v79, v77, v47
	v_pk_fma_f16 v81, v78, v77, v76
	ds_load_b128 v[76:79], v35 offset:18576
	s_wait_dscnt 0x0
	v_lshrrev_b32_e32 v82, 16, v76
	v_lshrrev_b32_e32 v83, 16, v77
	v_and_b32_e32 v84, 0xffff, v76
	v_and_b32_e32 v85, 0xffff, v77
	v_lshrrev_b32_e32 v86, 16, v78
	v_lshrrev_b32_e32 v87, 16, v79
	v_and_b32_e32 v88, 0xffff, v78
	v_and_b32_e32 v89, 0xffff, v79
	ds_load_2addr_b64 v[76:79], v41 offset0:64 offset1:96
	v_mul_u32_u24_e32 v83, 0x10001, v83
	v_mul_u32_u24_e32 v82, 0x10001, v82
	s_wait_dscnt 0x0
	s_delay_alu instid0(VALU_DEP_2)
	v_pk_fma_f16 v80, v76, v83, v80
	v_pk_fma_f16 v45, v77, v83, v45
	v_mul_u32_u24_e32 v83, 0x10001, v84
	v_pk_fma_f16 v46, v77, v82, v46
	v_pk_fma_f16 v43, v76, v82, v43
	v_mul_u32_u24_e32 v82, 0x10001, v85
	s_delay_alu instid0(VALU_DEP_4) | instskip(SKIP_1) | instid1(VALU_DEP_3)
	v_pk_fma_f16 v49, v77, v83, v49
	v_pk_fma_f16 v42, v76, v83, v42
	v_pk_fma_f16 v47, v77, v82, v47
	v_mul_u32_u24_e32 v77, 0x10001, v87
	v_pk_fma_f16 v76, v76, v82, v81
	s_delay_alu instid0(VALU_DEP_2) | instskip(SKIP_2) | instid1(VALU_DEP_1)
	v_pk_fma_f16 v80, v78, v77, v80
	v_pk_fma_f16 v45, v79, v77, v45
	v_mul_u32_u24_e32 v77, 0x10001, v88
	v_pk_fma_f16 v49, v79, v77, v49
	v_pk_fma_f16 v42, v78, v77, v42
	v_mul_u32_u24_e32 v77, 0x10001, v86
	s_delay_alu instid0(VALU_DEP_1) | instskip(SKIP_2) | instid1(VALU_DEP_1)
	v_pk_fma_f16 v46, v79, v77, v46
	v_pk_fma_f16 v43, v78, v77, v43
	v_mul_u32_u24_e32 v77, 0x10001, v89
	v_pk_fma_f16 v47, v79, v77, v47
	v_pk_fma_f16 v81, v78, v77, v76
	ds_load_b128 v[76:79], v35 offset:18592
	s_wait_dscnt 0x0
	v_lshrrev_b32_e32 v82, 16, v76
	v_lshrrev_b32_e32 v83, 16, v77
	v_and_b32_e32 v84, 0xffff, v76
	v_and_b32_e32 v85, 0xffff, v77
	v_lshrrev_b32_e32 v86, 16, v78
	v_lshrrev_b32_e32 v87, 16, v79
	v_and_b32_e32 v88, 0xffff, v78
	v_and_b32_e32 v89, 0xffff, v79
	ds_load_2addr_b64 v[76:79], v41 offset0:128 offset1:160
	v_mul_u32_u24_e32 v83, 0x10001, v83
	v_mul_u32_u24_e32 v82, 0x10001, v82
	s_wait_dscnt 0x0
	s_delay_alu instid0(VALU_DEP_2)
	v_pk_fma_f16 v80, v76, v83, v80
	v_pk_fma_f16 v45, v77, v83, v45
	v_mul_u32_u24_e32 v83, 0x10001, v84
	v_pk_fma_f16 v46, v77, v82, v46
	v_pk_fma_f16 v43, v76, v82, v43
	v_mul_u32_u24_e32 v82, 0x10001, v85
	s_delay_alu instid0(VALU_DEP_4) | instskip(SKIP_1) | instid1(VALU_DEP_3)
	v_pk_fma_f16 v49, v77, v83, v49
	v_pk_fma_f16 v42, v76, v83, v42
	v_pk_fma_f16 v47, v77, v82, v47
	;; [unrolled: 40-line block ×3, first 2 shown]
	v_mul_u32_u24_e32 v77, 0x10001, v87
	v_pk_fma_f16 v76, v76, v82, v81
	s_delay_alu instid0(VALU_DEP_2) | instskip(SKIP_2) | instid1(VALU_DEP_1)
	v_pk_fma_f16 v80, v78, v77, v80
	v_pk_fma_f16 v45, v79, v77, v45
	v_mul_u32_u24_e32 v77, 0x10001, v88
	v_pk_fma_f16 v81, v78, v77, v42
	v_mul_u32_u24_e32 v42, 0x10001, v86
	v_pk_fma_f16 v49, v79, v77, v49
	s_delay_alu instid0(VALU_DEP_2) | instskip(SKIP_2) | instid1(VALU_DEP_1)
	v_pk_fma_f16 v46, v79, v42, v46
	v_pk_fma_f16 v43, v78, v42, v43
	v_mul_u32_u24_e32 v42, 0x10001, v89
	v_pk_fma_f16 v47, v79, v42, v47
	v_pk_fma_f16 v82, v78, v42, v76
	ds_load_b128 v[76:79], v35 offset:18624
	s_wait_dscnt 0x0
	v_lshrrev_b32_e32 v42, 16, v77
	v_lshrrev_b32_e32 v83, 16, v76
	v_and_b32_e32 v84, 0xffff, v76
	v_and_b32_e32 v85, 0xffff, v77
	v_lshrrev_b32_e32 v86, 16, v78
	v_mul_u32_u24_e32 v90, 0x10001, v42
	v_add_nc_u32_e32 v42, 0x1800, v36
	v_lshrrev_b32_e32 v87, 16, v79
	v_and_b32_e32 v88, 0xffff, v78
	v_and_b32_e32 v89, 0xffff, v79
	v_mul_u32_u24_e32 v83, 0x10001, v83
	ds_load_2addr_b64 v[76:79], v42 offset1:32
	v_mul_u32_u24_e32 v84, 0x10001, v84
	s_wait_dscnt 0x0
	v_pk_fma_f16 v46, v77, v83, v46
	v_pk_fma_f16 v43, v76, v83, v43
	v_mul_u32_u24_e32 v83, 0x10001, v85
	v_pk_fma_f16 v80, v76, v90, v80
	v_pk_fma_f16 v45, v77, v90, v45
	;; [unrolled: 1-line block ×5, first 2 shown]
	v_mul_u32_u24_e32 v77, 0x10001, v87
	v_pk_fma_f16 v76, v76, v83, v82
	s_delay_alu instid0(VALU_DEP_2) | instskip(SKIP_2) | instid1(VALU_DEP_1)
	v_pk_fma_f16 v80, v78, v77, v80
	v_pk_fma_f16 v45, v79, v77, v45
	v_mul_u32_u24_e32 v77, 0x10001, v88
	v_pk_fma_f16 v49, v79, v77, v49
	v_pk_fma_f16 v81, v78, v77, v81
	v_mul_u32_u24_e32 v77, 0x10001, v86
	s_delay_alu instid0(VALU_DEP_1) | instskip(SKIP_2) | instid1(VALU_DEP_1)
	v_pk_fma_f16 v46, v79, v77, v46
	v_pk_fma_f16 v43, v78, v77, v43
	v_mul_u32_u24_e32 v77, 0x10001, v89
	v_pk_fma_f16 v47, v79, v77, v47
	v_pk_fma_f16 v82, v78, v77, v76
	ds_load_b128 v[76:79], v35 offset:18640
	s_wait_dscnt 0x0
	v_lshrrev_b32_e32 v83, 16, v76
	v_lshrrev_b32_e32 v84, 16, v77
	v_and_b32_e32 v85, 0xffff, v76
	v_and_b32_e32 v86, 0xffff, v77
	v_lshrrev_b32_e32 v87, 16, v78
	v_lshrrev_b32_e32 v88, 16, v79
	v_and_b32_e32 v89, 0xffff, v78
	v_and_b32_e32 v90, 0xffff, v79
	ds_load_2addr_b64 v[76:79], v42 offset0:64 offset1:96
	v_mul_u32_u24_e32 v84, 0x10001, v84
	v_mul_u32_u24_e32 v83, 0x10001, v83
	s_wait_dscnt 0x0
	s_delay_alu instid0(VALU_DEP_2)
	v_pk_fma_f16 v80, v76, v84, v80
	v_pk_fma_f16 v45, v77, v84, v45
	v_mul_u32_u24_e32 v84, 0x10001, v85
	v_pk_fma_f16 v46, v77, v83, v46
	v_pk_fma_f16 v43, v76, v83, v43
	v_mul_u32_u24_e32 v83, 0x10001, v86
	s_delay_alu instid0(VALU_DEP_4) | instskip(SKIP_1) | instid1(VALU_DEP_3)
	v_pk_fma_f16 v49, v77, v84, v49
	v_pk_fma_f16 v81, v76, v84, v81
	v_pk_fma_f16 v47, v77, v83, v47
	v_mul_u32_u24_e32 v77, 0x10001, v88
	v_pk_fma_f16 v76, v76, v83, v82
	s_delay_alu instid0(VALU_DEP_2) | instskip(SKIP_2) | instid1(VALU_DEP_1)
	v_pk_fma_f16 v80, v78, v77, v80
	v_pk_fma_f16 v45, v79, v77, v45
	v_mul_u32_u24_e32 v77, 0x10001, v89
	v_pk_fma_f16 v49, v79, v77, v49
	v_pk_fma_f16 v81, v78, v77, v81
	v_mul_u32_u24_e32 v77, 0x10001, v87
	s_delay_alu instid0(VALU_DEP_1) | instskip(SKIP_2) | instid1(VALU_DEP_1)
	v_pk_fma_f16 v46, v79, v77, v46
	v_pk_fma_f16 v43, v78, v77, v43
	v_mul_u32_u24_e32 v77, 0x10001, v90
	v_pk_fma_f16 v47, v79, v77, v47
	v_pk_fma_f16 v82, v78, v77, v76
	ds_load_b128 v[76:79], v35 offset:18656
	s_wait_dscnt 0x0
	v_lshrrev_b32_e32 v83, 16, v76
	v_lshrrev_b32_e32 v84, 16, v77
	v_and_b32_e32 v85, 0xffff, v76
	v_and_b32_e32 v86, 0xffff, v77
	v_lshrrev_b32_e32 v87, 16, v78
	v_lshrrev_b32_e32 v88, 16, v79
	v_and_b32_e32 v89, 0xffff, v78
	v_and_b32_e32 v90, 0xffff, v79
	ds_load_2addr_b64 v[76:79], v42 offset0:128 offset1:160
	v_mul_u32_u24_e32 v84, 0x10001, v84
	v_mul_u32_u24_e32 v83, 0x10001, v83
	s_wait_dscnt 0x0
	s_delay_alu instid0(VALU_DEP_2)
	v_pk_fma_f16 v80, v76, v84, v80
	v_pk_fma_f16 v45, v77, v84, v45
	v_mul_u32_u24_e32 v84, 0x10001, v85
	v_pk_fma_f16 v46, v77, v83, v46
	v_pk_fma_f16 v43, v76, v83, v43
	v_mul_u32_u24_e32 v83, 0x10001, v86
	s_delay_alu instid0(VALU_DEP_4) | instskip(SKIP_1) | instid1(VALU_DEP_3)
	v_pk_fma_f16 v49, v77, v84, v49
	v_pk_fma_f16 v81, v76, v84, v81
	v_pk_fma_f16 v47, v77, v83, v47
	;; [unrolled: 40-line block ×3, first 2 shown]
	v_mul_u32_u24_e32 v77, 0x10001, v88
	v_pk_fma_f16 v76, v76, v83, v82
	s_delay_alu instid0(VALU_DEP_2) | instskip(SKIP_2) | instid1(VALU_DEP_1)
	v_pk_fma_f16 v80, v78, v77, v80
	v_pk_fma_f16 v45, v79, v77, v45
	v_mul_u32_u24_e32 v77, 0x10001, v89
	v_pk_fma_f16 v49, v79, v77, v49
	v_pk_fma_f16 v81, v78, v77, v81
	v_mul_u32_u24_e32 v77, 0x10001, v87
	s_delay_alu instid0(VALU_DEP_1) | instskip(SKIP_2) | instid1(VALU_DEP_2)
	v_pk_fma_f16 v82, v78, v77, v43
	v_mul_u32_u24_e32 v43, 0x10001, v90
	v_pk_fma_f16 v46, v79, v77, v46
	v_pk_fma_f16 v47, v79, v43, v47
	;; [unrolled: 1-line block ×3, first 2 shown]
	ds_load_b128 v[76:79], v35 offset:18688
	s_wait_dscnt 0x0
	v_lshrrev_b32_e32 v43, 16, v77
	v_lshrrev_b32_e32 v84, 16, v76
	v_and_b32_e32 v85, 0xffff, v76
	v_and_b32_e32 v86, 0xffff, v77
	v_lshrrev_b32_e32 v87, 16, v78
	v_mul_u32_u24_e32 v91, 0x10001, v43
	v_add_nc_u32_e32 v43, 0x2000, v36
	v_lshrrev_b32_e32 v88, 16, v79
	v_and_b32_e32 v89, 0xffff, v78
	v_and_b32_e32 v90, 0xffff, v79
	v_mul_u32_u24_e32 v84, 0x10001, v84
	ds_load_2addr_b64 v[76:79], v43 offset1:32
	v_mul_u32_u24_e32 v85, 0x10001, v85
	s_wait_dscnt 0x0
	v_pk_fma_f16 v46, v77, v84, v46
	v_pk_fma_f16 v82, v76, v84, v82
	v_mul_u32_u24_e32 v84, 0x10001, v86
	v_pk_fma_f16 v80, v76, v91, v80
	v_pk_fma_f16 v45, v77, v91, v45
	;; [unrolled: 1-line block ×5, first 2 shown]
	v_mul_u32_u24_e32 v77, 0x10001, v88
	v_pk_fma_f16 v76, v76, v84, v83
	s_delay_alu instid0(VALU_DEP_2) | instskip(SKIP_2) | instid1(VALU_DEP_1)
	v_pk_fma_f16 v80, v78, v77, v80
	v_pk_fma_f16 v45, v79, v77, v45
	v_mul_u32_u24_e32 v77, 0x10001, v89
	v_pk_fma_f16 v49, v79, v77, v49
	v_pk_fma_f16 v81, v78, v77, v81
	v_mul_u32_u24_e32 v77, 0x10001, v87
	s_delay_alu instid0(VALU_DEP_1) | instskip(SKIP_2) | instid1(VALU_DEP_1)
	v_pk_fma_f16 v46, v79, v77, v46
	v_pk_fma_f16 v82, v78, v77, v82
	v_mul_u32_u24_e32 v77, 0x10001, v90
	v_pk_fma_f16 v47, v79, v77, v47
	v_pk_fma_f16 v83, v78, v77, v76
	ds_load_b128 v[76:79], v35 offset:18704
	s_wait_dscnt 0x0
	v_lshrrev_b32_e32 v84, 16, v76
	v_lshrrev_b32_e32 v85, 16, v77
	v_and_b32_e32 v86, 0xffff, v76
	v_and_b32_e32 v87, 0xffff, v77
	v_lshrrev_b32_e32 v88, 16, v78
	v_lshrrev_b32_e32 v89, 16, v79
	v_and_b32_e32 v90, 0xffff, v78
	v_and_b32_e32 v91, 0xffff, v79
	ds_load_2addr_b64 v[76:79], v43 offset0:64 offset1:96
	v_mul_u32_u24_e32 v85, 0x10001, v85
	v_mul_u32_u24_e32 v84, 0x10001, v84
	s_wait_dscnt 0x0
	s_delay_alu instid0(VALU_DEP_2)
	v_pk_fma_f16 v80, v76, v85, v80
	v_pk_fma_f16 v45, v77, v85, v45
	v_mul_u32_u24_e32 v85, 0x10001, v86
	v_pk_fma_f16 v46, v77, v84, v46
	v_pk_fma_f16 v82, v76, v84, v82
	v_mul_u32_u24_e32 v84, 0x10001, v87
	s_delay_alu instid0(VALU_DEP_4) | instskip(SKIP_1) | instid1(VALU_DEP_3)
	v_pk_fma_f16 v49, v77, v85, v49
	v_pk_fma_f16 v81, v76, v85, v81
	v_pk_fma_f16 v47, v77, v84, v47
	v_mul_u32_u24_e32 v77, 0x10001, v89
	v_pk_fma_f16 v76, v76, v84, v83
	s_delay_alu instid0(VALU_DEP_2) | instskip(SKIP_2) | instid1(VALU_DEP_1)
	v_pk_fma_f16 v80, v78, v77, v80
	v_pk_fma_f16 v45, v79, v77, v45
	v_mul_u32_u24_e32 v77, 0x10001, v90
	v_pk_fma_f16 v49, v79, v77, v49
	v_pk_fma_f16 v81, v78, v77, v81
	v_mul_u32_u24_e32 v77, 0x10001, v88
	s_delay_alu instid0(VALU_DEP_1) | instskip(SKIP_2) | instid1(VALU_DEP_1)
	v_pk_fma_f16 v46, v79, v77, v46
	v_pk_fma_f16 v82, v78, v77, v82
	v_mul_u32_u24_e32 v77, 0x10001, v91
	v_pk_fma_f16 v47, v79, v77, v47
	v_pk_fma_f16 v83, v78, v77, v76
	ds_load_b128 v[76:79], v35 offset:18720
	s_wait_dscnt 0x0
	v_lshrrev_b32_e32 v84, 16, v76
	v_lshrrev_b32_e32 v85, 16, v77
	v_and_b32_e32 v86, 0xffff, v76
	v_and_b32_e32 v87, 0xffff, v77
	v_lshrrev_b32_e32 v88, 16, v78
	v_lshrrev_b32_e32 v89, 16, v79
	v_and_b32_e32 v90, 0xffff, v78
	v_and_b32_e32 v91, 0xffff, v79
	ds_load_2addr_b64 v[76:79], v43 offset0:128 offset1:160
	v_mul_u32_u24_e32 v85, 0x10001, v85
	v_mul_u32_u24_e32 v84, 0x10001, v84
	s_wait_dscnt 0x0
	s_delay_alu instid0(VALU_DEP_2)
	v_pk_fma_f16 v80, v76, v85, v80
	v_pk_fma_f16 v45, v77, v85, v45
	v_mul_u32_u24_e32 v85, 0x10001, v86
	v_pk_fma_f16 v46, v77, v84, v46
	v_pk_fma_f16 v82, v76, v84, v82
	v_mul_u32_u24_e32 v84, 0x10001, v87
	s_delay_alu instid0(VALU_DEP_4) | instskip(SKIP_1) | instid1(VALU_DEP_3)
	v_pk_fma_f16 v49, v77, v85, v49
	v_pk_fma_f16 v81, v76, v85, v81
	v_pk_fma_f16 v47, v77, v84, v47
	;; [unrolled: 40-line block ×3, first 2 shown]
	v_mul_u32_u24_e32 v77, 0x10001, v89
	v_pk_fma_f16 v76, v76, v84, v83
	s_delay_alu instid0(VALU_DEP_2) | instskip(SKIP_2) | instid1(VALU_DEP_2)
	v_pk_fma_f16 v83, v79, v77, v45
	v_mul_u32_u24_e32 v45, 0x10001, v90
	v_pk_fma_f16 v80, v78, v77, v80
	v_pk_fma_f16 v49, v79, v45, v49
	;; [unrolled: 1-line block ×3, first 2 shown]
	v_mul_u32_u24_e32 v45, 0x10001, v88
	s_delay_alu instid0(VALU_DEP_1) | instskip(SKIP_2) | instid1(VALU_DEP_1)
	v_pk_fma_f16 v46, v79, v45, v46
	v_pk_fma_f16 v82, v78, v45, v82
	v_mul_u32_u24_e32 v45, 0x10001, v91
	v_pk_fma_f16 v47, v79, v45, v47
	v_pk_fma_f16 v84, v78, v45, v76
	ds_load_b128 v[76:79], v35 offset:18752
	s_wait_dscnt 0x0
	v_lshrrev_b32_e32 v45, 16, v77
	v_lshrrev_b32_e32 v85, 16, v76
	v_and_b32_e32 v86, 0xffff, v76
	v_and_b32_e32 v87, 0xffff, v77
	v_lshrrev_b32_e32 v88, 16, v78
	v_mul_u32_u24_e32 v92, 0x10001, v45
	v_add_nc_u32_e32 v45, 0x2800, v36
	v_lshrrev_b32_e32 v89, 16, v79
	v_and_b32_e32 v90, 0xffff, v78
	v_and_b32_e32 v91, 0xffff, v79
	v_mul_u32_u24_e32 v85, 0x10001, v85
	ds_load_2addr_b64 v[76:79], v45 offset1:32
	v_mul_u32_u24_e32 v86, 0x10001, v86
	s_wait_dscnt 0x0
	v_pk_fma_f16 v46, v77, v85, v46
	v_pk_fma_f16 v82, v76, v85, v82
	v_mul_u32_u24_e32 v85, 0x10001, v87
	v_pk_fma_f16 v80, v76, v92, v80
	v_pk_fma_f16 v83, v77, v92, v83
	;; [unrolled: 1-line block ×5, first 2 shown]
	v_mul_u32_u24_e32 v77, 0x10001, v89
	v_pk_fma_f16 v76, v76, v85, v84
	s_delay_alu instid0(VALU_DEP_2) | instskip(SKIP_2) | instid1(VALU_DEP_1)
	v_pk_fma_f16 v80, v78, v77, v80
	v_pk_fma_f16 v83, v79, v77, v83
	v_mul_u32_u24_e32 v77, 0x10001, v90
	v_pk_fma_f16 v49, v79, v77, v49
	v_pk_fma_f16 v81, v78, v77, v81
	v_mul_u32_u24_e32 v77, 0x10001, v88
	s_delay_alu instid0(VALU_DEP_1) | instskip(SKIP_2) | instid1(VALU_DEP_1)
	v_pk_fma_f16 v46, v79, v77, v46
	v_pk_fma_f16 v82, v78, v77, v82
	v_mul_u32_u24_e32 v77, 0x10001, v91
	v_pk_fma_f16 v47, v79, v77, v47
	v_pk_fma_f16 v84, v78, v77, v76
	ds_load_b128 v[76:79], v35 offset:18768
	s_wait_dscnt 0x0
	v_lshrrev_b32_e32 v85, 16, v76
	v_lshrrev_b32_e32 v86, 16, v77
	v_and_b32_e32 v87, 0xffff, v76
	v_and_b32_e32 v88, 0xffff, v77
	v_lshrrev_b32_e32 v89, 16, v78
	v_lshrrev_b32_e32 v90, 16, v79
	v_and_b32_e32 v91, 0xffff, v78
	v_and_b32_e32 v92, 0xffff, v79
	ds_load_2addr_b64 v[76:79], v45 offset0:64 offset1:96
	v_mul_u32_u24_e32 v86, 0x10001, v86
	v_mul_u32_u24_e32 v85, 0x10001, v85
	s_wait_dscnt 0x0
	s_delay_alu instid0(VALU_DEP_2)
	v_pk_fma_f16 v80, v76, v86, v80
	v_pk_fma_f16 v83, v77, v86, v83
	v_mul_u32_u24_e32 v86, 0x10001, v87
	v_pk_fma_f16 v46, v77, v85, v46
	v_pk_fma_f16 v82, v76, v85, v82
	v_mul_u32_u24_e32 v85, 0x10001, v88
	s_delay_alu instid0(VALU_DEP_4) | instskip(SKIP_1) | instid1(VALU_DEP_3)
	v_pk_fma_f16 v49, v77, v86, v49
	v_pk_fma_f16 v81, v76, v86, v81
	v_pk_fma_f16 v47, v77, v85, v47
	v_mul_u32_u24_e32 v77, 0x10001, v90
	v_pk_fma_f16 v76, v76, v85, v84
	s_delay_alu instid0(VALU_DEP_2) | instskip(SKIP_2) | instid1(VALU_DEP_1)
	v_pk_fma_f16 v80, v78, v77, v80
	v_pk_fma_f16 v83, v79, v77, v83
	v_mul_u32_u24_e32 v77, 0x10001, v91
	v_pk_fma_f16 v49, v79, v77, v49
	v_pk_fma_f16 v81, v78, v77, v81
	v_mul_u32_u24_e32 v77, 0x10001, v89
	s_delay_alu instid0(VALU_DEP_1) | instskip(SKIP_2) | instid1(VALU_DEP_1)
	v_pk_fma_f16 v46, v79, v77, v46
	v_pk_fma_f16 v82, v78, v77, v82
	v_mul_u32_u24_e32 v77, 0x10001, v92
	v_pk_fma_f16 v47, v79, v77, v47
	v_pk_fma_f16 v84, v78, v77, v76
	ds_load_b128 v[76:79], v35 offset:18784
	s_wait_dscnt 0x0
	v_lshrrev_b32_e32 v85, 16, v76
	v_lshrrev_b32_e32 v86, 16, v77
	v_and_b32_e32 v87, 0xffff, v76
	v_and_b32_e32 v88, 0xffff, v77
	v_lshrrev_b32_e32 v89, 16, v78
	v_lshrrev_b32_e32 v90, 16, v79
	v_and_b32_e32 v91, 0xffff, v78
	v_and_b32_e32 v92, 0xffff, v79
	ds_load_2addr_b64 v[76:79], v45 offset0:128 offset1:160
	v_mul_u32_u24_e32 v86, 0x10001, v86
	v_mul_u32_u24_e32 v85, 0x10001, v85
	s_wait_dscnt 0x0
	s_delay_alu instid0(VALU_DEP_2)
	v_pk_fma_f16 v80, v76, v86, v80
	v_pk_fma_f16 v83, v77, v86, v83
	v_mul_u32_u24_e32 v86, 0x10001, v87
	v_pk_fma_f16 v46, v77, v85, v46
	v_pk_fma_f16 v82, v76, v85, v82
	v_mul_u32_u24_e32 v85, 0x10001, v88
	s_delay_alu instid0(VALU_DEP_4) | instskip(SKIP_1) | instid1(VALU_DEP_3)
	v_pk_fma_f16 v49, v77, v86, v49
	v_pk_fma_f16 v81, v76, v86, v81
	v_pk_fma_f16 v47, v77, v85, v47
	;; [unrolled: 40-line block ×3, first 2 shown]
	v_mul_u32_u24_e32 v77, 0x10001, v90
	v_pk_fma_f16 v76, v76, v85, v84
	s_delay_alu instid0(VALU_DEP_2) | instskip(SKIP_2) | instid1(VALU_DEP_1)
	v_pk_fma_f16 v80, v78, v77, v80
	v_pk_fma_f16 v83, v79, v77, v83
	v_mul_u32_u24_e32 v77, 0x10001, v91
	v_pk_fma_f16 v49, v79, v77, v49
	v_pk_fma_f16 v81, v78, v77, v81
	v_mul_u32_u24_e32 v77, 0x10001, v89
	s_delay_alu instid0(VALU_DEP_1) | instskip(SKIP_2) | instid1(VALU_DEP_2)
	v_pk_fma_f16 v84, v79, v77, v46
	v_mul_u32_u24_e32 v46, 0x10001, v92
	v_pk_fma_f16 v82, v78, v77, v82
	v_pk_fma_f16 v47, v79, v46, v47
	;; [unrolled: 1-line block ×3, first 2 shown]
	ds_load_b128 v[76:79], v35 offset:18816
	s_wait_dscnt 0x0
	v_lshrrev_b32_e32 v46, 16, v77
	v_lshrrev_b32_e32 v86, 16, v76
	v_and_b32_e32 v87, 0xffff, v76
	v_and_b32_e32 v88, 0xffff, v77
	v_lshrrev_b32_e32 v89, 16, v78
	v_mul_u32_u24_e32 v93, 0x10001, v46
	v_add_nc_u32_e32 v46, 0x3000, v36
	v_lshrrev_b32_e32 v90, 16, v79
	v_and_b32_e32 v91, 0xffff, v78
	v_and_b32_e32 v92, 0xffff, v79
	v_mul_u32_u24_e32 v86, 0x10001, v86
	ds_load_2addr_b64 v[76:79], v46 offset1:32
	v_mul_u32_u24_e32 v87, 0x10001, v87
	s_wait_dscnt 0x0
	v_pk_fma_f16 v84, v77, v86, v84
	v_pk_fma_f16 v82, v76, v86, v82
	v_mul_u32_u24_e32 v86, 0x10001, v88
	v_pk_fma_f16 v80, v76, v93, v80
	v_pk_fma_f16 v83, v77, v93, v83
	;; [unrolled: 1-line block ×5, first 2 shown]
	v_mul_u32_u24_e32 v77, 0x10001, v90
	v_pk_fma_f16 v76, v76, v86, v85
	s_delay_alu instid0(VALU_DEP_2) | instskip(SKIP_2) | instid1(VALU_DEP_1)
	v_pk_fma_f16 v80, v78, v77, v80
	v_pk_fma_f16 v83, v79, v77, v83
	v_mul_u32_u24_e32 v77, 0x10001, v91
	v_pk_fma_f16 v49, v79, v77, v49
	v_pk_fma_f16 v81, v78, v77, v81
	v_mul_u32_u24_e32 v77, 0x10001, v89
	s_delay_alu instid0(VALU_DEP_1) | instskip(SKIP_2) | instid1(VALU_DEP_1)
	v_pk_fma_f16 v84, v79, v77, v84
	v_pk_fma_f16 v82, v78, v77, v82
	v_mul_u32_u24_e32 v77, 0x10001, v92
	v_pk_fma_f16 v47, v79, v77, v47
	v_pk_fma_f16 v85, v78, v77, v76
	ds_load_b128 v[76:79], v35 offset:18832
	s_wait_dscnt 0x0
	v_lshrrev_b32_e32 v86, 16, v76
	v_lshrrev_b32_e32 v87, 16, v77
	v_and_b32_e32 v88, 0xffff, v76
	v_and_b32_e32 v89, 0xffff, v77
	v_lshrrev_b32_e32 v90, 16, v78
	v_lshrrev_b32_e32 v91, 16, v79
	v_and_b32_e32 v92, 0xffff, v78
	v_and_b32_e32 v93, 0xffff, v79
	ds_load_2addr_b64 v[76:79], v46 offset0:64 offset1:96
	v_mul_u32_u24_e32 v87, 0x10001, v87
	v_mul_u32_u24_e32 v86, 0x10001, v86
	s_wait_dscnt 0x0
	s_delay_alu instid0(VALU_DEP_2)
	v_pk_fma_f16 v80, v76, v87, v80
	v_pk_fma_f16 v83, v77, v87, v83
	v_mul_u32_u24_e32 v87, 0x10001, v88
	v_pk_fma_f16 v84, v77, v86, v84
	v_pk_fma_f16 v82, v76, v86, v82
	v_mul_u32_u24_e32 v86, 0x10001, v89
	s_delay_alu instid0(VALU_DEP_4) | instskip(SKIP_1) | instid1(VALU_DEP_3)
	v_pk_fma_f16 v49, v77, v87, v49
	v_pk_fma_f16 v81, v76, v87, v81
	v_pk_fma_f16 v47, v77, v86, v47
	v_mul_u32_u24_e32 v77, 0x10001, v91
	v_pk_fma_f16 v76, v76, v86, v85
	s_delay_alu instid0(VALU_DEP_2) | instskip(SKIP_2) | instid1(VALU_DEP_1)
	v_pk_fma_f16 v80, v78, v77, v80
	v_pk_fma_f16 v83, v79, v77, v83
	v_mul_u32_u24_e32 v77, 0x10001, v92
	v_pk_fma_f16 v49, v79, v77, v49
	v_pk_fma_f16 v81, v78, v77, v81
	v_mul_u32_u24_e32 v77, 0x10001, v90
	s_delay_alu instid0(VALU_DEP_1) | instskip(SKIP_2) | instid1(VALU_DEP_1)
	v_pk_fma_f16 v84, v79, v77, v84
	v_pk_fma_f16 v82, v78, v77, v82
	v_mul_u32_u24_e32 v77, 0x10001, v93
	v_pk_fma_f16 v47, v79, v77, v47
	v_pk_fma_f16 v85, v78, v77, v76
	ds_load_b128 v[76:79], v35 offset:18848
	s_wait_dscnt 0x0
	v_lshrrev_b32_e32 v86, 16, v76
	v_lshrrev_b32_e32 v87, 16, v77
	v_and_b32_e32 v88, 0xffff, v76
	v_and_b32_e32 v89, 0xffff, v77
	v_lshrrev_b32_e32 v90, 16, v78
	v_lshrrev_b32_e32 v91, 16, v79
	v_and_b32_e32 v92, 0xffff, v78
	v_and_b32_e32 v93, 0xffff, v79
	ds_load_2addr_b64 v[76:79], v46 offset0:128 offset1:160
	v_mul_u32_u24_e32 v87, 0x10001, v87
	v_mul_u32_u24_e32 v86, 0x10001, v86
	s_wait_dscnt 0x0
	s_delay_alu instid0(VALU_DEP_2)
	v_pk_fma_f16 v80, v76, v87, v80
	v_pk_fma_f16 v83, v77, v87, v83
	v_mul_u32_u24_e32 v87, 0x10001, v88
	v_pk_fma_f16 v84, v77, v86, v84
	v_pk_fma_f16 v82, v76, v86, v82
	v_mul_u32_u24_e32 v86, 0x10001, v89
	s_delay_alu instid0(VALU_DEP_4) | instskip(SKIP_1) | instid1(VALU_DEP_3)
	v_pk_fma_f16 v49, v77, v87, v49
	v_pk_fma_f16 v81, v76, v87, v81
	v_pk_fma_f16 v47, v77, v86, v47
	v_mul_u32_u24_e32 v77, 0x10001, v91
	v_pk_fma_f16 v76, v76, v86, v85
	s_delay_alu instid0(VALU_DEP_2) | instskip(SKIP_2) | instid1(VALU_DEP_1)
	v_pk_fma_f16 v80, v78, v77, v80
	v_pk_fma_f16 v83, v79, v77, v83
	v_mul_u32_u24_e32 v77, 0x10001, v92
	v_pk_fma_f16 v49, v79, v77, v49
	v_pk_fma_f16 v81, v78, v77, v81
	v_mul_u32_u24_e32 v77, 0x10001, v90
	s_delay_alu instid0(VALU_DEP_1) | instskip(SKIP_2) | instid1(VALU_DEP_1)
	v_pk_fma_f16 v84, v79, v77, v84
	v_pk_fma_f16 v82, v78, v77, v82
	v_mul_u32_u24_e32 v77, 0x10001, v93
	v_pk_fma_f16 v47, v79, v77, v47
	v_pk_fma_f16 v85, v78, v77, v76
	ds_load_b128 v[76:79], v35 offset:18864
	s_wait_dscnt 0x0
	v_lshrrev_b32_e32 v86, 16, v76
	v_lshrrev_b32_e32 v87, 16, v77
	v_and_b32_e32 v88, 0xffff, v76
	v_and_b32_e32 v89, 0xffff, v77
	v_lshrrev_b32_e32 v90, 16, v78
	v_lshrrev_b32_e32 v91, 16, v79
	v_and_b32_e32 v92, 0xffff, v78
	v_and_b32_e32 v93, 0xffff, v79
	ds_load_2addr_b64 v[76:79], v46 offset0:192 offset1:224
	v_mul_u32_u24_e32 v87, 0x10001, v87
	v_mul_u32_u24_e32 v86, 0x10001, v86
	s_wait_dscnt 0x0
	s_delay_alu instid0(VALU_DEP_2)
	v_pk_fma_f16 v80, v76, v87, v80
	v_pk_fma_f16 v83, v77, v87, v83
	v_mul_u32_u24_e32 v87, 0x10001, v88
	v_pk_fma_f16 v84, v77, v86, v84
	v_pk_fma_f16 v82, v76, v86, v82
	v_mul_u32_u24_e32 v86, 0x10001, v89
	s_delay_alu instid0(VALU_DEP_4) | instskip(SKIP_1) | instid1(VALU_DEP_3)
	v_pk_fma_f16 v49, v77, v87, v49
	v_pk_fma_f16 v81, v76, v87, v81
	v_pk_fma_f16 v47, v77, v86, v47
	v_mul_u32_u24_e32 v77, 0x10001, v91
	v_pk_fma_f16 v76, v76, v86, v85
	s_delay_alu instid0(VALU_DEP_2) | instskip(SKIP_2) | instid1(VALU_DEP_1)
	v_pk_fma_f16 v80, v78, v77, v80
	v_pk_fma_f16 v85, v79, v77, v83
	v_mul_u32_u24_e32 v77, 0x10001, v92
	v_pk_fma_f16 v49, v79, v77, v49
	v_pk_fma_f16 v86, v78, v77, v81
	v_mul_u32_u24_e32 v77, 0x10001, v90
	s_delay_alu instid0(VALU_DEP_1) | instskip(SKIP_2) | instid1(VALU_DEP_1)
	v_pk_fma_f16 v87, v79, v77, v84
	v_pk_fma_f16 v88, v78, v77, v82
	v_mul_u32_u24_e32 v77, 0x10001, v93
	v_pk_fma_f16 v89, v79, v77, v47
	v_pk_fma_f16 v90, v78, v77, v76
	ds_load_b128 v[76:79], v35 offset:18880
	s_wait_dscnt 0x0
	v_lshrrev_b32_e32 v47, 16, v77
	v_lshrrev_b32_e32 v93, 16, v79
	v_and_b32_e32 v94, 0xffff, v79
	v_lshrrev_b32_e32 v91, 16, v76
	v_and_b32_e32 v76, 0xffff, v76
	v_mul_u32_u24_e32 v79, 0x10001, v47
	v_add_nc_u32_e32 v47, 0x3800, v36
	v_and_b32_e32 v77, 0xffff, v77
	v_lshrrev_b32_e32 v92, 16, v78
	v_mul_u32_u24_e32 v76, 0x10001, v76
	v_and_b32_e32 v78, 0xffff, v78
	ds_load_2addr_b64 v[81:84], v47 offset1:32
	s_wait_dscnt 0x0
	v_pk_fma_f16 v80, v81, v79, v80
	v_pk_fma_f16 v79, v82, v79, v85
	;; [unrolled: 1-line block ×3, first 2 shown]
	v_mul_u32_u24_e32 v49, 0x10001, v91
	v_pk_fma_f16 v76, v81, v76, v86
	s_delay_alu instid0(VALU_DEP_2) | instskip(SKIP_3) | instid1(VALU_DEP_2)
	v_pk_fma_f16 v86, v82, v49, v87
	v_pk_fma_f16 v87, v81, v49, v88
	v_mul_u32_u24_e32 v49, 0x10001, v77
	v_mul_u32_u24_e32 v77, 0x10001, v93
	v_pk_fma_f16 v88, v82, v49, v89
	v_pk_fma_f16 v89, v81, v49, v90
	s_delay_alu instid0(VALU_DEP_3) | instskip(SKIP_3) | instid1(VALU_DEP_2)
	v_pk_fma_f16 v49, v83, v77, v80
	v_pk_fma_f16 v82, v84, v77, v79
	v_mul_u32_u24_e32 v77, 0x10001, v78
	v_mul_u32_u24_e32 v78, 0x10001, v94
	v_pk_fma_f16 v79, v84, v77, v85
	v_pk_fma_f16 v76, v83, v77, v76
	v_mul_u32_u24_e32 v77, 0x10001, v92
	s_delay_alu instid0(VALU_DEP_4) | instskip(SKIP_1) | instid1(VALU_DEP_3)
	v_pk_fma_f16 v81, v84, v78, v88
	v_pk_fma_f16 v78, v83, v78, v89
	;; [unrolled: 1-line block ×4, first 2 shown]
	ds_load_2addr_b64 v[83:86], v47 offset0:64 offset1:96
	ds_load_b128 v[87:90], v35 offset:18896
	ds_load_2addr_b64 v[91:94], v47 offset0:128 offset1:160
	ds_load_b128 v[95:98], v35 offset:18912
	;; [unrolled: 2-line block ×3, first 2 shown]
	s_wait_loadcnt_dscnt 0x0
	s_barrier_signal -1
	s_barrier_wait -1
	global_inv scope:SCOPE_SE
	s_clause 0x1
	scratch_store_b32 off, v38, off
	scratch_store_b96 off, v[8:10], off offset:4
	flat_load_b128 v[107:110], v[17:18]
	v_lshrrev_b32_e32 v17, 16, v87
	v_lshrrev_b32_e32 v18, 16, v88
	v_and_b32_e32 v75, 0xffff, v88
	v_lshrrev_b32_e32 v88, 16, v90
	v_and_b32_e32 v90, 0xffff, v90
	v_mul_u32_u24_e32 v17, 0x10001, v17
	v_mul_u32_u24_e32 v18, 0x10001, v18
	v_mul_u32_u24_e32 v75, 0x10001, v75
	s_delay_alu instid0(VALU_DEP_2)
	v_pk_fma_f16 v49, v83, v18, v49
	v_pk_fma_f16 v18, v84, v18, v82
	v_and_b32_e32 v82, 0xffff, v96
	s_wait_loadcnt_dscnt 0x0
	ds_store_b128 v74, v[107:110]
	v_and_b32_e32 v74, 0xffff, v87
	v_lshrrev_b32_e32 v87, 16, v89
	v_and_b32_e32 v89, 0xffff, v89
	s_clause 0x1
	scratch_store_b32 off, v38, off
	scratch_store_b96 off, v[8:10], off offset:4
	v_mul_u32_u24_e32 v74, 0x10001, v74
	s_delay_alu instid0(VALU_DEP_1)
	v_pk_fma_f16 v79, v84, v74, v79
	v_pk_fma_f16 v74, v83, v74, v76
	;; [unrolled: 1-line block ×6, first 2 shown]
	v_mul_u32_u24_e32 v78, 0x10001, v88
	v_lshrrev_b32_e32 v80, 16, v96
	v_and_b32_e32 v81, 0xffff, v95
	v_lshrrev_b32_e32 v84, 16, v98
	v_lshrrev_b32_e32 v83, 16, v97
	v_pk_fma_f16 v49, v85, v78, v49
	v_pk_fma_f16 v18, v86, v78, v18
	v_mul_u32_u24_e32 v78, 0x10001, v89
	v_mul_u32_u24_e32 v80, 0x10001, v80
	s_delay_alu instid0(VALU_DEP_2) | instskip(SKIP_2) | instid1(VALU_DEP_4)
	v_pk_fma_f16 v79, v86, v78, v79
	v_pk_fma_f16 v74, v85, v78, v74
	v_mul_u32_u24_e32 v78, 0x10001, v87
	v_pk_fma_f16 v49, v91, v80, v49
	v_pk_fma_f16 v18, v92, v80, v18
	v_mul_u32_u24_e32 v80, 0x10001, v81
	v_and_b32_e32 v81, 0xffff, v103
	v_pk_fma_f16 v76, v86, v78, v76
	v_pk_fma_f16 v17, v85, v78, v17
	v_mul_u32_u24_e32 v78, 0x10001, v90
	v_pk_fma_f16 v79, v92, v80, v79
	v_pk_fma_f16 v74, v91, v80, v74
	v_lshrrev_b32_e32 v80, 16, v104
	s_delay_alu instid0(VALU_DEP_4)
	v_pk_fma_f16 v77, v86, v78, v77
	v_pk_fma_f16 v75, v85, v78, v75
	v_lshrrev_b32_e32 v78, 16, v95
	v_and_b32_e32 v85, 0xffff, v97
	v_and_b32_e32 v86, 0xffff, v98
	v_mul_u32_u24_e32 v80, 0x10001, v80
	s_delay_alu instid0(VALU_DEP_4) | instskip(NEXT) | instid1(VALU_DEP_1)
	v_mul_u32_u24_e32 v78, 0x10001, v78
	v_pk_fma_f16 v76, v92, v78, v76
	v_pk_fma_f16 v17, v91, v78, v17
	v_mul_u32_u24_e32 v78, 0x10001, v82
	v_and_b32_e32 v82, 0xffff, v104
	s_delay_alu instid0(VALU_DEP_2) | instskip(SKIP_3) | instid1(VALU_DEP_2)
	v_pk_fma_f16 v77, v92, v78, v77
	v_pk_fma_f16 v75, v91, v78, v75
	v_mul_u32_u24_e32 v78, 0x10001, v84
	v_lshrrev_b32_e32 v84, 16, v106
	v_pk_fma_f16 v49, v93, v78, v49
	v_pk_fma_f16 v18, v94, v78, v18
	v_mul_u32_u24_e32 v78, 0x10001, v85
	v_and_b32_e32 v85, 0xffff, v105
	s_delay_alu instid0(VALU_DEP_4) | instskip(NEXT) | instid1(VALU_DEP_4)
	v_pk_fma_f16 v49, v99, v80, v49
	v_pk_fma_f16 v18, v100, v80, v18
	s_delay_alu instid0(VALU_DEP_4) | instskip(SKIP_4) | instid1(VALU_DEP_3)
	v_pk_fma_f16 v79, v94, v78, v79
	v_pk_fma_f16 v74, v93, v78, v74
	v_mul_u32_u24_e32 v78, 0x10001, v83
	v_mul_u32_u24_e32 v80, 0x10001, v81
	v_lshrrev_b32_e32 v83, 16, v105
	v_pk_fma_f16 v76, v94, v78, v76
	v_pk_fma_f16 v17, v93, v78, v17
	v_mul_u32_u24_e32 v78, 0x10001, v86
	v_pk_fma_f16 v79, v100, v80, v79
	v_pk_fma_f16 v74, v99, v80, v74
	v_and_b32_e32 v86, 0xffff, v106
	s_delay_alu instid0(VALU_DEP_4) | instskip(SKIP_2) | instid1(VALU_DEP_1)
	v_pk_fma_f16 v77, v94, v78, v77
	v_pk_fma_f16 v75, v93, v78, v75
	v_lshrrev_b32_e32 v78, 16, v103
	v_mul_u32_u24_e32 v78, 0x10001, v78
	s_delay_alu instid0(VALU_DEP_1) | instskip(SKIP_2) | instid1(VALU_DEP_1)
	v_pk_fma_f16 v76, v100, v78, v76
	v_pk_fma_f16 v17, v99, v78, v17
	v_mul_u32_u24_e32 v78, 0x10001, v82
	v_pk_fma_f16 v77, v100, v78, v77
	v_pk_fma_f16 v75, v99, v78, v75
	v_mul_u32_u24_e32 v78, 0x10001, v84
	s_delay_alu instid0(VALU_DEP_1) | instskip(SKIP_2) | instid1(VALU_DEP_1)
	v_pk_fma_f16 v49, v101, v78, v49
	v_pk_fma_f16 v18, v102, v78, v18
	v_mul_u32_u24_e32 v78, 0x10001, v85
	v_pk_fma_f16 v79, v102, v78, v79
	v_pk_fma_f16 v78, v101, v78, v74
	;; [unrolled: 7-line block ×3, first 2 shown]
	flat_load_b128 v[74:77], v[13:14]
	v_add_co_u32 v13, vcc_lo, s4, v15
	s_wait_alu 0xfffd
	v_add_co_ci_u32_e64 v14, null, s5, v16, vcc_lo
	v_cmp_gt_i32_e32 vcc_lo, s3, v71
	s_delay_alu instid0(VALU_DEP_3) | instskip(SKIP_1) | instid1(VALU_DEP_3)
	v_add_co_u32 v13, s2, v13, v37
	s_wait_alu 0xf1ff
	v_add_co_ci_u32_e64 v14, null, 0, v14, s2
	s_wait_alu 0xfffd
	s_delay_alu instid0(VALU_DEP_2) | instskip(NEXT) | instid1(VALU_DEP_2)
	v_cndmask_b32_e32 v13, 0, v13, vcc_lo
	v_cndmask_b32_e32 v14, s9, v14, vcc_lo
	s_wait_loadcnt_dscnt 0x0
	ds_store_b128 v72, v[74:77]
	s_clause 0x1
	scratch_store_b32 off, v38, off
	scratch_store_b96 off, v[8:10], off offset:4
	flat_load_b128 v[13:16], v[13:14]
	s_clause 0x1
	scratch_store_b96 off, v[8:10], off offset:4
	scratch_store_b32 off, v38, off
	v_add_co_u32 v8, vcc_lo, s4, v11
	s_wait_alu 0xfffd
	v_add_co_ci_u32_e64 v9, null, s5, v12, vcc_lo
	v_cmp_gt_i32_e32 vcc_lo, s3, v39
	s_delay_alu instid0(VALU_DEP_3) | instskip(SKIP_1) | instid1(VALU_DEP_3)
	v_add_co_u32 v8, s2, v8, v37
	s_wait_alu 0xf1ff
	v_add_co_ci_u32_e64 v9, null, 0, v9, s2
	s_wait_alu 0xfffd
	s_delay_alu instid0(VALU_DEP_2) | instskip(NEXT) | instid1(VALU_DEP_2)
	v_cndmask_b32_e32 v8, 0, v8, vcc_lo
	v_cndmask_b32_e32 v9, s9, v9, vcc_lo
	s_wait_loadcnt_dscnt 0x0
	ds_store_b128 v73, v[13:16]
	flat_load_b128 v[8:11], v[8:9]
	s_wait_loadcnt_dscnt 0x0
	ds_store_b128 v44, v[8:11]
	s_wait_storecnt_dscnt 0x0
	s_barrier_signal -1
	s_barrier_wait -1
	global_inv scope:SCOPE_SE
	ds_load_b128 v[8:11], v35 offset:18944
	s_wait_dscnt 0x0
	v_lshrrev_b32_e32 v12, 16, v8
	v_and_b32_e32 v8, 0xffff, v8
	v_lshrrev_b32_e32 v13, 16, v9
	v_and_b32_e32 v14, 0xffff, v9
	v_lshrrev_b32_e32 v15, 16, v10
	v_lshrrev_b32_e32 v16, 16, v11
	v_and_b32_e32 v37, 0xffff, v10
	v_and_b32_e32 v38, 0xffff, v11
	v_mul_u32_u24_e32 v39, 0x10001, v8
	ds_load_2addr_b64 v[8:11], v36 offset1:32
	v_mul_u32_u24_e32 v12, 0x10001, v12
	v_mul_u32_u24_e32 v14, 0x10001, v14
	v_mul_u32_u24_e32 v15, 0x10001, v15
	v_mul_u32_u24_e32 v13, 0x10001, v13
	s_wait_dscnt 0x0
	v_pk_fma_f16 v17, v8, v12, v17
	v_pk_fma_f16 v12, v9, v12, v80
	;; [unrolled: 1-line block ×7, first 2 shown]
	v_mul_u32_u24_e32 v15, 0x10001, v38
	v_pk_fma_f16 v39, v9, v39, v79
	v_pk_fma_f16 v8, v8, v13, v49
	;; [unrolled: 1-line block ×3, first 2 shown]
	v_mul_u32_u24_e32 v13, 0x10001, v37
	v_pk_fma_f16 v37, v10, v15, v70
	v_pk_fma_f16 v14, v11, v15, v14
	v_mul_u32_u24_e32 v15, 0x10001, v16
	s_delay_alu instid0(VALU_DEP_4) | instskip(SKIP_1) | instid1(VALU_DEP_3)
	v_pk_fma_f16 v18, v10, v13, v44
	v_pk_fma_f16 v13, v11, v13, v39
	;; [unrolled: 1-line block ×4, first 2 shown]
	ds_load_b128 v[8:11], v35 offset:18960
	s_wait_dscnt 0x0
	v_lshrrev_b32_e32 v38, 16, v8
	v_and_b32_e32 v8, 0xffff, v8
	v_lshrrev_b32_e32 v39, 16, v9
	v_and_b32_e32 v44, 0xffff, v9
	v_lshrrev_b32_e32 v49, 16, v10
	v_lshrrev_b32_e32 v70, 16, v11
	v_and_b32_e32 v71, 0xffff, v10
	v_and_b32_e32 v72, 0xffff, v11
	v_mul_u32_u24_e32 v73, 0x10001, v8
	ds_load_2addr_b64 v[8:11], v36 offset0:64 offset1:96
	v_mul_u32_u24_e32 v38, 0x10001, v38
	s_wait_dscnt 0x0
	s_delay_alu instid0(VALU_DEP_1) | instskip(SKIP_4) | instid1(VALU_DEP_3)
	v_pk_fma_f16 v17, v8, v38, v17
	v_pk_fma_f16 v12, v9, v38, v12
	v_mul_u32_u24_e32 v38, 0x10001, v44
	v_pk_fma_f16 v18, v8, v73, v18
	v_pk_fma_f16 v13, v9, v73, v13
	v_pk_fma_f16 v37, v8, v38, v37
	v_pk_fma_f16 v14, v9, v38, v14
	v_mul_u32_u24_e32 v38, 0x10001, v39
	s_delay_alu instid0(VALU_DEP_1) | instskip(SKIP_2) | instid1(VALU_DEP_2)
	v_pk_fma_f16 v9, v9, v38, v15
	v_mul_u32_u24_e32 v15, 0x10001, v71
	v_pk_fma_f16 v8, v8, v38, v16
	v_pk_fma_f16 v16, v10, v15, v18
	v_pk_fma_f16 v13, v11, v15, v13
	v_mul_u32_u24_e32 v15, 0x10001, v49
	s_delay_alu instid0(VALU_DEP_1) | instskip(SKIP_2) | instid1(VALU_DEP_1)
	v_pk_fma_f16 v17, v10, v15, v17
	v_pk_fma_f16 v12, v11, v15, v12
	v_mul_u32_u24_e32 v15, 0x10001, v72
	v_pk_fma_f16 v18, v10, v15, v37
	v_pk_fma_f16 v14, v11, v15, v14
	v_mul_u32_u24_e32 v15, 0x10001, v70
	s_delay_alu instid0(VALU_DEP_1)
	v_pk_fma_f16 v37, v10, v15, v8
	v_pk_fma_f16 v15, v11, v15, v9
	ds_load_b128 v[8:11], v35 offset:18976
	s_wait_dscnt 0x0
	v_lshrrev_b32_e32 v38, 16, v8
	v_and_b32_e32 v8, 0xffff, v8
	v_lshrrev_b32_e32 v39, 16, v9
	v_and_b32_e32 v44, 0xffff, v9
	v_lshrrev_b32_e32 v49, 16, v10
	v_lshrrev_b32_e32 v70, 16, v11
	v_and_b32_e32 v71, 0xffff, v10
	v_and_b32_e32 v72, 0xffff, v11
	v_mul_u32_u24_e32 v73, 0x10001, v8
	ds_load_2addr_b64 v[8:11], v36 offset0:128 offset1:160
	v_mul_u32_u24_e32 v38, 0x10001, v38
	s_wait_dscnt 0x0
	s_delay_alu instid0(VALU_DEP_1) | instskip(SKIP_4) | instid1(VALU_DEP_3)
	v_pk_fma_f16 v17, v8, v38, v17
	v_pk_fma_f16 v12, v9, v38, v12
	v_mul_u32_u24_e32 v38, 0x10001, v44
	v_pk_fma_f16 v16, v8, v73, v16
	v_pk_fma_f16 v13, v9, v73, v13
	v_pk_fma_f16 v18, v8, v38, v18
	v_pk_fma_f16 v14, v9, v38, v14
	v_mul_u32_u24_e32 v38, 0x10001, v39
	s_delay_alu instid0(VALU_DEP_1) | instskip(SKIP_2) | instid1(VALU_DEP_2)
	v_pk_fma_f16 v9, v9, v38, v15
	v_mul_u32_u24_e32 v15, 0x10001, v71
	v_pk_fma_f16 v8, v8, v38, v37
	v_pk_fma_f16 v16, v10, v15, v16
	v_pk_fma_f16 v13, v11, v15, v13
	v_mul_u32_u24_e32 v15, 0x10001, v49
	s_delay_alu instid0(VALU_DEP_1) | instskip(SKIP_2) | instid1(VALU_DEP_1)
	v_pk_fma_f16 v17, v10, v15, v17
	v_pk_fma_f16 v12, v11, v15, v12
	v_mul_u32_u24_e32 v15, 0x10001, v72
	v_pk_fma_f16 v18, v10, v15, v18
	v_pk_fma_f16 v14, v11, v15, v14
	v_mul_u32_u24_e32 v15, 0x10001, v70
	s_delay_alu instid0(VALU_DEP_1)
	v_pk_fma_f16 v37, v10, v15, v8
	v_pk_fma_f16 v15, v11, v15, v9
	;; [unrolled: 40-line block ×3, first 2 shown]
	ds_load_b128 v[8:11], v35 offset:19008
	s_wait_dscnt 0x0
	v_lshrrev_b32_e32 v37, 16, v8
	v_and_b32_e32 v8, 0xffff, v8
	v_lshrrev_b32_e32 v38, 16, v9
	v_and_b32_e32 v39, 0xffff, v9
	v_lshrrev_b32_e32 v44, 16, v10
	v_lshrrev_b32_e32 v49, 16, v11
	v_and_b32_e32 v70, 0xffff, v10
	v_and_b32_e32 v71, 0xffff, v11
	v_mul_u32_u24_e32 v72, 0x10001, v8
	ds_load_2addr_b64 v[8:11], v40 offset1:32
	v_mul_u32_u24_e32 v37, 0x10001, v37
	s_wait_dscnt 0x0
	s_delay_alu instid0(VALU_DEP_1) | instskip(SKIP_4) | instid1(VALU_DEP_3)
	v_pk_fma_f16 v17, v8, v37, v17
	v_pk_fma_f16 v12, v9, v37, v12
	v_mul_u32_u24_e32 v37, 0x10001, v39
	v_pk_fma_f16 v16, v8, v72, v16
	v_pk_fma_f16 v13, v9, v72, v13
	v_pk_fma_f16 v18, v8, v37, v18
	v_pk_fma_f16 v14, v9, v37, v14
	v_mul_u32_u24_e32 v37, 0x10001, v38
	s_delay_alu instid0(VALU_DEP_1) | instskip(SKIP_2) | instid1(VALU_DEP_2)
	v_pk_fma_f16 v9, v9, v37, v15
	v_mul_u32_u24_e32 v15, 0x10001, v70
	v_pk_fma_f16 v8, v8, v37, v36
	v_pk_fma_f16 v16, v10, v15, v16
	v_pk_fma_f16 v13, v11, v15, v13
	v_mul_u32_u24_e32 v15, 0x10001, v44
	s_delay_alu instid0(VALU_DEP_1) | instskip(SKIP_2) | instid1(VALU_DEP_1)
	v_pk_fma_f16 v17, v10, v15, v17
	v_pk_fma_f16 v12, v11, v15, v12
	v_mul_u32_u24_e32 v15, 0x10001, v71
	v_pk_fma_f16 v18, v10, v15, v18
	v_pk_fma_f16 v14, v11, v15, v14
	v_mul_u32_u24_e32 v15, 0x10001, v49
	s_delay_alu instid0(VALU_DEP_1)
	v_pk_fma_f16 v36, v10, v15, v8
	v_pk_fma_f16 v15, v11, v15, v9
	ds_load_b128 v[8:11], v35 offset:19024
	s_wait_dscnt 0x0
	v_lshrrev_b32_e32 v37, 16, v8
	v_and_b32_e32 v8, 0xffff, v8
	v_lshrrev_b32_e32 v38, 16, v9
	v_and_b32_e32 v39, 0xffff, v9
	v_lshrrev_b32_e32 v44, 16, v10
	v_lshrrev_b32_e32 v49, 16, v11
	v_and_b32_e32 v70, 0xffff, v10
	v_and_b32_e32 v71, 0xffff, v11
	v_mul_u32_u24_e32 v72, 0x10001, v8
	ds_load_2addr_b64 v[8:11], v40 offset0:64 offset1:96
	v_mul_u32_u24_e32 v37, 0x10001, v37
	s_wait_dscnt 0x0
	s_delay_alu instid0(VALU_DEP_1) | instskip(SKIP_4) | instid1(VALU_DEP_3)
	v_pk_fma_f16 v17, v8, v37, v17
	v_pk_fma_f16 v12, v9, v37, v12
	v_mul_u32_u24_e32 v37, 0x10001, v39
	v_pk_fma_f16 v16, v8, v72, v16
	v_pk_fma_f16 v13, v9, v72, v13
	v_pk_fma_f16 v18, v8, v37, v18
	v_pk_fma_f16 v14, v9, v37, v14
	v_mul_u32_u24_e32 v37, 0x10001, v38
	s_delay_alu instid0(VALU_DEP_1) | instskip(SKIP_2) | instid1(VALU_DEP_2)
	v_pk_fma_f16 v9, v9, v37, v15
	v_mul_u32_u24_e32 v15, 0x10001, v70
	v_pk_fma_f16 v8, v8, v37, v36
	v_pk_fma_f16 v16, v10, v15, v16
	v_pk_fma_f16 v13, v11, v15, v13
	v_mul_u32_u24_e32 v15, 0x10001, v44
	s_delay_alu instid0(VALU_DEP_1) | instskip(SKIP_2) | instid1(VALU_DEP_1)
	v_pk_fma_f16 v17, v10, v15, v17
	v_pk_fma_f16 v12, v11, v15, v12
	v_mul_u32_u24_e32 v15, 0x10001, v71
	v_pk_fma_f16 v18, v10, v15, v18
	v_pk_fma_f16 v14, v11, v15, v14
	v_mul_u32_u24_e32 v15, 0x10001, v49
	s_delay_alu instid0(VALU_DEP_1)
	v_pk_fma_f16 v36, v10, v15, v8
	v_pk_fma_f16 v15, v11, v15, v9
	ds_load_b128 v[8:11], v35 offset:19040
	s_wait_dscnt 0x0
	v_lshrrev_b32_e32 v37, 16, v8
	v_and_b32_e32 v8, 0xffff, v8
	v_lshrrev_b32_e32 v38, 16, v9
	v_and_b32_e32 v39, 0xffff, v9
	v_lshrrev_b32_e32 v44, 16, v10
	v_lshrrev_b32_e32 v49, 16, v11
	v_and_b32_e32 v70, 0xffff, v10
	v_and_b32_e32 v71, 0xffff, v11
	v_mul_u32_u24_e32 v72, 0x10001, v8
	ds_load_2addr_b64 v[8:11], v40 offset0:128 offset1:160
	;; [unrolled: 40-line block ×3, first 2 shown]
	v_mul_u32_u24_e32 v37, 0x10001, v37
	s_wait_dscnt 0x0
	s_delay_alu instid0(VALU_DEP_1) | instskip(SKIP_4) | instid1(VALU_DEP_3)
	v_pk_fma_f16 v17, v8, v37, v17
	v_pk_fma_f16 v12, v9, v37, v12
	v_mul_u32_u24_e32 v37, 0x10001, v39
	v_pk_fma_f16 v16, v8, v72, v16
	v_pk_fma_f16 v13, v9, v72, v13
	;; [unrolled: 1-line block ×4, first 2 shown]
	v_mul_u32_u24_e32 v37, 0x10001, v38
	s_delay_alu instid0(VALU_DEP_1) | instskip(SKIP_2) | instid1(VALU_DEP_2)
	v_pk_fma_f16 v9, v9, v37, v15
	v_mul_u32_u24_e32 v15, 0x10001, v70
	v_pk_fma_f16 v8, v8, v37, v36
	v_pk_fma_f16 v16, v10, v15, v16
	;; [unrolled: 1-line block ×3, first 2 shown]
	v_mul_u32_u24_e32 v15, 0x10001, v44
	s_delay_alu instid0(VALU_DEP_1) | instskip(SKIP_2) | instid1(VALU_DEP_1)
	v_pk_fma_f16 v17, v10, v15, v17
	v_pk_fma_f16 v12, v11, v15, v12
	v_mul_u32_u24_e32 v15, 0x10001, v71
	v_pk_fma_f16 v18, v10, v15, v18
	v_pk_fma_f16 v14, v11, v15, v14
	v_mul_u32_u24_e32 v15, 0x10001, v49
	s_delay_alu instid0(VALU_DEP_1)
	v_pk_fma_f16 v36, v10, v15, v8
	v_pk_fma_f16 v15, v11, v15, v9
	ds_load_b128 v[8:11], v35 offset:19072
	s_wait_dscnt 0x0
	v_lshrrev_b32_e32 v37, 16, v8
	v_and_b32_e32 v8, 0xffff, v8
	v_lshrrev_b32_e32 v38, 16, v9
	v_and_b32_e32 v39, 0xffff, v9
	v_lshrrev_b32_e32 v40, 16, v10
	v_lshrrev_b32_e32 v44, 16, v11
	v_and_b32_e32 v49, 0xffff, v10
	v_and_b32_e32 v70, 0xffff, v11
	v_mul_u32_u24_e32 v71, 0x10001, v8
	ds_load_2addr_b64 v[8:11], v41 offset1:32
	v_mul_u32_u24_e32 v37, 0x10001, v37
	s_wait_dscnt 0x0
	s_delay_alu instid0(VALU_DEP_1) | instskip(SKIP_4) | instid1(VALU_DEP_3)
	v_pk_fma_f16 v17, v8, v37, v17
	v_pk_fma_f16 v12, v9, v37, v12
	v_mul_u32_u24_e32 v37, 0x10001, v39
	v_pk_fma_f16 v16, v8, v71, v16
	v_pk_fma_f16 v13, v9, v71, v13
	v_pk_fma_f16 v18, v8, v37, v18
	v_pk_fma_f16 v14, v9, v37, v14
	v_mul_u32_u24_e32 v37, 0x10001, v38
	s_delay_alu instid0(VALU_DEP_1) | instskip(SKIP_2) | instid1(VALU_DEP_2)
	v_pk_fma_f16 v9, v9, v37, v15
	v_mul_u32_u24_e32 v15, 0x10001, v49
	v_pk_fma_f16 v8, v8, v37, v36
	v_pk_fma_f16 v16, v10, v15, v16
	v_pk_fma_f16 v13, v11, v15, v13
	v_mul_u32_u24_e32 v15, 0x10001, v40
	s_delay_alu instid0(VALU_DEP_1) | instskip(SKIP_2) | instid1(VALU_DEP_1)
	v_pk_fma_f16 v17, v10, v15, v17
	v_pk_fma_f16 v12, v11, v15, v12
	v_mul_u32_u24_e32 v15, 0x10001, v70
	v_pk_fma_f16 v18, v10, v15, v18
	v_pk_fma_f16 v14, v11, v15, v14
	v_mul_u32_u24_e32 v15, 0x10001, v44
	s_delay_alu instid0(VALU_DEP_1)
	v_pk_fma_f16 v36, v10, v15, v8
	v_pk_fma_f16 v15, v11, v15, v9
	ds_load_b128 v[8:11], v35 offset:19088
	s_wait_dscnt 0x0
	v_lshrrev_b32_e32 v37, 16, v8
	v_and_b32_e32 v8, 0xffff, v8
	v_lshrrev_b32_e32 v38, 16, v9
	v_and_b32_e32 v39, 0xffff, v9
	v_lshrrev_b32_e32 v40, 16, v10
	v_lshrrev_b32_e32 v44, 16, v11
	v_and_b32_e32 v49, 0xffff, v10
	v_and_b32_e32 v70, 0xffff, v11
	v_mul_u32_u24_e32 v71, 0x10001, v8
	ds_load_2addr_b64 v[8:11], v41 offset0:64 offset1:96
	v_mul_u32_u24_e32 v37, 0x10001, v37
	s_wait_dscnt 0x0
	s_delay_alu instid0(VALU_DEP_1) | instskip(SKIP_4) | instid1(VALU_DEP_3)
	v_pk_fma_f16 v17, v8, v37, v17
	v_pk_fma_f16 v12, v9, v37, v12
	v_mul_u32_u24_e32 v37, 0x10001, v39
	v_pk_fma_f16 v16, v8, v71, v16
	v_pk_fma_f16 v13, v9, v71, v13
	v_pk_fma_f16 v18, v8, v37, v18
	v_pk_fma_f16 v14, v9, v37, v14
	v_mul_u32_u24_e32 v37, 0x10001, v38
	s_delay_alu instid0(VALU_DEP_1) | instskip(SKIP_2) | instid1(VALU_DEP_2)
	v_pk_fma_f16 v9, v9, v37, v15
	v_mul_u32_u24_e32 v15, 0x10001, v49
	v_pk_fma_f16 v8, v8, v37, v36
	v_pk_fma_f16 v16, v10, v15, v16
	v_pk_fma_f16 v13, v11, v15, v13
	v_mul_u32_u24_e32 v15, 0x10001, v40
	s_delay_alu instid0(VALU_DEP_1) | instskip(SKIP_2) | instid1(VALU_DEP_1)
	v_pk_fma_f16 v17, v10, v15, v17
	v_pk_fma_f16 v12, v11, v15, v12
	v_mul_u32_u24_e32 v15, 0x10001, v70
	v_pk_fma_f16 v18, v10, v15, v18
	v_pk_fma_f16 v14, v11, v15, v14
	v_mul_u32_u24_e32 v15, 0x10001, v44
	s_delay_alu instid0(VALU_DEP_1)
	v_pk_fma_f16 v36, v10, v15, v8
	v_pk_fma_f16 v15, v11, v15, v9
	ds_load_b128 v[8:11], v35 offset:19104
	s_wait_dscnt 0x0
	v_lshrrev_b32_e32 v37, 16, v8
	v_and_b32_e32 v8, 0xffff, v8
	v_lshrrev_b32_e32 v38, 16, v9
	v_and_b32_e32 v39, 0xffff, v9
	v_lshrrev_b32_e32 v40, 16, v10
	v_lshrrev_b32_e32 v44, 16, v11
	v_and_b32_e32 v49, 0xffff, v10
	v_and_b32_e32 v70, 0xffff, v11
	v_mul_u32_u24_e32 v71, 0x10001, v8
	ds_load_2addr_b64 v[8:11], v41 offset0:128 offset1:160
	;; [unrolled: 40-line block ×3, first 2 shown]
	v_mul_u32_u24_e32 v37, 0x10001, v37
	s_wait_dscnt 0x0
	s_delay_alu instid0(VALU_DEP_1) | instskip(SKIP_4) | instid1(VALU_DEP_3)
	v_pk_fma_f16 v17, v8, v37, v17
	v_pk_fma_f16 v12, v9, v37, v12
	v_mul_u32_u24_e32 v37, 0x10001, v39
	v_pk_fma_f16 v16, v8, v71, v16
	v_pk_fma_f16 v13, v9, v71, v13
	;; [unrolled: 1-line block ×4, first 2 shown]
	v_mul_u32_u24_e32 v37, 0x10001, v38
	s_delay_alu instid0(VALU_DEP_1) | instskip(SKIP_2) | instid1(VALU_DEP_2)
	v_pk_fma_f16 v9, v9, v37, v15
	v_mul_u32_u24_e32 v15, 0x10001, v49
	v_pk_fma_f16 v8, v8, v37, v36
	v_pk_fma_f16 v16, v10, v15, v16
	;; [unrolled: 1-line block ×3, first 2 shown]
	v_mul_u32_u24_e32 v15, 0x10001, v40
	s_delay_alu instid0(VALU_DEP_1) | instskip(SKIP_2) | instid1(VALU_DEP_1)
	v_pk_fma_f16 v17, v10, v15, v17
	v_pk_fma_f16 v12, v11, v15, v12
	v_mul_u32_u24_e32 v15, 0x10001, v70
	v_pk_fma_f16 v18, v10, v15, v18
	v_pk_fma_f16 v14, v11, v15, v14
	v_mul_u32_u24_e32 v15, 0x10001, v44
	s_delay_alu instid0(VALU_DEP_1)
	v_pk_fma_f16 v36, v10, v15, v8
	v_pk_fma_f16 v15, v11, v15, v9
	ds_load_b128 v[8:11], v35 offset:19136
	s_wait_dscnt 0x0
	v_lshrrev_b32_e32 v37, 16, v8
	v_and_b32_e32 v8, 0xffff, v8
	v_lshrrev_b32_e32 v38, 16, v9
	v_and_b32_e32 v39, 0xffff, v9
	v_lshrrev_b32_e32 v40, 16, v10
	v_lshrrev_b32_e32 v41, 16, v11
	v_and_b32_e32 v44, 0xffff, v10
	v_and_b32_e32 v49, 0xffff, v11
	v_mul_u32_u24_e32 v70, 0x10001, v8
	ds_load_2addr_b64 v[8:11], v42 offset1:32
	v_mul_u32_u24_e32 v37, 0x10001, v37
	s_wait_dscnt 0x0
	s_delay_alu instid0(VALU_DEP_1) | instskip(SKIP_4) | instid1(VALU_DEP_3)
	v_pk_fma_f16 v17, v8, v37, v17
	v_pk_fma_f16 v12, v9, v37, v12
	v_mul_u32_u24_e32 v37, 0x10001, v39
	v_pk_fma_f16 v16, v8, v70, v16
	v_pk_fma_f16 v13, v9, v70, v13
	v_pk_fma_f16 v18, v8, v37, v18
	v_pk_fma_f16 v14, v9, v37, v14
	v_mul_u32_u24_e32 v37, 0x10001, v38
	s_delay_alu instid0(VALU_DEP_1) | instskip(SKIP_2) | instid1(VALU_DEP_2)
	v_pk_fma_f16 v9, v9, v37, v15
	v_mul_u32_u24_e32 v15, 0x10001, v44
	v_pk_fma_f16 v8, v8, v37, v36
	v_pk_fma_f16 v16, v10, v15, v16
	v_pk_fma_f16 v13, v11, v15, v13
	v_mul_u32_u24_e32 v15, 0x10001, v40
	s_delay_alu instid0(VALU_DEP_1) | instskip(SKIP_2) | instid1(VALU_DEP_1)
	v_pk_fma_f16 v17, v10, v15, v17
	v_pk_fma_f16 v12, v11, v15, v12
	v_mul_u32_u24_e32 v15, 0x10001, v49
	v_pk_fma_f16 v18, v10, v15, v18
	v_pk_fma_f16 v14, v11, v15, v14
	v_mul_u32_u24_e32 v15, 0x10001, v41
	s_delay_alu instid0(VALU_DEP_1)
	v_pk_fma_f16 v36, v10, v15, v8
	v_pk_fma_f16 v15, v11, v15, v9
	ds_load_b128 v[8:11], v35 offset:19152
	s_wait_dscnt 0x0
	v_lshrrev_b32_e32 v37, 16, v8
	v_and_b32_e32 v8, 0xffff, v8
	v_lshrrev_b32_e32 v38, 16, v9
	v_and_b32_e32 v39, 0xffff, v9
	v_lshrrev_b32_e32 v40, 16, v10
	v_lshrrev_b32_e32 v41, 16, v11
	v_and_b32_e32 v44, 0xffff, v10
	v_and_b32_e32 v49, 0xffff, v11
	v_mul_u32_u24_e32 v70, 0x10001, v8
	ds_load_2addr_b64 v[8:11], v42 offset0:64 offset1:96
	v_mul_u32_u24_e32 v37, 0x10001, v37
	s_wait_dscnt 0x0
	s_delay_alu instid0(VALU_DEP_1) | instskip(SKIP_4) | instid1(VALU_DEP_3)
	v_pk_fma_f16 v17, v8, v37, v17
	v_pk_fma_f16 v12, v9, v37, v12
	v_mul_u32_u24_e32 v37, 0x10001, v39
	v_pk_fma_f16 v16, v8, v70, v16
	v_pk_fma_f16 v13, v9, v70, v13
	v_pk_fma_f16 v18, v8, v37, v18
	v_pk_fma_f16 v14, v9, v37, v14
	v_mul_u32_u24_e32 v37, 0x10001, v38
	s_delay_alu instid0(VALU_DEP_1) | instskip(SKIP_2) | instid1(VALU_DEP_2)
	v_pk_fma_f16 v9, v9, v37, v15
	v_mul_u32_u24_e32 v15, 0x10001, v44
	v_pk_fma_f16 v8, v8, v37, v36
	v_pk_fma_f16 v16, v10, v15, v16
	v_pk_fma_f16 v13, v11, v15, v13
	v_mul_u32_u24_e32 v15, 0x10001, v40
	s_delay_alu instid0(VALU_DEP_1) | instskip(SKIP_2) | instid1(VALU_DEP_1)
	v_pk_fma_f16 v17, v10, v15, v17
	v_pk_fma_f16 v12, v11, v15, v12
	v_mul_u32_u24_e32 v15, 0x10001, v49
	v_pk_fma_f16 v18, v10, v15, v18
	v_pk_fma_f16 v14, v11, v15, v14
	v_mul_u32_u24_e32 v15, 0x10001, v41
	s_delay_alu instid0(VALU_DEP_1)
	v_pk_fma_f16 v36, v10, v15, v8
	v_pk_fma_f16 v15, v11, v15, v9
	ds_load_b128 v[8:11], v35 offset:19168
	s_wait_dscnt 0x0
	v_lshrrev_b32_e32 v37, 16, v8
	v_and_b32_e32 v8, 0xffff, v8
	v_lshrrev_b32_e32 v38, 16, v9
	v_and_b32_e32 v39, 0xffff, v9
	v_lshrrev_b32_e32 v40, 16, v10
	v_lshrrev_b32_e32 v41, 16, v11
	v_and_b32_e32 v44, 0xffff, v10
	v_and_b32_e32 v49, 0xffff, v11
	v_mul_u32_u24_e32 v70, 0x10001, v8
	ds_load_2addr_b64 v[8:11], v42 offset0:128 offset1:160
	;; [unrolled: 40-line block ×3, first 2 shown]
	v_mul_u32_u24_e32 v37, 0x10001, v37
	s_wait_dscnt 0x0
	s_delay_alu instid0(VALU_DEP_1) | instskip(SKIP_4) | instid1(VALU_DEP_3)
	v_pk_fma_f16 v17, v8, v37, v17
	v_pk_fma_f16 v12, v9, v37, v12
	v_mul_u32_u24_e32 v37, 0x10001, v39
	v_pk_fma_f16 v16, v8, v70, v16
	v_pk_fma_f16 v13, v9, v70, v13
	;; [unrolled: 1-line block ×4, first 2 shown]
	v_mul_u32_u24_e32 v37, 0x10001, v38
	s_delay_alu instid0(VALU_DEP_1) | instskip(SKIP_2) | instid1(VALU_DEP_2)
	v_pk_fma_f16 v9, v9, v37, v15
	v_mul_u32_u24_e32 v15, 0x10001, v44
	v_pk_fma_f16 v8, v8, v37, v36
	v_pk_fma_f16 v16, v10, v15, v16
	;; [unrolled: 1-line block ×3, first 2 shown]
	v_mul_u32_u24_e32 v15, 0x10001, v40
	s_delay_alu instid0(VALU_DEP_1) | instskip(SKIP_2) | instid1(VALU_DEP_1)
	v_pk_fma_f16 v17, v10, v15, v17
	v_pk_fma_f16 v12, v11, v15, v12
	v_mul_u32_u24_e32 v15, 0x10001, v49
	v_pk_fma_f16 v18, v10, v15, v18
	v_pk_fma_f16 v14, v11, v15, v14
	v_mul_u32_u24_e32 v15, 0x10001, v41
	s_delay_alu instid0(VALU_DEP_1)
	v_pk_fma_f16 v36, v10, v15, v8
	v_pk_fma_f16 v15, v11, v15, v9
	ds_load_b128 v[8:11], v35 offset:19200
	s_wait_dscnt 0x0
	v_lshrrev_b32_e32 v37, 16, v8
	v_and_b32_e32 v8, 0xffff, v8
	v_lshrrev_b32_e32 v38, 16, v9
	v_and_b32_e32 v39, 0xffff, v9
	v_lshrrev_b32_e32 v40, 16, v10
	v_lshrrev_b32_e32 v41, 16, v11
	v_and_b32_e32 v42, 0xffff, v10
	v_and_b32_e32 v44, 0xffff, v11
	v_mul_u32_u24_e32 v49, 0x10001, v8
	ds_load_2addr_b64 v[8:11], v43 offset1:32
	v_mul_u32_u24_e32 v37, 0x10001, v37
	s_wait_dscnt 0x0
	s_delay_alu instid0(VALU_DEP_1) | instskip(SKIP_4) | instid1(VALU_DEP_3)
	v_pk_fma_f16 v17, v8, v37, v17
	v_pk_fma_f16 v12, v9, v37, v12
	v_mul_u32_u24_e32 v37, 0x10001, v39
	v_pk_fma_f16 v16, v8, v49, v16
	v_pk_fma_f16 v13, v9, v49, v13
	v_pk_fma_f16 v18, v8, v37, v18
	v_pk_fma_f16 v14, v9, v37, v14
	v_mul_u32_u24_e32 v37, 0x10001, v38
	s_delay_alu instid0(VALU_DEP_1) | instskip(SKIP_2) | instid1(VALU_DEP_2)
	v_pk_fma_f16 v9, v9, v37, v15
	v_mul_u32_u24_e32 v15, 0x10001, v42
	v_pk_fma_f16 v8, v8, v37, v36
	v_pk_fma_f16 v16, v10, v15, v16
	v_pk_fma_f16 v13, v11, v15, v13
	v_mul_u32_u24_e32 v15, 0x10001, v40
	s_delay_alu instid0(VALU_DEP_1) | instskip(SKIP_2) | instid1(VALU_DEP_1)
	v_pk_fma_f16 v17, v10, v15, v17
	v_pk_fma_f16 v12, v11, v15, v12
	v_mul_u32_u24_e32 v15, 0x10001, v44
	v_pk_fma_f16 v18, v10, v15, v18
	v_pk_fma_f16 v14, v11, v15, v14
	v_mul_u32_u24_e32 v15, 0x10001, v41
	s_delay_alu instid0(VALU_DEP_1)
	v_pk_fma_f16 v36, v10, v15, v8
	v_pk_fma_f16 v15, v11, v15, v9
	ds_load_b128 v[8:11], v35 offset:19216
	s_wait_dscnt 0x0
	v_lshrrev_b32_e32 v37, 16, v8
	v_and_b32_e32 v8, 0xffff, v8
	v_lshrrev_b32_e32 v38, 16, v9
	v_and_b32_e32 v39, 0xffff, v9
	v_lshrrev_b32_e32 v40, 16, v10
	v_lshrrev_b32_e32 v41, 16, v11
	v_and_b32_e32 v42, 0xffff, v10
	v_and_b32_e32 v44, 0xffff, v11
	v_mul_u32_u24_e32 v49, 0x10001, v8
	ds_load_2addr_b64 v[8:11], v43 offset0:64 offset1:96
	v_mul_u32_u24_e32 v37, 0x10001, v37
	s_wait_dscnt 0x0
	s_delay_alu instid0(VALU_DEP_1) | instskip(SKIP_4) | instid1(VALU_DEP_3)
	v_pk_fma_f16 v17, v8, v37, v17
	v_pk_fma_f16 v12, v9, v37, v12
	v_mul_u32_u24_e32 v37, 0x10001, v39
	v_pk_fma_f16 v16, v8, v49, v16
	v_pk_fma_f16 v13, v9, v49, v13
	v_pk_fma_f16 v18, v8, v37, v18
	v_pk_fma_f16 v14, v9, v37, v14
	v_mul_u32_u24_e32 v37, 0x10001, v38
	s_delay_alu instid0(VALU_DEP_1) | instskip(SKIP_2) | instid1(VALU_DEP_2)
	v_pk_fma_f16 v9, v9, v37, v15
	v_mul_u32_u24_e32 v15, 0x10001, v42
	v_pk_fma_f16 v8, v8, v37, v36
	v_pk_fma_f16 v16, v10, v15, v16
	v_pk_fma_f16 v13, v11, v15, v13
	v_mul_u32_u24_e32 v15, 0x10001, v40
	s_delay_alu instid0(VALU_DEP_1) | instskip(SKIP_2) | instid1(VALU_DEP_1)
	v_pk_fma_f16 v17, v10, v15, v17
	v_pk_fma_f16 v12, v11, v15, v12
	v_mul_u32_u24_e32 v15, 0x10001, v44
	v_pk_fma_f16 v18, v10, v15, v18
	v_pk_fma_f16 v14, v11, v15, v14
	v_mul_u32_u24_e32 v15, 0x10001, v41
	s_delay_alu instid0(VALU_DEP_1)
	v_pk_fma_f16 v36, v10, v15, v8
	v_pk_fma_f16 v15, v11, v15, v9
	ds_load_b128 v[8:11], v35 offset:19232
	s_wait_dscnt 0x0
	v_lshrrev_b32_e32 v37, 16, v8
	v_and_b32_e32 v8, 0xffff, v8
	v_lshrrev_b32_e32 v38, 16, v9
	v_and_b32_e32 v39, 0xffff, v9
	v_lshrrev_b32_e32 v40, 16, v10
	v_lshrrev_b32_e32 v41, 16, v11
	v_and_b32_e32 v42, 0xffff, v10
	v_and_b32_e32 v44, 0xffff, v11
	v_mul_u32_u24_e32 v49, 0x10001, v8
	ds_load_2addr_b64 v[8:11], v43 offset0:128 offset1:160
	;; [unrolled: 40-line block ×3, first 2 shown]
	v_mul_u32_u24_e32 v37, 0x10001, v37
	s_wait_dscnt 0x0
	s_delay_alu instid0(VALU_DEP_1) | instskip(SKIP_4) | instid1(VALU_DEP_3)
	v_pk_fma_f16 v17, v8, v37, v17
	v_pk_fma_f16 v12, v9, v37, v12
	v_mul_u32_u24_e32 v37, 0x10001, v39
	v_pk_fma_f16 v16, v8, v49, v16
	v_pk_fma_f16 v13, v9, v49, v13
	v_pk_fma_f16 v18, v8, v37, v18
	v_pk_fma_f16 v14, v9, v37, v14
	v_mul_u32_u24_e32 v37, 0x10001, v38
	s_delay_alu instid0(VALU_DEP_1) | instskip(SKIP_2) | instid1(VALU_DEP_2)
	v_pk_fma_f16 v9, v9, v37, v15
	v_mul_u32_u24_e32 v15, 0x10001, v42
	v_pk_fma_f16 v8, v8, v37, v36
	v_pk_fma_f16 v16, v10, v15, v16
	;; [unrolled: 1-line block ×3, first 2 shown]
	v_mul_u32_u24_e32 v15, 0x10001, v40
	s_delay_alu instid0(VALU_DEP_1) | instskip(SKIP_2) | instid1(VALU_DEP_1)
	v_pk_fma_f16 v17, v10, v15, v17
	v_pk_fma_f16 v12, v11, v15, v12
	v_mul_u32_u24_e32 v15, 0x10001, v44
	v_pk_fma_f16 v18, v10, v15, v18
	v_pk_fma_f16 v14, v11, v15, v14
	v_mul_u32_u24_e32 v15, 0x10001, v41
	s_delay_alu instid0(VALU_DEP_1)
	v_pk_fma_f16 v36, v10, v15, v8
	v_pk_fma_f16 v15, v11, v15, v9
	ds_load_b128 v[8:11], v35 offset:19264
	s_wait_dscnt 0x0
	v_lshrrev_b32_e32 v37, 16, v8
	v_and_b32_e32 v8, 0xffff, v8
	v_lshrrev_b32_e32 v38, 16, v9
	v_and_b32_e32 v39, 0xffff, v9
	v_lshrrev_b32_e32 v40, 16, v10
	v_lshrrev_b32_e32 v41, 16, v11
	v_and_b32_e32 v42, 0xffff, v10
	v_and_b32_e32 v43, 0xffff, v11
	v_mul_u32_u24_e32 v44, 0x10001, v8
	ds_load_2addr_b64 v[8:11], v45 offset1:32
	v_mul_u32_u24_e32 v37, 0x10001, v37
	s_wait_dscnt 0x0
	s_delay_alu instid0(VALU_DEP_1) | instskip(SKIP_4) | instid1(VALU_DEP_3)
	v_pk_fma_f16 v17, v8, v37, v17
	v_pk_fma_f16 v12, v9, v37, v12
	v_mul_u32_u24_e32 v37, 0x10001, v39
	v_pk_fma_f16 v16, v8, v44, v16
	v_pk_fma_f16 v13, v9, v44, v13
	v_pk_fma_f16 v18, v8, v37, v18
	v_pk_fma_f16 v14, v9, v37, v14
	v_mul_u32_u24_e32 v37, 0x10001, v38
	s_delay_alu instid0(VALU_DEP_1) | instskip(SKIP_2) | instid1(VALU_DEP_2)
	v_pk_fma_f16 v9, v9, v37, v15
	v_mul_u32_u24_e32 v15, 0x10001, v42
	v_pk_fma_f16 v8, v8, v37, v36
	v_pk_fma_f16 v16, v10, v15, v16
	v_pk_fma_f16 v13, v11, v15, v13
	v_mul_u32_u24_e32 v15, 0x10001, v40
	s_delay_alu instid0(VALU_DEP_1) | instskip(SKIP_2) | instid1(VALU_DEP_1)
	v_pk_fma_f16 v17, v10, v15, v17
	v_pk_fma_f16 v12, v11, v15, v12
	v_mul_u32_u24_e32 v15, 0x10001, v43
	v_pk_fma_f16 v18, v10, v15, v18
	v_pk_fma_f16 v14, v11, v15, v14
	v_mul_u32_u24_e32 v15, 0x10001, v41
	s_delay_alu instid0(VALU_DEP_1)
	v_pk_fma_f16 v36, v10, v15, v8
	v_pk_fma_f16 v15, v11, v15, v9
	ds_load_b128 v[8:11], v35 offset:19280
	s_wait_dscnt 0x0
	v_lshrrev_b32_e32 v37, 16, v8
	v_and_b32_e32 v8, 0xffff, v8
	v_lshrrev_b32_e32 v38, 16, v9
	v_and_b32_e32 v39, 0xffff, v9
	v_lshrrev_b32_e32 v40, 16, v10
	v_lshrrev_b32_e32 v41, 16, v11
	v_and_b32_e32 v42, 0xffff, v10
	v_and_b32_e32 v43, 0xffff, v11
	v_mul_u32_u24_e32 v44, 0x10001, v8
	ds_load_2addr_b64 v[8:11], v45 offset0:64 offset1:96
	v_mul_u32_u24_e32 v37, 0x10001, v37
	s_wait_dscnt 0x0
	s_delay_alu instid0(VALU_DEP_1) | instskip(SKIP_4) | instid1(VALU_DEP_3)
	v_pk_fma_f16 v17, v8, v37, v17
	v_pk_fma_f16 v12, v9, v37, v12
	v_mul_u32_u24_e32 v37, 0x10001, v39
	v_pk_fma_f16 v16, v8, v44, v16
	v_pk_fma_f16 v13, v9, v44, v13
	v_pk_fma_f16 v18, v8, v37, v18
	v_pk_fma_f16 v14, v9, v37, v14
	v_mul_u32_u24_e32 v37, 0x10001, v38
	s_delay_alu instid0(VALU_DEP_1) | instskip(SKIP_2) | instid1(VALU_DEP_2)
	v_pk_fma_f16 v9, v9, v37, v15
	v_mul_u32_u24_e32 v15, 0x10001, v42
	v_pk_fma_f16 v8, v8, v37, v36
	v_pk_fma_f16 v16, v10, v15, v16
	v_pk_fma_f16 v13, v11, v15, v13
	v_mul_u32_u24_e32 v15, 0x10001, v40
	s_delay_alu instid0(VALU_DEP_1) | instskip(SKIP_2) | instid1(VALU_DEP_1)
	v_pk_fma_f16 v17, v10, v15, v17
	v_pk_fma_f16 v12, v11, v15, v12
	v_mul_u32_u24_e32 v15, 0x10001, v43
	v_pk_fma_f16 v18, v10, v15, v18
	v_pk_fma_f16 v14, v11, v15, v14
	v_mul_u32_u24_e32 v15, 0x10001, v41
	s_delay_alu instid0(VALU_DEP_1)
	v_pk_fma_f16 v36, v10, v15, v8
	v_pk_fma_f16 v15, v11, v15, v9
	ds_load_b128 v[8:11], v35 offset:19296
	s_wait_dscnt 0x0
	v_lshrrev_b32_e32 v37, 16, v8
	v_and_b32_e32 v8, 0xffff, v8
	v_lshrrev_b32_e32 v38, 16, v9
	v_and_b32_e32 v39, 0xffff, v9
	v_lshrrev_b32_e32 v40, 16, v10
	v_lshrrev_b32_e32 v41, 16, v11
	v_and_b32_e32 v42, 0xffff, v10
	v_and_b32_e32 v43, 0xffff, v11
	v_mul_u32_u24_e32 v44, 0x10001, v8
	ds_load_2addr_b64 v[8:11], v45 offset0:128 offset1:160
	;; [unrolled: 40-line block ×3, first 2 shown]
	v_mul_u32_u24_e32 v37, 0x10001, v37
	s_wait_dscnt 0x0
	s_delay_alu instid0(VALU_DEP_1) | instskip(SKIP_4) | instid1(VALU_DEP_3)
	v_pk_fma_f16 v17, v8, v37, v17
	v_pk_fma_f16 v12, v9, v37, v12
	v_mul_u32_u24_e32 v37, 0x10001, v39
	v_pk_fma_f16 v16, v8, v44, v16
	v_pk_fma_f16 v13, v9, v44, v13
	;; [unrolled: 1-line block ×4, first 2 shown]
	v_mul_u32_u24_e32 v37, 0x10001, v38
	s_delay_alu instid0(VALU_DEP_1) | instskip(SKIP_2) | instid1(VALU_DEP_2)
	v_pk_fma_f16 v9, v9, v37, v15
	v_mul_u32_u24_e32 v15, 0x10001, v42
	v_pk_fma_f16 v8, v8, v37, v36
	v_pk_fma_f16 v16, v10, v15, v16
	;; [unrolled: 1-line block ×3, first 2 shown]
	v_mul_u32_u24_e32 v15, 0x10001, v40
	s_delay_alu instid0(VALU_DEP_1) | instskip(SKIP_2) | instid1(VALU_DEP_1)
	v_pk_fma_f16 v17, v10, v15, v17
	v_pk_fma_f16 v12, v11, v15, v12
	v_mul_u32_u24_e32 v15, 0x10001, v43
	v_pk_fma_f16 v18, v10, v15, v18
	v_pk_fma_f16 v14, v11, v15, v14
	v_mul_u32_u24_e32 v15, 0x10001, v41
	s_delay_alu instid0(VALU_DEP_1)
	v_pk_fma_f16 v36, v10, v15, v8
	v_pk_fma_f16 v15, v11, v15, v9
	ds_load_b128 v[8:11], v35 offset:19328
	s_wait_dscnt 0x0
	v_lshrrev_b32_e32 v37, 16, v8
	v_and_b32_e32 v8, 0xffff, v8
	v_lshrrev_b32_e32 v38, 16, v9
	v_and_b32_e32 v39, 0xffff, v9
	v_lshrrev_b32_e32 v40, 16, v10
	v_lshrrev_b32_e32 v41, 16, v11
	v_and_b32_e32 v42, 0xffff, v10
	v_and_b32_e32 v43, 0xffff, v11
	v_mul_u32_u24_e32 v44, 0x10001, v8
	ds_load_2addr_b64 v[8:11], v46 offset1:32
	v_mul_u32_u24_e32 v37, 0x10001, v37
	s_wait_dscnt 0x0
	s_delay_alu instid0(VALU_DEP_1) | instskip(SKIP_4) | instid1(VALU_DEP_3)
	v_pk_fma_f16 v17, v8, v37, v17
	v_pk_fma_f16 v12, v9, v37, v12
	v_mul_u32_u24_e32 v37, 0x10001, v39
	v_pk_fma_f16 v16, v8, v44, v16
	v_pk_fma_f16 v13, v9, v44, v13
	v_pk_fma_f16 v18, v8, v37, v18
	v_pk_fma_f16 v14, v9, v37, v14
	v_mul_u32_u24_e32 v37, 0x10001, v38
	s_delay_alu instid0(VALU_DEP_1) | instskip(SKIP_2) | instid1(VALU_DEP_2)
	v_pk_fma_f16 v9, v9, v37, v15
	v_mul_u32_u24_e32 v15, 0x10001, v42
	v_pk_fma_f16 v8, v8, v37, v36
	v_pk_fma_f16 v16, v10, v15, v16
	v_pk_fma_f16 v13, v11, v15, v13
	v_mul_u32_u24_e32 v15, 0x10001, v40
	s_delay_alu instid0(VALU_DEP_1) | instskip(SKIP_2) | instid1(VALU_DEP_1)
	v_pk_fma_f16 v17, v10, v15, v17
	v_pk_fma_f16 v12, v11, v15, v12
	v_mul_u32_u24_e32 v15, 0x10001, v43
	v_pk_fma_f16 v18, v10, v15, v18
	v_pk_fma_f16 v14, v11, v15, v14
	v_mul_u32_u24_e32 v15, 0x10001, v41
	s_delay_alu instid0(VALU_DEP_1)
	v_pk_fma_f16 v36, v10, v15, v8
	v_pk_fma_f16 v15, v11, v15, v9
	ds_load_b128 v[8:11], v35 offset:19344
	s_wait_dscnt 0x0
	v_lshrrev_b32_e32 v37, 16, v8
	v_and_b32_e32 v8, 0xffff, v8
	v_lshrrev_b32_e32 v38, 16, v9
	v_and_b32_e32 v39, 0xffff, v9
	v_lshrrev_b32_e32 v40, 16, v10
	v_lshrrev_b32_e32 v41, 16, v11
	v_and_b32_e32 v42, 0xffff, v10
	v_and_b32_e32 v43, 0xffff, v11
	v_mul_u32_u24_e32 v44, 0x10001, v8
	ds_load_2addr_b64 v[8:11], v46 offset0:64 offset1:96
	v_mul_u32_u24_e32 v37, 0x10001, v37
	s_wait_dscnt 0x0
	s_delay_alu instid0(VALU_DEP_1) | instskip(SKIP_4) | instid1(VALU_DEP_3)
	v_pk_fma_f16 v17, v8, v37, v17
	v_pk_fma_f16 v12, v9, v37, v12
	v_mul_u32_u24_e32 v37, 0x10001, v39
	v_pk_fma_f16 v16, v8, v44, v16
	v_pk_fma_f16 v13, v9, v44, v13
	v_pk_fma_f16 v18, v8, v37, v18
	v_pk_fma_f16 v14, v9, v37, v14
	v_mul_u32_u24_e32 v37, 0x10001, v38
	s_delay_alu instid0(VALU_DEP_1) | instskip(SKIP_2) | instid1(VALU_DEP_2)
	v_pk_fma_f16 v9, v9, v37, v15
	v_mul_u32_u24_e32 v15, 0x10001, v42
	v_pk_fma_f16 v8, v8, v37, v36
	v_pk_fma_f16 v16, v10, v15, v16
	v_pk_fma_f16 v13, v11, v15, v13
	v_mul_u32_u24_e32 v15, 0x10001, v40
	s_delay_alu instid0(VALU_DEP_1) | instskip(SKIP_2) | instid1(VALU_DEP_1)
	v_pk_fma_f16 v17, v10, v15, v17
	v_pk_fma_f16 v12, v11, v15, v12
	v_mul_u32_u24_e32 v15, 0x10001, v43
	v_pk_fma_f16 v18, v10, v15, v18
	v_pk_fma_f16 v14, v11, v15, v14
	v_mul_u32_u24_e32 v15, 0x10001, v41
	s_delay_alu instid0(VALU_DEP_1)
	v_pk_fma_f16 v36, v10, v15, v8
	v_pk_fma_f16 v15, v11, v15, v9
	ds_load_b128 v[8:11], v35 offset:19360
	s_wait_dscnt 0x0
	v_lshrrev_b32_e32 v37, 16, v8
	v_and_b32_e32 v8, 0xffff, v8
	v_lshrrev_b32_e32 v38, 16, v9
	v_and_b32_e32 v39, 0xffff, v9
	v_lshrrev_b32_e32 v40, 16, v10
	v_lshrrev_b32_e32 v41, 16, v11
	v_and_b32_e32 v42, 0xffff, v10
	v_and_b32_e32 v43, 0xffff, v11
	v_mul_u32_u24_e32 v44, 0x10001, v8
	ds_load_2addr_b64 v[8:11], v46 offset0:128 offset1:160
	;; [unrolled: 40-line block ×3, first 2 shown]
	v_mul_u32_u24_e32 v37, 0x10001, v37
	s_wait_dscnt 0x0
	s_delay_alu instid0(VALU_DEP_1) | instskip(SKIP_4) | instid1(VALU_DEP_3)
	v_pk_fma_f16 v17, v8, v37, v17
	v_pk_fma_f16 v12, v9, v37, v12
	v_mul_u32_u24_e32 v37, 0x10001, v39
	v_pk_fma_f16 v16, v8, v44, v16
	v_pk_fma_f16 v13, v9, v44, v13
	;; [unrolled: 1-line block ×4, first 2 shown]
	v_mul_u32_u24_e32 v37, 0x10001, v38
	s_delay_alu instid0(VALU_DEP_1) | instskip(SKIP_2) | instid1(VALU_DEP_2)
	v_pk_fma_f16 v9, v9, v37, v15
	v_mul_u32_u24_e32 v15, 0x10001, v42
	v_pk_fma_f16 v8, v8, v37, v36
	v_pk_fma_f16 v16, v10, v15, v16
	;; [unrolled: 1-line block ×3, first 2 shown]
	v_mul_u32_u24_e32 v15, 0x10001, v40
	s_delay_alu instid0(VALU_DEP_1) | instskip(SKIP_2) | instid1(VALU_DEP_1)
	v_pk_fma_f16 v17, v10, v15, v17
	v_pk_fma_f16 v12, v11, v15, v12
	v_mul_u32_u24_e32 v15, 0x10001, v43
	v_pk_fma_f16 v18, v10, v15, v18
	v_pk_fma_f16 v14, v11, v15, v14
	v_mul_u32_u24_e32 v15, 0x10001, v41
	s_delay_alu instid0(VALU_DEP_1)
	v_pk_fma_f16 v36, v10, v15, v8
	v_pk_fma_f16 v15, v11, v15, v9
	ds_load_b128 v[8:11], v35 offset:19392
	s_wait_dscnt 0x0
	v_lshrrev_b32_e32 v37, 16, v8
	v_and_b32_e32 v8, 0xffff, v8
	v_lshrrev_b32_e32 v38, 16, v9
	v_and_b32_e32 v39, 0xffff, v9
	v_lshrrev_b32_e32 v40, 16, v10
	v_lshrrev_b32_e32 v41, 16, v11
	v_and_b32_e32 v42, 0xffff, v10
	v_and_b32_e32 v43, 0xffff, v11
	v_mul_u32_u24_e32 v44, 0x10001, v8
	ds_load_2addr_b64 v[8:11], v47 offset1:32
	v_mul_u32_u24_e32 v37, 0x10001, v37
	s_wait_dscnt 0x0
	s_delay_alu instid0(VALU_DEP_1) | instskip(SKIP_4) | instid1(VALU_DEP_3)
	v_pk_fma_f16 v17, v8, v37, v17
	v_pk_fma_f16 v12, v9, v37, v12
	v_mul_u32_u24_e32 v37, 0x10001, v39
	v_pk_fma_f16 v16, v8, v44, v16
	v_pk_fma_f16 v13, v9, v44, v13
	v_pk_fma_f16 v18, v8, v37, v18
	v_pk_fma_f16 v14, v9, v37, v14
	v_mul_u32_u24_e32 v37, 0x10001, v38
	s_delay_alu instid0(VALU_DEP_1) | instskip(SKIP_2) | instid1(VALU_DEP_2)
	v_pk_fma_f16 v9, v9, v37, v15
	v_mul_u32_u24_e32 v15, 0x10001, v42
	v_pk_fma_f16 v8, v8, v37, v36
	v_pk_fma_f16 v16, v10, v15, v16
	v_pk_fma_f16 v13, v11, v15, v13
	v_mul_u32_u24_e32 v15, 0x10001, v40
	s_delay_alu instid0(VALU_DEP_1) | instskip(SKIP_2) | instid1(VALU_DEP_1)
	v_pk_fma_f16 v17, v10, v15, v17
	v_pk_fma_f16 v12, v11, v15, v12
	v_mul_u32_u24_e32 v15, 0x10001, v43
	v_pk_fma_f16 v18, v10, v15, v18
	v_pk_fma_f16 v14, v11, v15, v14
	v_mul_u32_u24_e32 v15, 0x10001, v41
	s_delay_alu instid0(VALU_DEP_1)
	v_pk_fma_f16 v36, v10, v15, v8
	v_pk_fma_f16 v15, v11, v15, v9
	ds_load_b128 v[8:11], v35 offset:19408
	s_wait_dscnt 0x0
	v_lshrrev_b32_e32 v37, 16, v8
	v_and_b32_e32 v8, 0xffff, v8
	v_lshrrev_b32_e32 v38, 16, v9
	v_and_b32_e32 v39, 0xffff, v9
	v_lshrrev_b32_e32 v40, 16, v10
	v_lshrrev_b32_e32 v41, 16, v11
	v_and_b32_e32 v42, 0xffff, v10
	v_and_b32_e32 v43, 0xffff, v11
	v_mul_u32_u24_e32 v44, 0x10001, v8
	ds_load_2addr_b64 v[8:11], v47 offset0:64 offset1:96
	v_mul_u32_u24_e32 v37, 0x10001, v37
	s_wait_dscnt 0x0
	s_delay_alu instid0(VALU_DEP_1) | instskip(SKIP_4) | instid1(VALU_DEP_3)
	v_pk_fma_f16 v17, v8, v37, v17
	v_pk_fma_f16 v12, v9, v37, v12
	v_mul_u32_u24_e32 v37, 0x10001, v39
	v_pk_fma_f16 v16, v8, v44, v16
	v_pk_fma_f16 v13, v9, v44, v13
	v_pk_fma_f16 v18, v8, v37, v18
	v_pk_fma_f16 v14, v9, v37, v14
	v_mul_u32_u24_e32 v37, 0x10001, v38
	s_delay_alu instid0(VALU_DEP_1) | instskip(SKIP_2) | instid1(VALU_DEP_2)
	v_pk_fma_f16 v9, v9, v37, v15
	v_mul_u32_u24_e32 v15, 0x10001, v42
	v_pk_fma_f16 v8, v8, v37, v36
	v_pk_fma_f16 v16, v10, v15, v16
	v_pk_fma_f16 v13, v11, v15, v13
	v_mul_u32_u24_e32 v15, 0x10001, v40
	s_delay_alu instid0(VALU_DEP_1) | instskip(SKIP_2) | instid1(VALU_DEP_1)
	v_pk_fma_f16 v17, v10, v15, v17
	v_pk_fma_f16 v12, v11, v15, v12
	v_mul_u32_u24_e32 v15, 0x10001, v43
	v_pk_fma_f16 v18, v10, v15, v18
	v_pk_fma_f16 v14, v11, v15, v14
	v_mul_u32_u24_e32 v15, 0x10001, v41
	s_delay_alu instid0(VALU_DEP_1)
	v_pk_fma_f16 v36, v10, v15, v8
	v_pk_fma_f16 v15, v11, v15, v9
	ds_load_b128 v[8:11], v35 offset:19424
	s_wait_dscnt 0x0
	v_lshrrev_b32_e32 v37, 16, v8
	v_and_b32_e32 v8, 0xffff, v8
	v_lshrrev_b32_e32 v38, 16, v9
	v_and_b32_e32 v39, 0xffff, v9
	v_lshrrev_b32_e32 v40, 16, v10
	v_lshrrev_b32_e32 v41, 16, v11
	v_and_b32_e32 v42, 0xffff, v10
	v_and_b32_e32 v43, 0xffff, v11
	v_mul_u32_u24_e32 v44, 0x10001, v8
	ds_load_2addr_b64 v[8:11], v47 offset0:128 offset1:160
	;; [unrolled: 40-line block ×3, first 2 shown]
	v_mul_u32_u24_e32 v35, 0x10001, v35
	s_wait_loadcnt_dscnt 0x0
	s_barrier_signal -1
	s_barrier_wait -1
	global_inv scope:SCOPE_SE
	v_pk_fma_f16 v17, v8, v35, v17
	v_pk_fma_f16 v12, v9, v35, v12
	v_mul_u32_u24_e32 v35, 0x10001, v38
	v_pk_fma_f16 v13, v9, v43, v13
	v_pk_fma_f16 v16, v8, v43, v16
	s_delay_alu instid0(VALU_DEP_3) | instskip(SKIP_2) | instid1(VALU_DEP_1)
	v_pk_fma_f16 v18, v8, v35, v18
	v_pk_fma_f16 v14, v9, v35, v14
	v_mul_u32_u24_e32 v35, 0x10001, v37
	v_pk_fma_f16 v9, v9, v35, v15
	v_mul_u32_u24_e32 v15, 0x10001, v41
	v_pk_fma_f16 v8, v8, v35, v36
	s_delay_alu instid0(VALU_DEP_2) | instskip(SKIP_2) | instid1(VALU_DEP_2)
	v_pk_fma_f16 v49, v11, v15, v13
	v_mul_u32_u24_e32 v13, 0x10001, v39
	v_pk_fma_f16 v47, v10, v15, v16
	v_pk_fma_f16 v46, v11, v13, v12
	v_mul_u32_u24_e32 v12, 0x10001, v42
	v_pk_fma_f16 v45, v10, v13, v17
	s_delay_alu instid0(VALU_DEP_2) | instskip(SKIP_2) | instid1(VALU_DEP_1)
	v_pk_fma_f16 v42, v10, v12, v18
	v_pk_fma_f16 v43, v11, v12, v14
	v_mul_u32_u24_e32 v12, 0x10001, v40
	v_pk_fma_f16 v41, v10, v12, v8
	v_add_f32_e32 v8, v52, v61
	v_pk_fma_f16 v40, v11, v12, v9
	s_delay_alu instid0(VALU_DEP_2) | instskip(NEXT) | instid1(VALU_DEP_1)
	v_add_f32_e32 v8, v65, v8
	v_add_f32_e32 v8, v69, v8
	s_delay_alu instid0(VALU_DEP_1) | instskip(SKIP_1) | instid1(VALU_DEP_2)
	v_fmac_f32_e32 v8, v20, v0
	v_add_f32_e32 v0, v51, v60
	v_mov_b32_e32 v20, v8
	s_delay_alu instid0(VALU_DEP_2) | instskip(NEXT) | instid1(VALU_DEP_1)
	v_add_f32_e32 v0, v64, v0
	v_add_f32_e32 v0, v68, v0
	s_delay_alu instid0(VALU_DEP_1) | instskip(NEXT) | instid1(VALU_DEP_1)
	v_fmac_f32_e32 v0, v22, v1
	v_dual_add_f32 v1, v50, v54 :: v_dual_mov_b32 v22, v0
	s_delay_alu instid0(VALU_DEP_1) | instskip(NEXT) | instid1(VALU_DEP_1)
	v_add_f32_e32 v1, v63, v1
	v_add_f32_e32 v1, v67, v1
	s_delay_alu instid0(VALU_DEP_1) | instskip(NEXT) | instid1(VALU_DEP_1)
	v_dual_fmac_f32 v1, v23, v2 :: v_dual_add_f32 v2, v48, v53
	v_dual_mov_b32 v23, v1 :: v_dual_add_f32 v2, v62, v2
	s_delay_alu instid0(VALU_DEP_1) | instskip(NEXT) | instid1(VALU_DEP_1)
	v_add_f32_e32 v2, v66, v2
	v_fmac_f32_e32 v2, v21, v3
	s_delay_alu instid0(VALU_DEP_1)
	v_dual_mov_b32 v21, v2 :: v_dual_mov_b32 v0, v4
	v_dual_mov_b32 v1, v5 :: v_dual_mov_b32 v2, v6
	v_mov_b32_e32 v3, v7
.LBB87_260:
	v_cmp_lt_i32_e32 vcc_lo, v59, v19
	s_cmp_eq_u64 s[12:13], 0
	s_cselect_b32 s2, -1, 0
	s_cmp_lg_u32 s10, 0
	s_wait_alu 0xfffd
	v_cndmask_b32_e32 v4, v34, v59, vcc_lo
	v_cmp_lt_i32_e32 vcc_lo, v58, v19
	s_cselect_b32 s3, -1, 0
	s_wait_alu 0xfffe
	s_or_b32 s2, s3, s2
	v_lshlrev_b32_e32 v4, 2, v4
	ds_bpermute_b32 v7, v4, v23
	s_wait_dscnt 0x0
	v_add_f32_e32 v7, v23, v7
	ds_bpermute_b32 v5, v4, v20
	ds_bpermute_b32 v6, v4, v22
	;; [unrolled: 1-line block ×3, first 2 shown]
	s_wait_dscnt 0x2
	s_wait_alu 0xfffd
	v_dual_add_f32 v5, v20, v5 :: v_dual_cndmask_b32 v8, v34, v58
	v_cmp_lt_i32_e32 vcc_lo, v57, v19
	s_delay_alu instid0(VALU_DEP_2)
	v_lshlrev_b32_e32 v8, 2, v8
	s_wait_alu 0xfffd
	v_cndmask_b32_e32 v12, v34, v57, vcc_lo
	v_cmp_lt_i32_e32 vcc_lo, v56, v19
	ds_bpermute_b32 v11, v8, v7
	s_wait_dscnt 0x0
	v_dual_add_f32 v7, v7, v11 :: v_dual_lshlrev_b32 v12, 2, v12
	ds_bpermute_b32 v9, v8, v5
	v_add_f32_e32 v4, v21, v4
	s_wait_dscnt 0x0
	v_dual_add_f32 v5, v5, v9 :: v_dual_add_f32 v6, v22, v6
	ds_bpermute_b32 v10, v8, v6
	ds_bpermute_b32 v8, v8, v4
	s_wait_dscnt 0x0
	v_add_f32_e32 v4, v4, v8
	ds_bpermute_b32 v8, v12, v5
	ds_bpermute_b32 v11, v12, v4
	s_wait_dscnt 0x1
	v_dual_add_f32 v5, v5, v8 :: v_dual_add_f32 v6, v6, v10
	ds_bpermute_b32 v10, v12, v7
	s_wait_dscnt 0x1
	v_add_f32_e32 v4, v4, v11
	ds_bpermute_b32 v9, v12, v6
	s_wait_alu 0xfffd
	v_cndmask_b32_e32 v12, v34, v56, vcc_lo
	v_cmp_lt_i32_e32 vcc_lo, v55, v19
	s_delay_alu instid0(VALU_DEP_2)
	v_lshlrev_b32_e32 v12, 2, v12
	ds_bpermute_b32 v8, v12, v5
	ds_bpermute_b32 v11, v12, v4
	s_wait_dscnt 0x2
	v_dual_add_f32 v7, v7, v10 :: v_dual_add_f32 v6, v6, v9
	ds_bpermute_b32 v10, v12, v7
	ds_bpermute_b32 v9, v12, v6
	s_wait_alu 0xfffd
	v_cndmask_b32_e32 v12, v34, v55, vcc_lo
	s_wait_alu 0xfffe
	s_and_b32 vcc_lo, exec_lo, s2
	s_delay_alu instid0(VALU_DEP_1)
	v_lshlrev_b32_e32 v12, 2, v12
	s_wait_dscnt 0x2
	v_dual_add_f32 v5, v5, v8 :: v_dual_add_f32 v8, v4, v11
	ds_bpermute_b32 v4, v12, v5
	ds_bpermute_b32 v11, v12, v8
	s_wait_dscnt 0x2
	v_dual_add_f32 v7, v7, v10 :: v_dual_add_f32 v6, v6, v9
	ds_bpermute_b32 v10, v12, v7
	ds_bpermute_b32 v9, v12, v6
	s_wait_dscnt 0x0
	v_dual_add_f32 v4, v5, v4 :: v_dual_add_f32 v5, v6, v9
	v_dual_add_f32 v6, v7, v10 :: v_dual_add_f32 v7, v8, v11
	s_wait_alu 0xfffe
	s_cbranch_vccnz .LBB87_262
; %bb.261:
	v_dual_mov_b32 v8, 0 :: v_dual_max_num_f32 v9, v0, v0
	s_lshl_b64 s[2:3], s[34:35], 2
	v_dual_max_num_f32 v14, v2, v2 :: v_dual_max_num_f32 v15, v3, v3
	s_wait_alu 0xfffe
	s_add_nc_u64 s[2:3], s[12:13], s[2:3]
	v_max_num_f32_e32 v11, v1, v1
	global_load_b32 v8, v8, s[2:3]
	s_wait_loadcnt 0x0
	v_max_num_f32_e32 v10, v8, v8
	s_delay_alu instid0(VALU_DEP_1) | instskip(NEXT) | instid1(VALU_DEP_1)
	v_max_num_f32_e32 v15, v15, v10
	v_dual_max_num_f32 v12, v9, v10 :: v_dual_sub_f32 v3, v3, v15
	s_delay_alu instid0(VALU_DEP_1) | instskip(SKIP_1) | instid1(VALU_DEP_2)
	v_dual_max_num_f32 v13, v11, v10 :: v_dual_sub_f32 v0, v0, v12
	v_dual_max_num_f32 v14, v14, v10 :: v_dual_sub_f32 v9, v8, v12
	v_sub_f32_e32 v1, v1, v13
	v_sub_f32_e32 v10, v8, v13
	s_delay_alu instid0(VALU_DEP_3) | instskip(NEXT) | instid1(VALU_DEP_4)
	v_sub_f32_e32 v11, v8, v14
	v_dual_sub_f32 v16, v8, v15 :: v_dual_mul_f32 v17, 0x3fb8aa3b, v9
	v_mul_f32_e32 v8, 0x3fb8aa3b, v0
	v_sub_f32_e32 v2, v2, v14
	v_dual_mul_f32 v18, 0x3fb8aa3b, v1 :: v_dual_mul_f32 v19, 0x3fb8aa3b, v10
	s_delay_alu instid0(VALU_DEP_4) | instskip(NEXT) | instid1(VALU_DEP_4)
	v_dual_mul_f32 v22, 0x3fb8aa3b, v3 :: v_dual_mul_f32 v23, 0x3fb8aa3b, v16
	v_fma_f32 v34, 0x3fb8aa3b, v0, -v8
	v_rndne_f32_e32 v35, v8
	v_fma_f32 v36, 0x3fb8aa3b, v9, -v17
	v_rndne_f32_e32 v37, v17
	;; [unrolled: 2-line block ×3, first 2 shown]
	v_rndne_f32_e32 v57, v23
	s_delay_alu instid0(VALU_DEP_4) | instskip(NEXT) | instid1(VALU_DEP_3)
	v_dual_fmac_f32 v34, 0x32a5705f, v0 :: v_dual_sub_f32 v17, v17, v37
	v_dual_sub_f32 v8, v8, v35 :: v_dual_sub_f32 v19, v19, v48
	v_dual_mul_f32 v20, 0x3fb8aa3b, v2 :: v_dual_mul_f32 v21, 0x3fb8aa3b, v11
	v_fma_f32 v38, 0x3fb8aa3b, v1, -v18
	v_rndne_f32_e32 v39, v18
	v_fma_f32 v56, 0x3fb8aa3b, v16, -v23
	v_dual_fmac_f32 v44, 0x32a5705f, v10 :: v_dual_sub_f32 v23, v23, v57
	v_fmac_f32_e32 v36, 0x32a5705f, v9
	v_add_f32_e32 v8, v8, v34
	v_rndne_f32_e32 v53, v21
	s_delay_alu instid0(VALU_DEP_4) | instskip(NEXT) | instid1(VALU_DEP_4)
	v_dual_sub_f32 v18, v18, v39 :: v_dual_add_f32 v19, v19, v44
	v_dual_fmac_f32 v38, 0x32a5705f, v1 :: v_dual_add_f32 v17, v17, v36
	s_delay_alu instid0(VALU_DEP_4) | instskip(SKIP_2) | instid1(VALU_DEP_3)
	v_exp_f32_e32 v8, v8
	v_fma_f32 v52, 0x3fb8aa3b, v11, -v21
	v_cvt_i32_f32_e32 v35, v35
	v_dual_sub_f32 v21, v21, v53 :: v_dual_add_f32 v18, v18, v38
	v_exp_f32_e32 v17, v17
	v_cvt_i32_f32_e32 v37, v37
	v_cmp_ngt_f32_e32 vcc_lo, 0xc2ce8ed0, v0
	v_cvt_i32_f32_e32 v39, v39
	v_exp_f32_e32 v18, v18
	s_delay_alu instid0(TRANS32_DEP_3)
	v_ldexp_f32 v8, v8, v35
	v_exp_f32_e32 v19, v19
	v_cvt_i32_f32_e32 v48, v48
	v_fma_f32 v50, 0x3fb8aa3b, v2, -v20
	v_rndne_f32_e32 v51, v20
	v_ldexp_f32 v17, v17, v37
	s_wait_alu 0xfffd
	v_cndmask_b32_e32 v8, 0, v8, vcc_lo
	v_cmp_ngt_f32_e32 vcc_lo, 0xc2ce8ed0, v9
	v_fmac_f32_e32 v52, 0x32a5705f, v11
	v_ldexp_f32 v18, v18, v39
	v_fma_f32 v54, 0x3fb8aa3b, v3, -v22
	v_ldexp_f32 v19, v19, v48
	s_wait_alu 0xfffd
	v_cndmask_b32_e32 v17, 0, v17, vcc_lo
	v_cmp_ngt_f32_e32 vcc_lo, 0xc2ce8ed0, v1
	v_dual_fmac_f32 v50, 0x32a5705f, v2 :: v_dual_add_f32 v21, v21, v52
	v_rndne_f32_e32 v55, v22
	v_cvt_i32_f32_e32 v53, v53
	s_wait_alu 0xfffd
	v_cndmask_b32_e32 v18, 0, v18, vcc_lo
	v_cmp_ngt_f32_e32 vcc_lo, 0xc2ce8ed0, v10
	v_fmac_f32_e32 v56, 0x32a5705f, v16
	v_exp_f32_e32 v21, v21
	v_sub_f32_e32 v22, v22, v55
	v_cvt_i32_f32_e32 v34, v55
	s_wait_alu 0xfffd
	v_cndmask_b32_e32 v19, 0, v19, vcc_lo
	v_dual_sub_f32 v20, v20, v51 :: v_dual_add_f32 v23, v23, v56
	v_cvt_i32_f32_e32 v51, v51
	v_cmp_ngt_f32_e32 vcc_lo, 0xc2ce8ed0, v2
	v_cvt_i32_f32_e32 v36, v57
	s_delay_alu instid0(VALU_DEP_4) | instskip(SKIP_2) | instid1(VALU_DEP_2)
	v_add_f32_e32 v20, v20, v50
	v_ldexp_f32 v21, v21, v53
	v_exp_f32_e32 v23, v23
	v_exp_f32_e32 v20, v20
	s_delay_alu instid0(TRANS32_DEP_2) | instskip(NEXT) | instid1(TRANS32_DEP_1)
	v_ldexp_f32 v23, v23, v36
	v_ldexp_f32 v20, v20, v51
	s_wait_alu 0xfffd
	s_delay_alu instid0(VALU_DEP_1) | instskip(SKIP_3) | instid1(VALU_DEP_1)
	v_cndmask_b32_e32 v20, 0, v20, vcc_lo
	v_cmp_ngt_f32_e32 vcc_lo, 0xc2ce8ed0, v11
	s_wait_alu 0xfffd
	v_dual_fmac_f32 v54, 0x32a5705f, v3 :: v_dual_cndmask_b32 v21, 0, v21
	v_add_f32_e32 v22, v22, v54
	v_cmp_ngt_f32_e32 vcc_lo, 0xc2ce8ed0, v3
	s_delay_alu instid0(VALU_DEP_2) | instskip(NEXT) | instid1(TRANS32_DEP_1)
	v_exp_f32_e32 v22, v22
	v_ldexp_f32 v22, v22, v34
	s_wait_alu 0xfffd
	s_delay_alu instid0(VALU_DEP_1)
	v_cndmask_b32_e32 v22, 0, v22, vcc_lo
	v_cmp_ngt_f32_e32 vcc_lo, 0xc2ce8ed0, v16
	s_wait_alu 0xfffd
	v_cndmask_b32_e32 v23, 0, v23, vcc_lo
	v_cmp_nlt_f32_e32 vcc_lo, 0x42b17218, v0
	s_wait_alu 0xfffd
	v_cndmask_b32_e32 v0, 0x7f800000, v8, vcc_lo
	v_cmp_nlt_f32_e32 vcc_lo, 0x42b17218, v9
	;; [unrolled: 3-line block ×3, first 2 shown]
	s_wait_alu 0xfffd
	s_delay_alu instid0(VALU_DEP_2)
	v_dual_fmac_f32 v8, v4, v0 :: v_dual_cndmask_b32 v1, 0x7f800000, v18
	v_cmp_nlt_f32_e32 vcc_lo, 0x42b17218, v10
	s_wait_alu 0xfffd
	v_cndmask_b32_e32 v9, 0x7f800000, v19, vcc_lo
	v_cmp_nlt_f32_e32 vcc_lo, 0x42b17218, v2
	s_wait_alu 0xfffd
	s_delay_alu instid0(VALU_DEP_2)
	v_dual_fmac_f32 v9, v5, v1 :: v_dual_cndmask_b32 v2, 0x7f800000, v20
	v_cmp_nlt_f32_e32 vcc_lo, 0x42b17218, v11
	v_cvt_f16_f32_e32 v1, v1
	s_wait_alu 0xfffd
	v_cndmask_b32_e32 v10, 0x7f800000, v21, vcc_lo
	v_cmp_nlt_f32_e32 vcc_lo, 0x42b17218, v3
	s_delay_alu instid0(VALU_DEP_2)
	v_dual_fmac_f32 v10, v6, v2 :: v_dual_and_b32 v1, 0xffff, v1
	s_wait_alu 0xfffd
	v_cndmask_b32_e32 v3, 0x7f800000, v22, vcc_lo
	v_cmp_nlt_f32_e32 vcc_lo, 0x42b17218, v16
	v_cvt_f16_f32_e32 v2, v2
	v_mul_u32_u24_e32 v1, 0x10001, v1
	s_delay_alu instid0(VALU_DEP_4)
	v_cvt_f16_f32_e32 v4, v3
	s_wait_alu 0xfffd
	v_cndmask_b32_e32 v11, 0x7f800000, v23, vcc_lo
	v_and_b32_e32 v2, 0xffff, v2
	v_pk_mul_f16 v45, v45, v1
	v_pk_mul_f16 v46, v46, v1
	s_delay_alu instid0(VALU_DEP_4) | instskip(SKIP_3) | instid1(VALU_DEP_4)
	v_fmac_f32_e32 v11, v7, v3
	v_dual_mov_b32 v4, v8 :: v_dual_and_b32 v3, 0xffff, v4
	v_mul_u32_u24_e32 v2, 0x10001, v2
	v_mov_b32_e32 v5, v9
	v_mov_b32_e32 v7, v11
	v_cvt_f16_f32_e32 v0, v0
	v_mul_u32_u24_e32 v3, 0x10001, v3
	v_pk_mul_f16 v42, v42, v2
	v_pk_mul_f16 v43, v43, v2
	v_mov_b32_e32 v6, v10
	v_and_b32_e32 v0, 0xffff, v0
	v_pk_mul_f16 v41, v41, v3
	v_pk_mul_f16 v40, v40, v3
	s_delay_alu instid0(VALU_DEP_3) | instskip(NEXT) | instid1(VALU_DEP_1)
	v_mul_u32_u24_e32 v0, 0x10001, v0
	v_pk_mul_f16 v47, v47, v0
	v_pk_mul_f16 v49, v49, v0
	v_dual_mov_b32 v0, v12 :: v_dual_mov_b32 v1, v13
	v_dual_mov_b32 v2, v14 :: v_dual_mov_b32 v3, v15
	s_mov_b32 s2, exec_lo
	v_cmpx_gt_i32_e64 s22, v32
	s_cbranch_execnz .LBB87_263
	s_branch .LBB87_282
.LBB87_262:
	s_delay_alu instid0(VALU_DEP_2) | instskip(NEXT) | instid1(VALU_DEP_2)
	v_dual_mov_b32 v8, v4 :: v_dual_mov_b32 v9, v5
	v_dual_mov_b32 v10, v6 :: v_dual_mov_b32 v11, v7
	s_mov_b32 s2, exec_lo
	v_cmpx_gt_i32_e64 s22, v32
	s_cbranch_execz .LBB87_282
.LBB87_263:
	s_load_b32 s1, s[0:1], 0xd4
	v_mov_b32_e32 v14, 1.0
	s_wait_kmcnt 0x0
	s_cmp_lg_u32 s1, 1
	s_cselect_b32 s4, -1, 0
	s_cmp_eq_u32 s1, 1
	s_cselect_b32 s3, -1, 0
	s_wait_alu 0xfffe
	s_and_b32 vcc_lo, exec_lo, s4
	s_wait_alu 0xfffe
	s_cbranch_vccnz .LBB87_265
; %bb.264:
	v_div_scale_f32 v12, null, v8, v8, 1.0
	s_delay_alu instid0(VALU_DEP_1) | instskip(NEXT) | instid1(TRANS32_DEP_1)
	v_rcp_f32_e32 v13, v12
	v_fma_f32 v14, -v12, v13, 1.0
	s_delay_alu instid0(VALU_DEP_1) | instskip(SKIP_1) | instid1(VALU_DEP_1)
	v_fmac_f32_e32 v13, v14, v13
	v_div_scale_f32 v14, vcc_lo, 1.0, v8, 1.0
	v_mul_f32_e32 v15, v14, v13
	s_delay_alu instid0(VALU_DEP_1) | instskip(NEXT) | instid1(VALU_DEP_1)
	v_fma_f32 v16, -v12, v15, v14
	v_fmac_f32_e32 v15, v16, v13
	s_delay_alu instid0(VALU_DEP_1) | instskip(SKIP_1) | instid1(VALU_DEP_1)
	v_fma_f32 v12, -v12, v15, v14
	s_wait_alu 0xfffd
	v_div_fmas_f32 v12, v12, v13, v15
	s_delay_alu instid0(VALU_DEP_1)
	v_div_fixup_f32 v14, v12, v8, 1.0
.LBB87_265:
	s_mul_i32 s2, s36, s22
	v_cvt_f32_f16_e32 v17, v47
	s_wait_alu 0xfffe
	s_add_co_i32 s2, s2, s33
	v_cvt_f32_f16_e32 v18, v49
	s_wait_alu 0xfffe
	v_add_nc_u32_e32 v8, s2, v30
	v_mov_b32_e32 v16, 0
	v_cmp_eq_u32_e32 vcc_lo, 0, v33
	s_delay_alu instid0(VALU_DEP_3) | instskip(SKIP_1) | instid1(VALU_DEP_1)
	v_mad_co_u64_u32 v[12:13], null, v8, s23, s[34:35]
	v_lshrrev_b32_e32 v8, 16, v47
	v_cvt_f32_f16_e32 v8, v8
	s_delay_alu instid0(VALU_DEP_3) | instskip(SKIP_1) | instid1(VALU_DEP_1)
	v_mad_co_u64_u32 v[12:13], null, s1, v12, s[10:11]
	v_lshrrev_b32_e32 v13, 16, v49
	v_cvt_f32_f16_e32 v13, v13
	s_delay_alu instid0(VALU_DEP_3) | instskip(NEXT) | instid1(VALU_DEP_1)
	v_lshl_add_u32 v15, v12, 7, v29
	v_lshlrev_b64_e32 v[19:20], 2, v[15:16]
	v_mul_f32_e32 v15, v14, v17
	v_mul_f32_e32 v17, v14, v18
	v_mul_f32_e32 v18, v14, v13
	v_mul_f32_e32 v16, v14, v8
	v_add_co_u32 v13, s0, s16, v19
	s_wait_alu 0xf1ff
	v_add_co_ci_u32_e64 v14, null, s17, v20, s0
	s_and_b32 s0, vcc_lo, s4
	global_store_b128 v[13:14], v[15:18], off
	s_wait_alu 0xfffe
	s_and_saveexec_b32 s4, s0
	s_cbranch_execz .LBB87_267
; %bb.266:
	v_ashrrev_i32_e32 v13, 31, v12
	v_dual_mov_b32 v14, v0 :: v_dual_mov_b32 v15, v4
	s_delay_alu instid0(VALU_DEP_2) | instskip(NEXT) | instid1(VALU_DEP_1)
	v_lshlrev_b64_e32 v[12:13], 3, v[12:13]
	v_add_co_u32 v12, vcc_lo, s18, v12
	s_wait_alu 0xfffd
	s_delay_alu instid0(VALU_DEP_2)
	v_add_co_ci_u32_e64 v13, null, s19, v13, vcc_lo
	global_store_b64 v[12:13], v[14:15], off
.LBB87_267:
	s_wait_alu 0xfffe
	s_or_b32 exec_lo, exec_lo, s4
	v_cmp_gt_i32_e32 vcc_lo, s22, v31
	s_and_b32 exec_lo, exec_lo, vcc_lo
	s_cbranch_execz .LBB87_282
; %bb.268:
	v_cndmask_b32_e64 v12, 0, 1, s3
	v_mov_b32_e32 v0, 1.0
	s_and_not1_b32 vcc_lo, exec_lo, s3
	s_wait_alu 0xfffe
	s_cbranch_vccnz .LBB87_270
; %bb.269:
	v_div_scale_f32 v0, null, v9, v9, 1.0
	s_delay_alu instid0(VALU_DEP_1) | instskip(NEXT) | instid1(TRANS32_DEP_1)
	v_rcp_f32_e32 v4, v0
	v_fma_f32 v8, -v0, v4, 1.0
	s_delay_alu instid0(VALU_DEP_1) | instskip(SKIP_1) | instid1(VALU_DEP_1)
	v_fmac_f32_e32 v4, v8, v4
	v_div_scale_f32 v8, vcc_lo, 1.0, v9, 1.0
	v_mul_f32_e32 v13, v8, v4
	s_delay_alu instid0(VALU_DEP_1) | instskip(NEXT) | instid1(VALU_DEP_1)
	v_fma_f32 v14, -v0, v13, v8
	v_fmac_f32_e32 v13, v14, v4
	s_delay_alu instid0(VALU_DEP_1) | instskip(SKIP_1) | instid1(VALU_DEP_1)
	v_fma_f32 v0, -v0, v13, v8
	s_wait_alu 0xfffd
	v_div_fmas_f32 v0, v0, v4, v13
	s_delay_alu instid0(VALU_DEP_1)
	v_div_fixup_f32 v0, v0, v9, 1.0
.LBB87_270:
	v_cvt_f32_f16_e32 v16, v46
	v_add_nc_u32_e32 v4, s2, v27
	v_cvt_f32_f16_e32 v15, v45
	v_mov_b32_e32 v14, 0
	s_delay_alu instid0(VALU_DEP_3) | instskip(SKIP_1) | instid1(VALU_DEP_1)
	v_mad_co_u64_u32 v[8:9], null, v4, s23, s[34:35]
	v_lshrrev_b32_e32 v4, 16, v45
	v_cvt_f32_f16_e32 v4, v4
	s_delay_alu instid0(VALU_DEP_3) | instskip(SKIP_1) | instid1(VALU_DEP_1)
	v_mad_co_u64_u32 v[8:9], null, s1, v8, s[10:11]
	v_lshrrev_b32_e32 v9, 16, v46
	v_cvt_f32_f16_e32 v9, v9
	s_delay_alu instid0(VALU_DEP_3) | instskip(NEXT) | instid1(VALU_DEP_1)
	v_lshl_add_u32 v13, v8, 7, v29
	v_lshlrev_b64_e32 v[17:18], 2, v[13:14]
	v_mul_f32_e32 v13, v0, v15
	v_mul_f32_e32 v15, v0, v16
	;; [unrolled: 1-line block ×4, first 2 shown]
	v_add_co_u32 v17, vcc_lo, s16, v17
	s_wait_alu 0xfffd
	v_add_co_ci_u32_e64 v18, null, s17, v18, vcc_lo
	global_store_b128 v[17:18], v[13:16], off
	s_and_saveexec_b32 s3, s0
	s_cbranch_execz .LBB87_272
; %bb.271:
	v_ashrrev_i32_e32 v9, 31, v8
	v_mov_b32_e32 v4, v1
	s_delay_alu instid0(VALU_DEP_2) | instskip(NEXT) | instid1(VALU_DEP_1)
	v_lshlrev_b64_e32 v[8:9], 3, v[8:9]
	v_add_co_u32 v8, vcc_lo, s18, v8
	s_wait_alu 0xfffd
	s_delay_alu instid0(VALU_DEP_2)
	v_add_co_ci_u32_e64 v9, null, s19, v9, vcc_lo
	global_store_b64 v[8:9], v[4:5], off
.LBB87_272:
	s_wait_alu 0xfffe
	s_or_b32 exec_lo, exec_lo, s3
	v_cmp_gt_i32_e32 vcc_lo, s22, v28
	s_and_b32 exec_lo, exec_lo, vcc_lo
	s_cbranch_execz .LBB87_282
; %bb.273:
	v_cmp_ne_u32_e32 vcc_lo, 1, v12
	v_mov_b32_e32 v4, 1.0
	s_cbranch_vccnz .LBB87_275
; %bb.274:
	v_div_scale_f32 v0, null, v10, v10, 1.0
	s_delay_alu instid0(VALU_DEP_1) | instskip(NEXT) | instid1(TRANS32_DEP_1)
	v_rcp_f32_e32 v1, v0
	v_fma_f32 v4, -v0, v1, 1.0
	s_delay_alu instid0(VALU_DEP_1) | instskip(SKIP_1) | instid1(VALU_DEP_1)
	v_fmac_f32_e32 v1, v4, v1
	v_div_scale_f32 v4, vcc_lo, 1.0, v10, 1.0
	v_mul_f32_e32 v5, v4, v1
	s_delay_alu instid0(VALU_DEP_1) | instskip(NEXT) | instid1(VALU_DEP_1)
	v_fma_f32 v8, -v0, v5, v4
	v_fmac_f32_e32 v5, v8, v1
	s_delay_alu instid0(VALU_DEP_1) | instskip(SKIP_1) | instid1(VALU_DEP_1)
	v_fma_f32 v0, -v0, v5, v4
	s_wait_alu 0xfffd
	v_div_fmas_f32 v0, v0, v1, v5
	s_delay_alu instid0(VALU_DEP_1)
	v_div_fixup_f32 v4, v0, v10, 1.0
.LBB87_275:
	v_dual_mov_b32 v9, 0 :: v_dual_add_nc_u32 v0, s2, v26
	v_lshrrev_b32_e32 v5, 16, v43
	v_cvt_f32_f16_e32 v10, v42
	v_cvt_f32_f16_e32 v14, v43
	s_delay_alu instid0(VALU_DEP_4) | instskip(NEXT) | instid1(VALU_DEP_4)
	v_mad_co_u64_u32 v[0:1], null, v0, s23, s[34:35]
	v_cvt_f32_f16_e32 v5, v5
	s_delay_alu instid0(VALU_DEP_4) | instskip(NEXT) | instid1(VALU_DEP_4)
	v_mul_f32_e32 v13, v4, v10
	v_mul_f32_e32 v15, v4, v14
	s_delay_alu instid0(VALU_DEP_3) | instskip(SKIP_2) | instid1(VALU_DEP_1)
	v_mul_f32_e32 v16, v4, v5
	v_mad_co_u64_u32 v[0:1], null, s1, v0, s[10:11]
	v_lshrrev_b32_e32 v1, 16, v42
	v_cvt_f32_f16_e32 v1, v1
	s_delay_alu instid0(VALU_DEP_3) | instskip(NEXT) | instid1(VALU_DEP_2)
	v_lshl_add_u32 v8, v0, 7, v29
	v_mul_f32_e32 v14, v4, v1
	s_delay_alu instid0(VALU_DEP_2) | instskip(NEXT) | instid1(VALU_DEP_1)
	v_lshlrev_b64_e32 v[8:9], 2, v[8:9]
	v_add_co_u32 v4, vcc_lo, s16, v8
	s_wait_alu 0xfffd
	s_delay_alu instid0(VALU_DEP_2)
	v_add_co_ci_u32_e64 v5, null, s17, v9, vcc_lo
	global_store_b128 v[4:5], v[13:16], off
	s_and_saveexec_b32 s3, s0
	s_cbranch_execz .LBB87_277
; %bb.276:
	v_ashrrev_i32_e32 v1, 31, v0
	v_mov_b32_e32 v5, v2
	s_delay_alu instid0(VALU_DEP_2) | instskip(NEXT) | instid1(VALU_DEP_1)
	v_lshlrev_b64_e32 v[0:1], 3, v[0:1]
	v_add_co_u32 v0, vcc_lo, s18, v0
	s_wait_alu 0xfffd
	s_delay_alu instid0(VALU_DEP_2)
	v_add_co_ci_u32_e64 v1, null, s19, v1, vcc_lo
	global_store_b64 v[0:1], v[5:6], off
.LBB87_277:
	s_wait_alu 0xfffe
	s_or_b32 exec_lo, exec_lo, s3
	v_cmp_gt_i32_e32 vcc_lo, s22, v25
	s_and_b32 exec_lo, exec_lo, vcc_lo
	s_cbranch_execz .LBB87_282
; %bb.278:
	v_cmp_ne_u32_e32 vcc_lo, 1, v12
	v_mov_b32_e32 v2, 1.0
	s_cbranch_vccnz .LBB87_280
; %bb.279:
	v_div_scale_f32 v0, null, v11, v11, 1.0
	s_delay_alu instid0(VALU_DEP_1) | instskip(NEXT) | instid1(TRANS32_DEP_1)
	v_rcp_f32_e32 v1, v0
	v_fma_f32 v2, -v0, v1, 1.0
	s_delay_alu instid0(VALU_DEP_1) | instskip(SKIP_1) | instid1(VALU_DEP_1)
	v_fmac_f32_e32 v1, v2, v1
	v_div_scale_f32 v2, vcc_lo, 1.0, v11, 1.0
	v_mul_f32_e32 v4, v2, v1
	s_delay_alu instid0(VALU_DEP_1) | instskip(NEXT) | instid1(VALU_DEP_1)
	v_fma_f32 v5, -v0, v4, v2
	v_fmac_f32_e32 v4, v5, v1
	s_delay_alu instid0(VALU_DEP_1) | instskip(SKIP_1) | instid1(VALU_DEP_1)
	v_fma_f32 v0, -v0, v4, v2
	s_wait_alu 0xfffd
	v_div_fmas_f32 v0, v0, v1, v4
	s_delay_alu instid0(VALU_DEP_1)
	v_div_fixup_f32 v2, v0, v11, 1.0
.LBB87_280:
	v_dual_mov_b32 v5, 0 :: v_dual_add_nc_u32 v0, s2, v24
	v_lshrrev_b32_e32 v6, 16, v40
	v_cvt_f32_f16_e32 v9, v40
	v_cvt_f32_f16_e32 v8, v41
	s_delay_alu instid0(VALU_DEP_4) | instskip(NEXT) | instid1(VALU_DEP_4)
	v_mad_co_u64_u32 v[0:1], null, v0, s23, s[34:35]
	v_cvt_f32_f16_e32 v6, v6
	s_delay_alu instid0(VALU_DEP_4) | instskip(NEXT) | instid1(VALU_DEP_4)
	v_mul_f32_e32 v10, v2, v9
	v_mul_f32_e32 v8, v2, v8
	s_delay_alu instid0(VALU_DEP_3) | instskip(SKIP_2) | instid1(VALU_DEP_1)
	v_mul_f32_e32 v11, v2, v6
	v_mad_co_u64_u32 v[0:1], null, s1, v0, s[10:11]
	v_lshrrev_b32_e32 v1, 16, v41
	v_cvt_f32_f16_e32 v1, v1
	s_delay_alu instid0(VALU_DEP_3) | instskip(NEXT) | instid1(VALU_DEP_2)
	v_lshl_add_u32 v4, v0, 7, v29
	v_mul_f32_e32 v9, v2, v1
	s_delay_alu instid0(VALU_DEP_2) | instskip(NEXT) | instid1(VALU_DEP_1)
	v_lshlrev_b64_e32 v[4:5], 2, v[4:5]
	v_add_co_u32 v1, vcc_lo, s16, v4
	s_wait_alu 0xfffd
	s_delay_alu instid0(VALU_DEP_2)
	v_add_co_ci_u32_e64 v2, null, s17, v5, vcc_lo
	global_store_b128 v[1:2], v[8:11], off
	s_and_b32 exec_lo, exec_lo, s0
	s_cbranch_execz .LBB87_282
; %bb.281:
	v_ashrrev_i32_e32 v1, 31, v0
	v_mov_b32_e32 v6, v3
	s_delay_alu instid0(VALU_DEP_2) | instskip(NEXT) | instid1(VALU_DEP_1)
	v_lshlrev_b64_e32 v[0:1], 3, v[0:1]
	v_add_co_u32 v0, vcc_lo, s18, v0
	s_wait_alu 0xfffd
	s_delay_alu instid0(VALU_DEP_2)
	v_add_co_ci_u32_e64 v1, null, s19, v1, vcc_lo
	global_store_b64 v[0:1], v[6:7], off
	s_nop 0
	s_sendmsg sendmsg(MSG_DEALLOC_VGPRS)
	s_endpgm
.LBB87_282:
	s_nop 0
	s_sendmsg sendmsg(MSG_DEALLOC_VGPRS)
	s_endpgm
	.section	.rodata,"a",@progbits
	.p2align	6, 0x0
	.amdhsa_kernel _ZL15flash_attn_tileILi128ELi128ELi32ELi1ELb1EEvPKcS1_S1_S1_S1_PKiPfP15HIP_vector_typeIfLj2EEffffjfiS5_IjLj3EEiiiiiiiiiiiliiliiiiil
		.amdhsa_group_segment_fixed_size 34816
		.amdhsa_private_segment_fixed_size 32
		.amdhsa_kernarg_size 464
		.amdhsa_user_sgpr_count 2
		.amdhsa_user_sgpr_dispatch_ptr 0
		.amdhsa_user_sgpr_queue_ptr 0
		.amdhsa_user_sgpr_kernarg_segment_ptr 1
		.amdhsa_user_sgpr_dispatch_id 0
		.amdhsa_user_sgpr_private_segment_size 0
		.amdhsa_wavefront_size32 1
		.amdhsa_uses_dynamic_stack 0
		.amdhsa_enable_private_segment 1
		.amdhsa_system_sgpr_workgroup_id_x 1
		.amdhsa_system_sgpr_workgroup_id_y 1
		.amdhsa_system_sgpr_workgroup_id_z 1
		.amdhsa_system_sgpr_workgroup_info 0
		.amdhsa_system_vgpr_workitem_id 1
		.amdhsa_next_free_vgpr 217
		.amdhsa_next_free_sgpr 48
		.amdhsa_reserve_vcc 1
		.amdhsa_float_round_mode_32 0
		.amdhsa_float_round_mode_16_64 0
		.amdhsa_float_denorm_mode_32 3
		.amdhsa_float_denorm_mode_16_64 3
		.amdhsa_fp16_overflow 0
		.amdhsa_workgroup_processor_mode 1
		.amdhsa_memory_ordered 1
		.amdhsa_forward_progress 1
		.amdhsa_inst_pref_size 255
		.amdhsa_round_robin_scheduling 0
		.amdhsa_exception_fp_ieee_invalid_op 0
		.amdhsa_exception_fp_denorm_src 0
		.amdhsa_exception_fp_ieee_div_zero 0
		.amdhsa_exception_fp_ieee_overflow 0
		.amdhsa_exception_fp_ieee_underflow 0
		.amdhsa_exception_fp_ieee_inexact 0
		.amdhsa_exception_int_div_zero 0
	.end_amdhsa_kernel
	.section	.text._ZL15flash_attn_tileILi128ELi128ELi32ELi1ELb1EEvPKcS1_S1_S1_S1_PKiPfP15HIP_vector_typeIfLj2EEffffjfiS5_IjLj3EEiiiiiiiiiiiliiliiiiil,"axG",@progbits,_ZL15flash_attn_tileILi128ELi128ELi32ELi1ELb1EEvPKcS1_S1_S1_S1_PKiPfP15HIP_vector_typeIfLj2EEffffjfiS5_IjLj3EEiiiiiiiiiiiliiliiiiil,comdat
.Lfunc_end87:
	.size	_ZL15flash_attn_tileILi128ELi128ELi32ELi1ELb1EEvPKcS1_S1_S1_S1_PKiPfP15HIP_vector_typeIfLj2EEffffjfiS5_IjLj3EEiiiiiiiiiiiliiliiiiil, .Lfunc_end87-_ZL15flash_attn_tileILi128ELi128ELi32ELi1ELb1EEvPKcS1_S1_S1_S1_PKiPfP15HIP_vector_typeIfLj2EEffffjfiS5_IjLj3EEiiiiiiiiiiiliiliiiiil
                                        ; -- End function
	.set _ZL15flash_attn_tileILi128ELi128ELi32ELi1ELb1EEvPKcS1_S1_S1_S1_PKiPfP15HIP_vector_typeIfLj2EEffffjfiS5_IjLj3EEiiiiiiiiiiiliiliiiiil.num_vgpr, 185
	.set _ZL15flash_attn_tileILi128ELi128ELi32ELi1ELb1EEvPKcS1_S1_S1_S1_PKiPfP15HIP_vector_typeIfLj2EEffffjfiS5_IjLj3EEiiiiiiiiiiiliiliiiiil.num_agpr, 0
	.set _ZL15flash_attn_tileILi128ELi128ELi32ELi1ELb1EEvPKcS1_S1_S1_S1_PKiPfP15HIP_vector_typeIfLj2EEffffjfiS5_IjLj3EEiiiiiiiiiiiliiliiiiil.numbered_sgpr, 48
	.set _ZL15flash_attn_tileILi128ELi128ELi32ELi1ELb1EEvPKcS1_S1_S1_S1_PKiPfP15HIP_vector_typeIfLj2EEffffjfiS5_IjLj3EEiiiiiiiiiiiliiliiiiil.num_named_barrier, 0
	.set _ZL15flash_attn_tileILi128ELi128ELi32ELi1ELb1EEvPKcS1_S1_S1_S1_PKiPfP15HIP_vector_typeIfLj2EEffffjfiS5_IjLj3EEiiiiiiiiiiiliiliiiiil.private_seg_size, 32
	.set _ZL15flash_attn_tileILi128ELi128ELi32ELi1ELb1EEvPKcS1_S1_S1_S1_PKiPfP15HIP_vector_typeIfLj2EEffffjfiS5_IjLj3EEiiiiiiiiiiiliiliiiiil.uses_vcc, 1
	.set _ZL15flash_attn_tileILi128ELi128ELi32ELi1ELb1EEvPKcS1_S1_S1_S1_PKiPfP15HIP_vector_typeIfLj2EEffffjfiS5_IjLj3EEiiiiiiiiiiiliiliiiiil.uses_flat_scratch, 1
	.set _ZL15flash_attn_tileILi128ELi128ELi32ELi1ELb1EEvPKcS1_S1_S1_S1_PKiPfP15HIP_vector_typeIfLj2EEffffjfiS5_IjLj3EEiiiiiiiiiiiliiliiiiil.has_dyn_sized_stack, 0
	.set _ZL15flash_attn_tileILi128ELi128ELi32ELi1ELb1EEvPKcS1_S1_S1_S1_PKiPfP15HIP_vector_typeIfLj2EEffffjfiS5_IjLj3EEiiiiiiiiiiiliiliiiiil.has_recursion, 0
	.set _ZL15flash_attn_tileILi128ELi128ELi32ELi1ELb1EEvPKcS1_S1_S1_S1_PKiPfP15HIP_vector_typeIfLj2EEffffjfiS5_IjLj3EEiiiiiiiiiiiliiliiiiil.has_indirect_call, 0
	.section	.AMDGPU.csdata,"",@progbits
; Kernel info:
; codeLenInByte = 68400
; TotalNumSgprs: 50
; NumVgprs: 185
; ScratchSize: 32
; MemoryBound: 0
; FloatMode: 240
; IeeeMode: 1
; LDSByteSize: 34816 bytes/workgroup (compile time only)
; SGPRBlocks: 0
; VGPRBlocks: 27
; NumSGPRsForWavesPerEU: 50
; NumVGPRsForWavesPerEU: 217
; Occupancy: 6
; WaveLimiterHint : 0
; COMPUTE_PGM_RSRC2:SCRATCH_EN: 1
; COMPUTE_PGM_RSRC2:USER_SGPR: 2
; COMPUTE_PGM_RSRC2:TRAP_HANDLER: 0
; COMPUTE_PGM_RSRC2:TGID_X_EN: 1
; COMPUTE_PGM_RSRC2:TGID_Y_EN: 1
; COMPUTE_PGM_RSRC2:TGID_Z_EN: 1
; COMPUTE_PGM_RSRC2:TIDIG_COMP_CNT: 1
	.section	.text._ZL15flash_attn_tileILi128ELi128ELi16ELi1ELb1EEvPKcS1_S1_S1_S1_PKiPfP15HIP_vector_typeIfLj2EEffffjfiS5_IjLj3EEiiiiiiiiiiiliiliiiiil,"axG",@progbits,_ZL15flash_attn_tileILi128ELi128ELi16ELi1ELb1EEvPKcS1_S1_S1_S1_PKiPfP15HIP_vector_typeIfLj2EEffffjfiS5_IjLj3EEiiiiiiiiiiiliiliiiiil,comdat
	.globl	_ZL15flash_attn_tileILi128ELi128ELi16ELi1ELb1EEvPKcS1_S1_S1_S1_PKiPfP15HIP_vector_typeIfLj2EEffffjfiS5_IjLj3EEiiiiiiiiiiiliiliiiiil ; -- Begin function _ZL15flash_attn_tileILi128ELi128ELi16ELi1ELb1EEvPKcS1_S1_S1_S1_PKiPfP15HIP_vector_typeIfLj2EEffffjfiS5_IjLj3EEiiiiiiiiiiiliiliiiiil
	.p2align	8
	.type	_ZL15flash_attn_tileILi128ELi128ELi16ELi1ELb1EEvPKcS1_S1_S1_S1_PKiPfP15HIP_vector_typeIfLj2EEffffjfiS5_IjLj3EEiiiiiiiiiiiliiliiiiil,@function
_ZL15flash_attn_tileILi128ELi128ELi16ELi1ELb1EEvPKcS1_S1_S1_S1_PKiPfP15HIP_vector_typeIfLj2EEffffjfiS5_IjLj3EEiiiiiiiiiiiliiliiiiil: ; @_ZL15flash_attn_tileILi128ELi128ELi16ELi1ELb1EEvPKcS1_S1_S1_S1_PKiPfP15HIP_vector_typeIfLj2EEffffjfiS5_IjLj3EEiiiiiiiiiiiliiliiiiil
; %bb.0:
	s_clause 0x1
	s_load_b128 s[24:27], s[0:1], 0x5c
	s_load_b64 s[2:3], s[0:1], 0x80
	s_lshr_b32 s6, ttmp7, 16
	s_load_b64 s[38:39], s[0:1], 0xb8
	s_mov_b32 s35, 0
	s_mov_b64 s[36:37], 0
	s_wait_kmcnt 0x0
	s_cvt_f32_u32 s4, s27
	s_sub_co_i32 s5, 0, s27
	s_delay_alu instid0(SALU_CYCLE_2) | instskip(NEXT) | instid1(TRANS32_DEP_1)
	v_rcp_iflag_f32_e32 v1, s4
	v_readfirstlane_b32 s4, v1
	s_mul_f32 s4, s4, 0x4f7ffffe
	s_wait_alu 0xfffe
	s_delay_alu instid0(SALU_CYCLE_2) | instskip(SKIP_1) | instid1(SALU_CYCLE_2)
	s_cvt_u32_f32 s4, s4
	s_wait_alu 0xfffe
	s_mul_i32 s5, s5, s4
	s_wait_alu 0xfffe
	s_mul_hi_u32 s5, s4, s5
	s_wait_alu 0xfffe
	s_add_co_i32 s4, s4, s5
	s_wait_alu 0xfffe
	s_mul_hi_u32 s4, s6, s4
	s_wait_alu 0xfffe
	s_mul_i32 s5, s4, s27
	s_add_co_i32 s7, s4, 1
	s_wait_alu 0xfffe
	s_sub_co_i32 s5, s6, s5
	s_wait_alu 0xfffe
	s_sub_co_i32 s8, s5, s27
	s_cmp_ge_u32 s5, s27
	s_cselect_b32 s4, s7, s4
	s_cselect_b32 s5, s8, s5
	s_wait_alu 0xfffe
	s_add_co_i32 s7, s4, 1
	s_cmp_ge_u32 s5, s27
	s_cselect_b32 s30, s7, s4
	s_abs_i32 s4, s3
	s_abs_i32 s9, s27
	s_wait_alu 0xfffe
	s_cvt_f32_u32 s5, s4
	s_sub_co_i32 s7, 0, s4
	s_mul_i32 s8, s30, s27
	s_xor_b32 s3, s27, s3
	s_wait_alu 0xfffe
	v_rcp_iflag_f32_e32 v1, s5
	s_sub_co_i32 s28, s6, s8
	s_ashr_i32 s3, s3, 31
	s_delay_alu instid0(TRANS32_DEP_1) | instskip(SKIP_2) | instid1(SALU_CYCLE_2)
	v_readfirstlane_b32 s5, v1
	s_mul_f32 s5, s5, 0x4f7ffffe
	s_wait_alu 0xfffe
	s_cvt_u32_f32 s5, s5
	s_wait_alu 0xfffe
	s_delay_alu instid0(SALU_CYCLE_2) | instskip(NEXT) | instid1(SALU_CYCLE_1)
	s_mul_i32 s7, s7, s5
	s_mul_hi_u32 s7, s5, s7
	s_delay_alu instid0(SALU_CYCLE_1)
	s_add_co_i32 s5, s5, s7
	s_wait_alu 0xfffe
	s_mul_hi_u32 s5, s9, s5
	s_wait_alu 0xfffe
	s_mul_i32 s6, s5, s4
	s_add_co_i32 s7, s5, 1
	s_sub_co_i32 s6, s9, s6
	s_delay_alu instid0(SALU_CYCLE_1)
	s_sub_co_i32 s8, s6, s4
	s_cmp_ge_u32 s6, s4
	s_cselect_b32 s5, s7, s5
	s_cselect_b32 s6, s8, s6
	s_wait_alu 0xfffe
	s_add_co_i32 s7, s5, 1
	s_cmp_ge_u32 s6, s4
	s_load_b512 s[8:23], s[0:1], 0x0
	s_cselect_b32 s4, s7, s5
	s_abs_i32 s34, s28
	s_wait_alu 0xfffe
	s_xor_b32 s4, s4, s3
	s_wait_alu 0xfffe
	s_sub_co_i32 s31, s4, s3
	s_delay_alu instid0(SALU_CYCLE_1) | instskip(NEXT) | instid1(SALU_CYCLE_1)
	s_abs_i32 s3, s31
	s_cvt_f32_u32 s4, s3
	s_sub_co_i32 s5, 0, s3
	s_wait_alu 0xfffe
	s_delay_alu instid0(SALU_CYCLE_1) | instskip(NEXT) | instid1(TRANS32_DEP_1)
	v_rcp_iflag_f32_e32 v1, s4
	v_readfirstlane_b32 s4, v1
	s_mul_f32 s4, s4, 0x4f7ffffe
	s_wait_alu 0xfffe
	s_delay_alu instid0(SALU_CYCLE_2) | instskip(SKIP_1) | instid1(SALU_CYCLE_2)
	s_cvt_u32_f32 s4, s4
	s_wait_alu 0xfffe
	s_mul_i32 s5, s5, s4
	s_wait_alu 0xfffe
	s_mul_hi_u32 s5, s4, s5
	s_wait_alu 0xfffe
	s_add_co_i32 s40, s4, s5
	s_wait_kmcnt 0x0
	s_cmp_eq_u64 s[14:15], 0
	s_cbranch_scc1 .LBB88_2
; %bb.1:
	s_abs_i32 s6, s38
	s_delay_alu instid0(SALU_CYCLE_1) | instskip(SKIP_1) | instid1(SALU_CYCLE_2)
	s_cvt_f32_u32 s4, s6
	s_wait_alu 0xfffe
	v_rcp_iflag_f32_e32 v1, s4
	s_delay_alu instid0(TRANS32_DEP_1) | instskip(SKIP_2) | instid1(SALU_CYCLE_2)
	v_readfirstlane_b32 s4, v1
	s_mul_f32 s4, s4, 0x4f7ffffe
	s_wait_alu 0xfffe
	s_cvt_u32_f32 s7, s4
	s_sub_co_i32 s4, 0, s6
	s_wait_alu 0xfffe
	s_delay_alu instid0(SALU_CYCLE_1) | instskip(SKIP_4) | instid1(SALU_CYCLE_1)
	s_mul_i32 s4, s4, s7
	s_wait_alu 0xfffe
	s_mul_hi_u32 s29, s7, s4
	s_load_b64 s[4:5], s[0:1], 0xc8
	s_add_co_i32 s7, s7, s29
	s_mul_hi_u32 s7, s30, s7
	s_delay_alu instid0(SALU_CYCLE_1) | instskip(NEXT) | instid1(SALU_CYCLE_1)
	s_mul_i32 s7, s7, s6
	s_sub_co_i32 s7, s30, s7
	s_delay_alu instid0(SALU_CYCLE_1) | instskip(SKIP_2) | instid1(SALU_CYCLE_1)
	s_sub_co_i32 s29, s7, s6
	s_cmp_ge_u32 s7, s6
	s_cselect_b32 s7, s29, s7
	s_sub_co_i32 s29, s7, s6
	s_cmp_ge_u32 s7, s6
	s_cselect_b32 s6, s29, s7
	s_delay_alu instid0(SALU_CYCLE_1)
	s_ashr_i32 s7, s6, 31
	s_wait_kmcnt 0x0
	s_mul_u64 s[4:5], s[4:5], s[6:7]
	s_wait_alu 0xfffe
	s_add_nc_u64 s[36:37], s[14:15], s[4:5]
.LBB88_2:
	s_clause 0x1
	s_load_b128 s[4:7], s[0:1], 0x40
	s_load_b64 s[14:15], s[0:1], 0x50
	v_mov_b32_e32 v37, 1.0
	s_mov_b32 s41, s35
	s_wait_kmcnt 0x0
	s_cmp_le_f32 s5, 0
	s_cbranch_scc1 .LBB88_4
; %bb.3:
	v_sub_co_u32 v1, s5, s28, s14
	s_and_b32 s29, s5, exec_lo
	s_cselect_b32 s7, s6, s7
	v_readfirstlane_b32 s14, v1
	s_lshl_b32 s6, s14, 1
	s_add_co_i32 s14, s28, 1
	s_or_b32 s6, s6, 1
	s_and_b32 s5, s5, exec_lo
	s_wait_alu 0xfffe
	s_cselect_b32 s5, s14, s6
	s_cmp_neq_f32 s7, 1.0
	s_wait_alu 0xfffe
	s_cvt_f32_i32 s5, s5
	s_wait_alu 0xfffe
	s_delay_alu instid0(SALU_CYCLE_2) | instskip(NEXT) | instid1(SALU_CYCLE_1)
	s_cselect_b32 s6, s5, 1.0
	s_cmp_neq_f32 s6, 0
	s_cselect_b32 s5, s7, 1.0
	s_wait_alu 0xfffe
	v_frexp_mant_f32_e64 v1, |s5|
	s_delay_alu instid0(VALU_DEP_1)
	v_readfirstlane_b32 s7, v1
	v_cvt_f64_f32_e64 v[1:2], |s5|
	s_cmp_lt_f32 s7, 0x3f2aaaab
	s_cselect_b32 s14, -1, 0
	s_wait_alu 0xfffe
	s_and_b32 s29, s14, exec_lo
	s_cselect_b32 s29, 2.0, 1.0
	s_wait_alu 0xfffe
	s_mul_f32 s7, s7, s29
	s_delay_alu instid0(SALU_CYCLE_3) | instskip(SKIP_2) | instid1(SALU_CYCLE_1)
	s_add_f32 s29, s7, 1.0
	s_add_f32 s38, s7, -1.0
	s_wait_alu 0xfffe
	v_s_rcp_f32 s33, s29
	s_add_f32 s44, s29, -1.0
	s_delay_alu instid0(SALU_CYCLE_3) | instskip(NEXT) | instid1(TRANS32_DEP_1)
	s_sub_f32 s7, s7, s44
	s_mul_f32 s42, s38, s33
	s_delay_alu instid0(SALU_CYCLE_3) | instskip(NEXT) | instid1(SALU_CYCLE_3)
	s_mul_f32 s43, s29, s42
	s_xor_b32 s45, s43, 0x80000000
	s_delay_alu instid0(VALU_DEP_1) | instskip(SKIP_1) | instid1(SALU_CYCLE_3)
	v_frexp_exp_i32_f64_e32 v1, v[1:2]
	s_fmac_f32 s45, s42, s29
	s_fmac_f32 s45, s42, s7
	s_delay_alu instid0(SALU_CYCLE_3) | instskip(NEXT) | instid1(SALU_CYCLE_3)
	s_add_f32 s7, s43, s45
	s_sub_f32 s29, s38, s7
	s_sub_f32 s43, s7, s43
	s_wait_alu 0xfffe
	s_delay_alu instid0(SALU_CYCLE_1) | instskip(NEXT) | instid1(SALU_CYCLE_1)
	s_sub_f32 s38, s38, s29
	s_sub_f32 s43, s43, s45
	s_delay_alu instid0(SALU_CYCLE_2) | instskip(NEXT) | instid1(SALU_CYCLE_3)
	s_sub_f32 s7, s38, s7
	s_add_f32 s7, s43, s7
	s_mov_b32 s43, 0x3e76c4e1
	s_delay_alu instid0(SALU_CYCLE_2) | instskip(NEXT) | instid1(SALU_CYCLE_3)
	s_add_f32 s7, s29, s7
	s_mul_f32 s7, s33, s7
	s_delay_alu instid0(SALU_CYCLE_3) | instskip(SKIP_1) | instid1(SALU_CYCLE_2)
	s_add_f32 s29, s42, s7
	s_wait_alu 0xfffe
	s_sub_f32 s33, s29, s42
	s_mul_f32 s38, s29, s29
	s_delay_alu instid0(SALU_CYCLE_2) | instskip(NEXT) | instid1(SALU_CYCLE_2)
	s_sub_f32 s7, s7, s33
	s_xor_b32 s33, s38, 0x80000000
	s_delay_alu instid0(SALU_CYCLE_1) | instskip(NEXT) | instid1(SALU_CYCLE_1)
	s_fmac_f32 s33, s29, s29
	s_add_f32 s42, s7, s7
	s_delay_alu instid0(SALU_CYCLE_3) | instskip(NEXT) | instid1(SALU_CYCLE_3)
	s_fmac_f32 s33, s29, s42
	s_add_f32 s42, s38, s33
	s_delay_alu instid0(SALU_CYCLE_3) | instskip(SKIP_1) | instid1(SALU_CYCLE_2)
	s_fmaak_f32 s43, s42, s43, 0x3e91f4c4
	s_sub_f32 s38, s42, s38
	s_fmaak_f32 s43, s42, s43, 0x3ecccdef
	s_delay_alu instid0(SALU_CYCLE_2) | instskip(SKIP_1) | instid1(SALU_CYCLE_1)
	s_sub_f32 s33, s33, s38
	s_mul_f32 s38, s29, s42
	s_mul_f32 s44, s42, s43
	s_delay_alu instid0(SALU_CYCLE_2) | instskip(NEXT) | instid1(SALU_CYCLE_2)
	s_xor_b32 s46, s38, 0x80000000
	s_xor_b32 s45, s44, 0x80000000
	s_fmac_f32 s46, s42, s29
	s_fmac_f32 s45, s42, s43
	s_delay_alu instid0(SALU_CYCLE_2) | instskip(NEXT) | instid1(SALU_CYCLE_2)
	s_fmac_f32 s46, s42, s7
	s_fmac_f32 s45, s33, s43
	s_delay_alu instid0(SALU_CYCLE_2) | instskip(NEXT) | instid1(SALU_CYCLE_2)
	s_fmac_f32 s46, s33, s29
	s_add_f32 s43, s44, s45
	s_delay_alu instid0(SALU_CYCLE_3) | instskip(SKIP_1) | instid1(SALU_CYCLE_2)
	s_sub_f32 s44, s43, s44
	s_add_f32 s47, s43, 0x3f2aaaaa
	s_sub_f32 s44, s45, s44
	s_delay_alu instid0(SALU_CYCLE_2) | instskip(NEXT) | instid1(SALU_CYCLE_2)
	s_add_f32 s45, s47, 0xbf2aaaaa
	s_add_f32 s42, s44, 0x31739010
	s_delay_alu instid0(SALU_CYCLE_2) | instskip(NEXT) | instid1(SALU_CYCLE_3)
	s_sub_f32 s43, s43, s45
	s_add_f32 s33, s42, s43
	s_add_f32 s42, s38, s46
	s_delay_alu instid0(SALU_CYCLE_2) | instskip(NEXT) | instid1(SALU_CYCLE_2)
	s_add_f32 s43, s47, s33
	s_sub_f32 s38, s42, s38
	s_delay_alu instid0(SALU_CYCLE_2) | instskip(SKIP_1) | instid1(SALU_CYCLE_1)
	s_mul_f32 s44, s42, s43
	s_sub_f32 s45, s47, s43
	s_sub_f32 s38, s46, s38
	s_delay_alu instid0(SALU_CYCLE_1) | instskip(NEXT) | instid1(SALU_CYCLE_1)
	s_xor_b32 s47, s44, 0x80000000
	s_add_f32 s33, s33, s45
	s_fmac_f32 s47, s42, s43
	v_readfirstlane_b32 s45, v1
	v_ldexp_f32 v1, s29, 1
	s_cmp_lg_u32 s14, 0
	s_fmac_f32 s47, s42, s33
	s_sub_co_ci_u32 s14, s45, 0
	s_delay_alu instid0(VALU_DEP_1) | instskip(NEXT) | instid1(SALU_CYCLE_1)
	v_readfirstlane_b32 s29, v1
	s_fmac_f32 s47, s38, s43
	s_wait_alu 0xfffe
	s_cvt_f32_i32 s14, s14
	v_ldexp_f32 v1, s7, 1
	s_add_f32 s33, s44, s47
	s_wait_alu 0xfffe
	s_mul_f32 s7, s14, 0x3f317218
	s_delay_alu instid0(VALU_DEP_1)
	v_readfirstlane_b32 s43, v1
	s_add_f32 s38, s29, s33
	s_sub_f32 s42, s33, s44
	s_wait_alu 0xfffe
	s_xor_b32 s44, s7, 0x80000000
	s_sub_f32 s29, s38, s29
	s_sub_f32 s42, s47, s42
	s_fmamk_f32 s44, s14, 0x3f317218, s44
	s_wait_alu 0xfffe
	s_sub_f32 s29, s33, s29
	s_add_f32 s33, s43, s42
	s_fmamk_f32 s14, s14, 0xb102e308, s44
	s_wait_alu 0xfffe
	s_delay_alu instid0(SALU_CYCLE_1) | instskip(NEXT) | instid1(SALU_CYCLE_1)
	s_add_f32 s29, s33, s29
	s_add_f32 s33, s7, s14
	s_wait_alu 0xfffe
	s_delay_alu instid0(SALU_CYCLE_1) | instskip(NEXT) | instid1(SALU_CYCLE_1)
	s_add_f32 s42, s38, s29
	s_sub_f32 s7, s33, s7
	s_delay_alu instid0(SALU_CYCLE_2)
	s_add_f32 s43, s33, s42
	s_sub_f32 s38, s42, s38
	s_wait_alu 0xfffe
	s_sub_f32 s7, s14, s7
	s_sub_f32 s44, s43, s33
	;; [unrolled: 1-line block ×3, first 2 shown]
	s_delay_alu instid0(SALU_CYCLE_2) | instskip(SKIP_4) | instid1(SALU_CYCLE_3)
	s_sub_f32 s45, s43, s44
	s_sub_f32 s29, s42, s44
	s_wait_alu 0xfffe
	s_add_f32 s38, s7, s14
	s_sub_f32 s33, s33, s45
	s_add_f32 s29, s29, s33
	s_delay_alu instid0(SALU_CYCLE_1) | instskip(SKIP_1) | instid1(SALU_CYCLE_1)
	s_sub_f32 s33, s38, s7
	s_wait_alu 0xfffe
	s_add_f32 s29, s38, s29
	s_delay_alu instid0(SALU_CYCLE_1) | instskip(SKIP_4) | instid1(SALU_CYCLE_2)
	s_sub_f32 s38, s38, s33
	s_sub_f32 s14, s14, s33
	s_wait_alu 0xfffe
	s_add_f32 s42, s43, s29
	s_sub_f32 s7, s7, s38
	s_sub_f32 s33, s42, s43
	s_wait_alu 0xfffe
	s_delay_alu instid0(SALU_CYCLE_1) | instskip(NEXT) | instid1(SALU_CYCLE_1)
	s_add_f32 s7, s14, s7
	s_sub_f32 s14, s29, s33
	s_wait_alu 0xfffe
	s_delay_alu instid0(SALU_CYCLE_2) | instskip(SKIP_1) | instid1(SALU_CYCLE_2)
	s_add_f32 s7, s7, s14
	s_wait_alu 0xfffe
	s_add_f32 s14, s42, s7
	s_wait_alu 0xfffe
	s_delay_alu instid0(SALU_CYCLE_2) | instskip(SKIP_2) | instid1(SALU_CYCLE_1)
	s_mul_f32 s29, s6, s14
	s_sub_f32 s33, s14, s42
	s_wait_alu 0xfffe
	s_xor_b32 s38, s29, 0x80000000
	s_delay_alu instid0(SALU_CYCLE_1) | instskip(SKIP_2) | instid1(SALU_CYCLE_2)
	s_sub_f32 s7, s7, s33
	s_fmac_f32 s38, s6, s14
	s_wait_alu 0xfffe
	s_fmac_f32 s38, s6, s7
	v_cmp_class_f32_e64 s7, s29, 0x204
	s_delay_alu instid0(SALU_CYCLE_2) | instskip(SKIP_2) | instid1(SALU_CYCLE_1)
	s_add_f32 s14, s29, s38
	s_and_b32 s7, s7, exec_lo
	s_wait_alu 0xfffe
	s_sub_f32 s7, s14, s29
	s_cselect_b32 s14, s29, s14
	s_wait_alu 0xfffe
	s_and_b32 s29, s14, 0x7fffffff
	s_sub_f32 s7, s38, s7
	s_wait_alu 0xfffe
	s_cmp_neq_f32 s29, 0x7f800000
	s_delay_alu instid0(SALU_CYCLE_1)
	s_cselect_b32 s7, s7, 0
	s_cmp_eq_f32 s14, 0x42b17218
	s_cselect_b32 s29, 0x37000000, 0
	s_wait_alu 0xfffe
	s_sub_f32 s14, s14, s29
	s_add_f32 s7, s29, s7
	s_wait_alu 0xfffe
	s_delay_alu instid0(SALU_CYCLE_1) | instskip(NEXT) | instid1(SALU_CYCLE_3)
	s_mul_f32 s33, s14, 0x3fb8aa3b
	s_xor_b32 s38, s33, 0x80000000
	s_rndne_f32 s42, s33
	s_fmamk_f32 s38, s14, 0x3fb8aa3b, s38
	s_cmp_nlt_f32 s14, 0xc2ce8ed0
	s_delay_alu instid0(SALU_CYCLE_1) | instskip(NEXT) | instid1(SALU_CYCLE_1)
	s_sub_f32 s33, s33, s42
	s_fmamk_f32 s38, s14, 0x32a5705f, s38
	s_cselect_b32 vcc_lo, -1, 0
	s_cmp_ngt_f32 s14, 0x42b17218
	s_trunc_f32 s14, s6
	s_add_f32 s33, s33, s38
	s_cvt_i32_f32 s38, s42
	s_delay_alu instid0(SALU_CYCLE_2)
	v_s_exp_f32 s33, s33
	s_wait_alu 0xf1ff
	s_delay_alu instid0(TRANS32_DEP_1) | instid1(SALU_CYCLE_1)
	v_ldexp_f32 v1, s33, s38
	s_mul_f32 s33, s6, 0.5
	s_delay_alu instid0(VALU_DEP_1)
	v_cndmask_b32_e32 v1, 0, v1, vcc_lo
	s_cselect_b32 vcc_lo, -1, 0
	s_wait_alu 0xfffe
	s_cmp_eq_f32 s14, s6
	s_trunc_f32 s38, s33
	v_cndmask_b32_e32 v1, 0x7f800000, v1, vcc_lo
	s_cselect_b32 s42, -1, 0
	s_wait_alu 0xfffe
	s_cmp_neq_f32 s38, s33
	s_delay_alu instid0(VALU_DEP_1)
	v_fma_f32 v2, s7, v1, v1
	v_cmp_class_f32_e64 vcc_lo, v1, 0x204
	s_cselect_b32 s29, -1, 0
	s_wait_alu 0xfffe
	s_and_b32 s7, s42, s29
	s_wait_alu 0xfffd
	v_cndmask_b32_e32 v1, v2, v1, vcc_lo
	s_wait_alu 0xfffe
	s_and_b32 s29, s7, exec_lo
	s_cselect_b32 s29, s5, 1.0
	s_cmp_eq_f32 s14, s6
	v_cmp_class_f32_e64 s14, s5, 0x204
	s_wait_alu 0xfffe
	v_bfi_b32 v1, 0x7fffffff, v1, s29
	s_cselect_b32 vcc_lo, -1, 0
	s_cmp_lt_f32 s5, 0
	s_wait_alu 0xfffe
	s_delay_alu instid0(VALU_DEP_1) | instskip(SKIP_3) | instid1(VALU_DEP_1)
	v_cndmask_b32_e32 v2, 0x7fc00000, v1, vcc_lo
	s_cselect_b32 vcc_lo, -1, 0
	s_cmp_eq_f32 s5, 0
	s_wait_alu 0xfffe
	v_cndmask_b32_e32 v1, v1, v2, vcc_lo
	s_cselect_b32 s29, -1, 0
	s_wait_alu 0xfffe
	s_or_b32 vcc_lo, s29, s14
	s_cmp_lt_f32 s6, 0
	s_cselect_b32 s6, -1, 0
	s_wait_alu 0xfffe
	s_xor_b32 s6, s6, s29
	s_wait_alu 0xfffe
	s_and_b32 s6, s6, exec_lo
	s_cselect_b32 s6, 0, 0x7f800000
	s_and_b32 s7, s7, exec_lo
	s_cselect_b32 s7, s5, 0
	s_cmp_o_f32 s5, s5
	s_wait_alu 0xfffe
	v_mov_b32_e32 v2, s7
	s_delay_alu instid0(VALU_DEP_1) | instskip(NEXT) | instid1(VALU_DEP_1)
	v_bfi_b32 v2, 0x7fffffff, s6, v2
	v_cndmask_b32_e32 v1, v1, v2, vcc_lo
	s_cselect_b32 vcc_lo, -1, 0
	s_wait_alu 0xfffe
	s_delay_alu instid0(VALU_DEP_1)
	v_cndmask_b32_e32 v37, 0x7fc00000, v1, vcc_lo
.LBB88_4:
	v_bfe_u32 v8, v0, 10, 10
	s_lshl_b32 s33, ttmp9, 4
	s_load_b96 s[44:46], s[0:1], 0x70
	v_and_b32_e32 v135, 0x3ff, v0
	s_ashr_i32 s29, s28, 31
	v_dual_mov_b32 v55, 0 :: v_dual_lshlrev_b32 v168, 1, v8
	v_lshlrev_b32_e32 v137, 9, v8
	s_ashr_i32 s38, s31, 31
	s_mov_b32 s31, 0
	s_delay_alu instid0(VALU_DEP_2) | instskip(SKIP_1) | instid1(VALU_DEP_2)
	v_add_nc_u32_e32 v170, s33, v168
	v_or_b32_e32 v166, 1, v168
	v_mul_hi_u32 v1, v170, s24
	s_delay_alu instid0(VALU_DEP_2) | instskip(NEXT) | instid1(VALU_DEP_1)
	v_add_nc_u32_e32 v167, s33, v166
	v_mul_hi_u32 v2, v167, s24
	s_wait_kmcnt 0x0
	s_mul_i32 s6, s28, s45
	s_delay_alu instid0(VALU_DEP_3)
	v_add_nc_u32_e32 v1, v170, v1
	s_ashr_i32 s45, s44, 31
	s_wait_alu 0xfffe
	s_ashr_i32 s7, s6, 31
	s_lshr_b64 s[42:43], s[44:45], 2
	s_lshr_b32 s5, s45, 2
	v_lshrrev_b32_e32 v1, s25, v1
	v_add_nc_u32_e32 v2, v167, v2
	s_delay_alu instid0(VALU_DEP_2) | instskip(NEXT) | instid1(VALU_DEP_2)
	v_mul_lo_u32 v1, v1, s26
	v_lshrrev_b32_e32 v2, s25, v2
	s_delay_alu instid0(VALU_DEP_1) | instskip(NEXT) | instid1(VALU_DEP_3)
	v_mul_lo_u32 v3, v2, s26
	v_sub_nc_u32_e32 v40, v170, v1
	s_delay_alu instid0(VALU_DEP_1) | instskip(NEXT) | instid1(VALU_DEP_1)
	v_mad_co_u64_u32 v[1:2], null, s42, v40, 0
	v_mov_b32_e32 v0, v2
	s_delay_alu instid0(VALU_DEP_4) | instskip(SKIP_1) | instid1(VALU_DEP_2)
	v_sub_nc_u32_e32 v7, v167, v3
	s_wait_alu 0xfffe
	v_mad_co_u64_u32 v[5:6], null, s5, v40, v[0:1]
	s_delay_alu instid0(VALU_DEP_2)
	v_mad_co_u64_u32 v[3:4], null, s42, v7, 0
	s_mul_i32 s42, s30, s46
	s_wait_alu 0xfffe
	s_ashr_i32 s43, s42, 31
	s_cmp_eq_u64 s[18:19], 0
	v_mov_b32_e32 v2, v5
	v_lshlrev_b32_e32 v6, 4, v135
	v_mov_b32_e32 v0, v4
	s_wait_alu 0xfffe
	s_add_nc_u64 s[8:9], s[8:9], s[42:43]
	v_lshlrev_b32_e32 v34, 3, v135
	s_add_nc_u64 s[6:7], s[8:9], s[6:7]
	s_mul_u64 s[8:9], s[34:35], s[40:41]
	v_mad_co_u64_u32 v[4:5], null, s5, v7, v[0:1]
	v_lshlrev_b64_e32 v[0:1], 2, v[1:2]
	s_wait_alu 0xfffe
	v_add_co_u32 v6, s5, s6, v6
	s_wait_alu 0xf1ff
	v_add_co_ci_u32_e64 v7, null, s7, 0, s5
	v_add_nc_u32_e32 v8, 0x9800, v34
	v_lshlrev_b64_e32 v[4:5], 2, v[3:4]
	v_add_co_u32 v0, vcc_lo, v6, v0
	s_wait_alu 0xfffd
	v_add_co_ci_u32_e64 v1, null, v7, v1, vcc_lo
	v_add_nc_u32_e32 v9, v8, v137
	s_delay_alu instid0(VALU_DEP_4)
	v_add_co_u32 v4, vcc_lo, v6, v4
	s_wait_alu 0xfffd
	v_add_co_ci_u32_e64 v5, null, v7, v5, vcc_lo
	s_clause 0x1
	global_load_b128 v[0:3], v[0:1], off
	global_load_b128 v[4:7], v[4:5], off
	s_wait_loadcnt 0x1
	v_fma_mixlo_f16 v1, s4, v1, 0
	v_fma_mixlo_f16 v0, s4, v0, 0
	;; [unrolled: 1-line block ×3, first 2 shown]
	s_wait_loadcnt 0x0
	v_fma_mixlo_f16 v5, s4, v5, 0
	v_fma_mixlo_f16 v4, s4, v4, 0
	;; [unrolled: 1-line block ×3, first 2 shown]
	v_lshlrev_b32_e32 v1, 16, v1
	v_and_b32_e32 v0, 0xffff, v0
	v_fma_mixlo_f16 v6, s4, v6, 0
	v_fma_mixlo_f16 v7, s4, v7, 0
	v_lshlrev_b32_e32 v5, 16, v5
	v_and_b32_e32 v4, 0xffff, v4
	v_lshlrev_b32_e32 v3, 16, v3
	v_and_b32_e32 v2, 0xffff, v2
	v_or_b32_e32 v0, v1, v0
	v_lshlrev_b32_e32 v7, 16, v7
	v_and_b32_e32 v6, 0xffff, v6
	v_or_b32_e32 v4, v5, v4
	v_or3_b32 v1, v3, v2, 0
	v_or3_b32 v0, 0, 0, v0
	v_lshl_add_u32 v5, v166, 8, v8
	v_or3_b32 v3, v7, v6, 0
	v_or3_b32 v2, 0, 0, v4
	ds_store_b64 v9, v[0:1]
	ds_store_b64 v5, v[2:3]
	s_wait_dscnt 0x0
	s_barrier_signal -1
	s_barrier_wait -1
	global_inv scope:SCOPE_SE
	s_cbranch_scc1 .LBB88_6
; %bb.5:
	s_load_b32 s2, s[0:1], 0xd0
	s_mov_b32 s5, s31
	s_wait_kmcnt 0x0
	s_mul_i32 s2, s2, s30
	s_delay_alu instid0(SALU_CYCLE_1)
	s_add_co_i32 s4, s2, ttmp9
	s_wait_alu 0xfffe
	s_lshl_b64 s[4:5], s[4:5], 2
	s_wait_alu 0xfffe
	s_add_nc_u64 s[4:5], s[18:19], s[4:5]
	s_load_b32 s2, s[4:5], 0x0
.LBB88_6:
	s_clause 0x2
	s_load_b64 s[18:19], s[0:1], 0x8c
	s_load_b128 s[4:7], s[0:1], 0x98
	s_load_b64 s[40:41], s[0:1], 0xa8
	s_mul_i32 s8, s9, s3
	s_ashr_i32 s14, s39, 1
	s_sub_co_i32 s43, s34, s8
	s_xor_b32 s35, s29, s38
	s_add_co_i32 s42, s9, 1
	s_wait_alu 0xfffe
	s_sub_co_i32 s44, s43, s3
	v_lshlrev_b32_e32 v169, 2, v135
	v_lshrrev_b32_e32 v43, 4, v135
	v_mul_u32_u24_e32 v41, 0x110, v135
	v_or_b32_e32 v39, 1, v170
	v_add_nc_u32_e32 v36, 0x8800, v137
	v_mbcnt_lo_u32_b32 v171, -1, 0
	v_and_b32_e32 v42, 60, v169
	s_wait_kmcnt 0x0
	s_ashr_i32 s8, s18, 2
	s_ashr_i32 s34, s6, 2
	s_cmp_ge_u32 s43, s3
	s_mul_u64 s[4:5], s[4:5], s[30:31]
	s_cselect_b32 s6, s42, s9
	s_cselect_b32 s9, s44, s43
	s_wait_alu 0xfffe
	s_add_co_i32 s18, s6, 1
	s_cmp_ge_u32 s9, s3
	s_mul_u64 s[38:39], s[40:41], s[30:31]
	s_cselect_b32 s3, s18, s6
	s_add_nc_u64 s[4:5], s[10:11], s[4:5]
	s_xor_b32 s6, s3, s35
	s_wait_alu 0xfffe
	s_add_nc_u64 s[10:11], s[12:13], s[38:39]
	s_sub_co_i32 s9, s6, s35
	s_and_b32 s18, ttmp7, 0xffff
	s_mul_i32 s6, s9, s19
	s_mul_i32 s12, s9, s7
	s_add_co_i32 s3, s2, 0xffffff80
	s_lshl_b32 s40, s18, 7
	s_wait_alu 0xfffe
	s_ashr_i32 s7, s6, 31
	s_ashr_i32 s13, s12, 31
	s_cmp_ge_i32 s40, s3
	s_wait_alu 0xfffe
	s_add_nc_u64 s[4:5], s[4:5], s[6:7]
	s_add_nc_u64 s[38:39], s[10:11], s[12:13]
	s_cbranch_scc1 .LBB88_60
; %bb.7:
	v_dual_mov_b32 v88, 0 :: v_dual_add_nc_u32 v1, v43, v168
	s_ashr_i32 s9, s8, 31
	s_lshl_b32 s6, s8, 4
	s_cmp_lg_u64 s[36:37], 0
	s_delay_alu instid0(VALU_DEP_1)
	v_mul_lo_u32 v0, s8, v1
	v_mul_lo_u32 v4, s34, v1
	s_cselect_b32 s10, -1, 0
	s_lshl_b32 s7, s34, 4
	v_mul_hi_u32 v5, s24, v39
	v_dual_mov_b32 v38, 0 :: v_dual_lshlrev_b32 v3, 2, v42
	v_mov_b32_e32 v68, 0xfeffffff
	s_wait_alu 0xfffe
	v_dual_mov_b32 v69, 0xfeffffff :: v_dual_add_nc_u32 v2, s6, v0
	v_add_nc_u32_e32 v20, s7, v4
	v_mad_u32_u24 v46, 0x110, v1, v3
	v_lshl_or_b32 v47, v1, 8, v3
	s_delay_alu instid0(VALU_DEP_4) | instskip(NEXT) | instid1(VALU_DEP_4)
	v_dual_mov_b32 v67, 0 :: v_dual_add_nc_u32 v6, s6, v2
	v_add_nc_u32_e32 v22, s7, v20
	v_add_nc_u32_e32 v1, v39, v5
	v_ashrrev_i32_e32 v5, 31, v4
	s_delay_alu instid0(VALU_DEP_4)
	v_add_nc_u32_e32 v8, s6, v6
	v_ashrrev_i32_e32 v3, 31, v2
	v_add_nc_u32_e32 v24, s7, v22
	v_lshrrev_b32_e32 v1, s25, v1
	v_ashrrev_i32_e32 v21, 31, v20
	v_add_nc_u32_e32 v10, s6, v8
	v_ashrrev_i32_e32 v9, 31, v8
	v_add_nc_u32_e32 v26, s7, v24
	v_mul_lo_u32 v7, v1, s26
	v_ashrrev_i32_e32 v1, 31, v0
	v_add_nc_u32_e32 v12, s6, v10
	v_ashrrev_i32_e32 v23, 31, v22
	v_add_nc_u32_e32 v28, s7, v26
	v_ashrrev_i32_e32 v25, 31, v24
	v_ashrrev_i32_e32 v27, 31, v26
	v_add_nc_u32_e32 v14, s6, v12
	v_sub_nc_u32_e32 v11, v39, v7
	v_add_nc_u32_e32 v30, s7, v28
	v_ashrrev_i32_e32 v7, 31, v6
	v_ashrrev_i32_e32 v13, 31, v12
	v_add_nc_u32_e32 v16, s6, v14
	v_mul_lo_u32 v57, v11, s14
	v_add_nc_u32_e32 v32, s7, v30
	v_ashrrev_i32_e32 v11, 31, v10
	v_ashrrev_i32_e32 v15, 31, v14
	;; [unrolled: 1-line block ×6, first 2 shown]
	v_mul_lo_u32 v45, v40, s14
	v_lshlrev_b64_e32 v[0:1], 2, v[0:1]
	v_lshlrev_b64_e32 v[2:3], 2, v[2:3]
	;; [unrolled: 1-line block ×16, first 2 shown]
	v_dual_mov_b32 v35, 0 :: v_dual_add_nc_u32 v44, 0x9800, v137
	v_dual_mov_b32 v89, 0 :: v_dual_add_nc_u32 v48, 0x1100, v46
	;; [unrolled: 1-line block ×3, first 2 shown]
	v_add_nc_u32_e32 v50, 0x3300, v46
	v_add_nc_u32_e32 v51, 0x4400, v46
	;; [unrolled: 1-line block ×12, first 2 shown]
	v_lshlrev_b32_e32 v64, 2, v42
	v_mbcnt_lo_u32_b32 v65, -1, 0
	s_ashr_i32 s35, s34, 31
	s_add_nc_u64 s[6:7], s[0:1], 0xd0
	s_mov_b32 s11, 0xbbbac73d
.LBB88_8:                               ; =>This Inner Loop Header: Depth=1
	s_ashr_i32 s41, s40, 31
	s_wait_alu 0xfffe
	s_mul_u64 s[12:13], s[40:41], s[8:9]
	s_wait_alu 0xfffe
	s_lshl_b64 s[12:13], s[12:13], 2
	s_wait_alu 0xfffe
	s_add_nc_u64 s[12:13], s[4:5], s[12:13]
	s_wait_alu 0xfffe
	v_add_co_u32 v4, vcc_lo, s12, v0
	s_wait_alu 0xfffd
	v_add_co_ci_u32_e64 v5, null, s13, v1, vcc_lo
	v_add_co_u32 v55, vcc_lo, s12, v2
	s_wait_alu 0xfffd
	v_add_co_ci_u32_e64 v70, null, s13, v3, vcc_lo
	;; [unrolled: 3-line block ×4, first 2 shown]
	s_clause 0x1
	global_load_b128 v[70:73], v[4:5], off
	global_load_b128 v[74:77], v[74:75], off
	v_add_co_u32 v4, vcc_lo, s12, v6
	s_wait_alu 0xfffd
	v_add_co_ci_u32_e64 v5, null, s13, v7, vcc_lo
	v_add_co_u32 v55, vcc_lo, s12, v8
	s_wait_alu 0xfffd
	v_add_co_ci_u32_e64 v78, null, s13, v9, vcc_lo
	;; [unrolled: 3-line block ×12, first 2 shown]
	s_clause 0x5
	global_load_b128 v[78:81], v[4:5], off
	global_load_b128 v[82:85], v[82:83], off
	;; [unrolled: 1-line block ×6, first 2 shown]
	v_mov_b32_e32 v55, 0
	s_wait_loadcnt 0x7
	ds_store_b128 v46, v[70:73]
	s_wait_loadcnt 0x6
	ds_store_b128 v48, v[74:77]
	;; [unrolled: 2-line block ×8, first 2 shown]
	s_wait_dscnt 0x0
	s_barrier_signal -1
	s_barrier_wait -1
	global_inv scope:SCOPE_SE
	ds_load_b128 v[77:80], v41
	ds_load_b128 v[81:84], v44
	ds_load_b128 v[90:93], v44 offset:256
	ds_load_b128 v[94:97], v41 offset:8704
	v_dual_mov_b32 v73, 0 :: v_dual_mov_b32 v74, 0
	ds_load_b128 v[98:101], v41 offset:17408
	ds_load_b128 v[102:105], v41 offset:26112
	s_wait_dscnt 0x4
	;;#ASMSTART
	v_dot2_f32_f16 v73, v77, v81, v73
	;;#ASMEND
	;;#ASMSTART
	v_dot2_f32_f16 v73, v78, v82, v73
	;;#ASMEND
	;;#ASMSTART
	v_dot2_f32_f16 v73, v79, v83, v73
	;;#ASMEND
	v_mov_b32_e32 v70, 0
	;;#ASMSTART
	v_dot2_f32_f16 v73, v80, v84, v73
	;;#ASMEND
	s_wait_dscnt 0x3
	;;#ASMSTART
	v_dot2_f32_f16 v55, v77, v90, v55
	;;#ASMEND
	;;#ASMSTART
	v_dot2_f32_f16 v55, v78, v91, v55
	;;#ASMEND
	;;#ASMSTART
	v_dot2_f32_f16 v55, v79, v92, v55
	;;#ASMEND
	;;#ASMSTART
	v_dot2_f32_f16 v55, v80, v93, v55
	;;#ASMEND
	s_wait_dscnt 0x2
	;;#ASMSTART
	v_dot2_f32_f16 v74, v94, v81, v74
	;;#ASMEND
	;;#ASMSTART
	v_dot2_f32_f16 v74, v95, v82, v74
	;;#ASMEND
	;; [unrolled: 3-line block ×6, first 2 shown]
	v_dual_mov_b32 v75, 0 :: v_dual_mov_b32 v76, 0
	;;#ASMSTART
	v_dot2_f32_f16 v70, v96, v92, v70
	;;#ASMEND
	;;#ASMSTART
	v_dot2_f32_f16 v70, v97, v93, v70
	;;#ASMEND
	s_wait_dscnt 0x1
	;;#ASMSTART
	v_dot2_f32_f16 v75, v98, v81, v75
	;;#ASMEND
	;;#ASMSTART
	v_dot2_f32_f16 v75, v99, v82, v75
	;;#ASMEND
	v_dual_mov_b32 v71, 0 :: v_dual_mov_b32 v72, 0
	;;#ASMSTART
	v_dot2_f32_f16 v75, v100, v83, v75
	;;#ASMEND
	;;#ASMSTART
	v_dot2_f32_f16 v75, v101, v84, v75
	;;#ASMEND
	;; [unrolled: 3-line block ×6, first 2 shown]
	s_wait_dscnt 0x0
	;;#ASMSTART
	v_dot2_f32_f16 v76, v102, v81, v76
	;;#ASMEND
	;;#ASMSTART
	v_dot2_f32_f16 v76, v103, v82, v76
	;;#ASMEND
	;; [unrolled: 3-line block ×8, first 2 shown]
	ds_load_b128 v[77:80], v41 offset:16
	ds_load_b128 v[81:84], v44 offset:16
	;; [unrolled: 1-line block ×6, first 2 shown]
	s_wait_dscnt 0x4
	;;#ASMSTART
	v_dot2_f32_f16 v73, v77, v81, v73
	;;#ASMEND
	;;#ASMSTART
	v_dot2_f32_f16 v73, v78, v82, v73
	;;#ASMEND
	;;#ASMSTART
	v_dot2_f32_f16 v73, v79, v83, v73
	;;#ASMEND
	;;#ASMSTART
	v_dot2_f32_f16 v73, v80, v84, v73
	;;#ASMEND
	s_wait_dscnt 0x3
	;;#ASMSTART
	v_dot2_f32_f16 v55, v77, v90, v55
	;;#ASMEND
	;;#ASMSTART
	v_dot2_f32_f16 v55, v78, v91, v55
	;;#ASMEND
	;;#ASMSTART
	v_dot2_f32_f16 v55, v79, v92, v55
	;;#ASMEND
	;;#ASMSTART
	v_dot2_f32_f16 v55, v80, v93, v55
	;;#ASMEND
	;; [unrolled: 13-line block ×3, first 2 shown]
	;;#ASMSTART
	v_dot2_f32_f16 v70, v94, v90, v70
	;;#ASMEND
	;;#ASMSTART
	v_dot2_f32_f16 v70, v95, v91, v70
	;;#ASMEND
	;; [unrolled: 3-line block ×4, first 2 shown]
	s_wait_dscnt 0x1
	;;#ASMSTART
	v_dot2_f32_f16 v75, v98, v81, v75
	;;#ASMEND
	;;#ASMSTART
	v_dot2_f32_f16 v75, v99, v82, v75
	;;#ASMEND
	;; [unrolled: 3-line block ×8, first 2 shown]
	s_wait_dscnt 0x0
	;;#ASMSTART
	v_dot2_f32_f16 v76, v102, v81, v76
	;;#ASMEND
	;;#ASMSTART
	v_dot2_f32_f16 v76, v103, v82, v76
	;;#ASMEND
	;; [unrolled: 3-line block ×8, first 2 shown]
	ds_load_b128 v[77:80], v41 offset:32
	ds_load_b128 v[81:84], v44 offset:32
	;; [unrolled: 1-line block ×6, first 2 shown]
	s_wait_dscnt 0x4
	;;#ASMSTART
	v_dot2_f32_f16 v73, v77, v81, v73
	;;#ASMEND
	;;#ASMSTART
	v_dot2_f32_f16 v73, v78, v82, v73
	;;#ASMEND
	;;#ASMSTART
	v_dot2_f32_f16 v73, v79, v83, v73
	;;#ASMEND
	;;#ASMSTART
	v_dot2_f32_f16 v73, v80, v84, v73
	;;#ASMEND
	s_wait_dscnt 0x3
	;;#ASMSTART
	v_dot2_f32_f16 v55, v77, v90, v55
	;;#ASMEND
	;;#ASMSTART
	v_dot2_f32_f16 v55, v78, v91, v55
	;;#ASMEND
	;;#ASMSTART
	v_dot2_f32_f16 v55, v79, v92, v55
	;;#ASMEND
	;;#ASMSTART
	v_dot2_f32_f16 v55, v80, v93, v55
	;;#ASMEND
	;; [unrolled: 13-line block ×3, first 2 shown]
	;;#ASMSTART
	v_dot2_f32_f16 v70, v94, v90, v70
	;;#ASMEND
	;;#ASMSTART
	v_dot2_f32_f16 v70, v95, v91, v70
	;;#ASMEND
	;;#ASMSTART
	v_dot2_f32_f16 v70, v96, v92, v70
	;;#ASMEND
	;;#ASMSTART
	v_dot2_f32_f16 v70, v97, v93, v70
	;;#ASMEND
	s_wait_dscnt 0x1
	;;#ASMSTART
	v_dot2_f32_f16 v75, v98, v81, v75
	;;#ASMEND
	;;#ASMSTART
	v_dot2_f32_f16 v75, v99, v82, v75
	;;#ASMEND
	;; [unrolled: 3-line block ×8, first 2 shown]
	s_wait_dscnt 0x0
	;;#ASMSTART
	v_dot2_f32_f16 v76, v102, v81, v76
	;;#ASMEND
	;;#ASMSTART
	v_dot2_f32_f16 v76, v103, v82, v76
	;;#ASMEND
	;; [unrolled: 3-line block ×8, first 2 shown]
	ds_load_b128 v[77:80], v41 offset:48
	ds_load_b128 v[81:84], v44 offset:48
	;; [unrolled: 1-line block ×6, first 2 shown]
	s_wait_dscnt 0x4
	;;#ASMSTART
	v_dot2_f32_f16 v73, v77, v81, v73
	;;#ASMEND
	;;#ASMSTART
	v_dot2_f32_f16 v73, v78, v82, v73
	;;#ASMEND
	;;#ASMSTART
	v_dot2_f32_f16 v73, v79, v83, v73
	;;#ASMEND
	;;#ASMSTART
	v_dot2_f32_f16 v73, v80, v84, v73
	;;#ASMEND
	s_wait_dscnt 0x3
	;;#ASMSTART
	v_dot2_f32_f16 v55, v77, v90, v55
	;;#ASMEND
	;;#ASMSTART
	v_dot2_f32_f16 v55, v78, v91, v55
	;;#ASMEND
	;;#ASMSTART
	v_dot2_f32_f16 v55, v79, v92, v55
	;;#ASMEND
	;;#ASMSTART
	v_dot2_f32_f16 v55, v80, v93, v55
	;;#ASMEND
	;; [unrolled: 13-line block ×3, first 2 shown]
	;;#ASMSTART
	v_dot2_f32_f16 v70, v94, v90, v70
	;;#ASMEND
	;;#ASMSTART
	v_dot2_f32_f16 v70, v95, v91, v70
	;;#ASMEND
	;; [unrolled: 3-line block ×4, first 2 shown]
	s_wait_dscnt 0x1
	;;#ASMSTART
	v_dot2_f32_f16 v75, v98, v81, v75
	;;#ASMEND
	;;#ASMSTART
	v_dot2_f32_f16 v75, v99, v82, v75
	;;#ASMEND
	;; [unrolled: 3-line block ×8, first 2 shown]
	s_wait_dscnt 0x0
	;;#ASMSTART
	v_dot2_f32_f16 v76, v102, v81, v76
	;;#ASMEND
	;;#ASMSTART
	v_dot2_f32_f16 v76, v103, v82, v76
	;;#ASMEND
	;; [unrolled: 3-line block ×8, first 2 shown]
	ds_load_b128 v[77:80], v41 offset:64
	ds_load_b128 v[81:84], v44 offset:64
	;; [unrolled: 1-line block ×6, first 2 shown]
	s_wait_dscnt 0x4
	;;#ASMSTART
	v_dot2_f32_f16 v73, v77, v81, v73
	;;#ASMEND
	;;#ASMSTART
	v_dot2_f32_f16 v73, v78, v82, v73
	;;#ASMEND
	;;#ASMSTART
	v_dot2_f32_f16 v73, v79, v83, v73
	;;#ASMEND
	;;#ASMSTART
	v_dot2_f32_f16 v73, v80, v84, v73
	;;#ASMEND
	s_wait_dscnt 0x3
	;;#ASMSTART
	v_dot2_f32_f16 v55, v77, v90, v55
	;;#ASMEND
	;;#ASMSTART
	v_dot2_f32_f16 v55, v78, v91, v55
	;;#ASMEND
	;;#ASMSTART
	v_dot2_f32_f16 v55, v79, v92, v55
	;;#ASMEND
	;;#ASMSTART
	v_dot2_f32_f16 v55, v80, v93, v55
	;;#ASMEND
	s_wait_dscnt 0x2
	;;#ASMSTART
	v_dot2_f32_f16 v74, v94, v81, v74
	;;#ASMEND
	;;#ASMSTART
	v_dot2_f32_f16 v74, v95, v82, v74
	;;#ASMEND
	;;#ASMSTART
	v_dot2_f32_f16 v74, v96, v83, v74
	;;#ASMEND
	;;#ASMSTART
	v_dot2_f32_f16 v74, v97, v84, v74
	;;#ASMEND
	;;#ASMSTART
	v_dot2_f32_f16 v70, v94, v90, v70
	;;#ASMEND
	;;#ASMSTART
	v_dot2_f32_f16 v70, v95, v91, v70
	;;#ASMEND
	;;#ASMSTART
	v_dot2_f32_f16 v70, v96, v92, v70
	;;#ASMEND
	;;#ASMSTART
	v_dot2_f32_f16 v70, v97, v93, v70
	;;#ASMEND
	s_wait_dscnt 0x1
	;;#ASMSTART
	v_dot2_f32_f16 v75, v98, v81, v75
	;;#ASMEND
	;;#ASMSTART
	v_dot2_f32_f16 v75, v99, v82, v75
	;;#ASMEND
	;; [unrolled: 3-line block ×8, first 2 shown]
	s_wait_dscnt 0x0
	;;#ASMSTART
	v_dot2_f32_f16 v76, v102, v81, v76
	;;#ASMEND
	;;#ASMSTART
	v_dot2_f32_f16 v76, v103, v82, v76
	;;#ASMEND
	;; [unrolled: 3-line block ×8, first 2 shown]
	ds_load_b128 v[77:80], v41 offset:80
	ds_load_b128 v[81:84], v44 offset:80
	;; [unrolled: 1-line block ×6, first 2 shown]
	s_wait_dscnt 0x4
	;;#ASMSTART
	v_dot2_f32_f16 v73, v77, v81, v73
	;;#ASMEND
	;;#ASMSTART
	v_dot2_f32_f16 v73, v78, v82, v73
	;;#ASMEND
	;;#ASMSTART
	v_dot2_f32_f16 v73, v79, v83, v73
	;;#ASMEND
	;;#ASMSTART
	v_dot2_f32_f16 v73, v80, v84, v73
	;;#ASMEND
	s_wait_dscnt 0x3
	;;#ASMSTART
	v_dot2_f32_f16 v55, v77, v90, v55
	;;#ASMEND
	;;#ASMSTART
	v_dot2_f32_f16 v55, v78, v91, v55
	;;#ASMEND
	;;#ASMSTART
	v_dot2_f32_f16 v55, v79, v92, v55
	;;#ASMEND
	;;#ASMSTART
	v_dot2_f32_f16 v55, v80, v93, v55
	;;#ASMEND
	s_wait_dscnt 0x2
	;;#ASMSTART
	v_dot2_f32_f16 v74, v94, v81, v74
	;;#ASMEND
	;;#ASMSTART
	v_dot2_f32_f16 v74, v95, v82, v74
	;;#ASMEND
	;;#ASMSTART
	v_dot2_f32_f16 v74, v96, v83, v74
	;;#ASMEND
	;;#ASMSTART
	v_dot2_f32_f16 v74, v97, v84, v74
	;;#ASMEND
	;;#ASMSTART
	v_dot2_f32_f16 v70, v94, v90, v70
	;;#ASMEND
	;;#ASMSTART
	v_dot2_f32_f16 v70, v95, v91, v70
	;;#ASMEND
	;; [unrolled: 3-line block ×4, first 2 shown]
	s_wait_dscnt 0x1
	;;#ASMSTART
	v_dot2_f32_f16 v75, v98, v81, v75
	;;#ASMEND
	;;#ASMSTART
	v_dot2_f32_f16 v75, v99, v82, v75
	;;#ASMEND
	;; [unrolled: 3-line block ×8, first 2 shown]
	s_wait_dscnt 0x0
	;;#ASMSTART
	v_dot2_f32_f16 v76, v102, v81, v76
	;;#ASMEND
	;;#ASMSTART
	v_dot2_f32_f16 v76, v103, v82, v76
	;;#ASMEND
	;; [unrolled: 3-line block ×8, first 2 shown]
	ds_load_b128 v[77:80], v41 offset:96
	ds_load_b128 v[81:84], v44 offset:96
	;; [unrolled: 1-line block ×6, first 2 shown]
	s_wait_dscnt 0x4
	;;#ASMSTART
	v_dot2_f32_f16 v73, v77, v81, v73
	;;#ASMEND
	;;#ASMSTART
	v_dot2_f32_f16 v73, v78, v82, v73
	;;#ASMEND
	;;#ASMSTART
	v_dot2_f32_f16 v73, v79, v83, v73
	;;#ASMEND
	;;#ASMSTART
	v_dot2_f32_f16 v73, v80, v84, v73
	;;#ASMEND
	s_wait_dscnt 0x3
	;;#ASMSTART
	v_dot2_f32_f16 v55, v77, v90, v55
	;;#ASMEND
	;;#ASMSTART
	v_dot2_f32_f16 v55, v78, v91, v55
	;;#ASMEND
	;;#ASMSTART
	v_dot2_f32_f16 v55, v79, v92, v55
	;;#ASMEND
	;;#ASMSTART
	v_dot2_f32_f16 v55, v80, v93, v55
	;;#ASMEND
	s_wait_dscnt 0x2
	;;#ASMSTART
	v_dot2_f32_f16 v74, v94, v81, v74
	;;#ASMEND
	;;#ASMSTART
	v_dot2_f32_f16 v74, v95, v82, v74
	;;#ASMEND
	;;#ASMSTART
	v_dot2_f32_f16 v74, v96, v83, v74
	;;#ASMEND
	;;#ASMSTART
	v_dot2_f32_f16 v74, v97, v84, v74
	;;#ASMEND
	;;#ASMSTART
	v_dot2_f32_f16 v70, v94, v90, v70
	;;#ASMEND
	;;#ASMSTART
	v_dot2_f32_f16 v70, v95, v91, v70
	;;#ASMEND
	;; [unrolled: 3-line block ×4, first 2 shown]
	s_wait_dscnt 0x1
	;;#ASMSTART
	v_dot2_f32_f16 v75, v98, v81, v75
	;;#ASMEND
	;;#ASMSTART
	v_dot2_f32_f16 v75, v99, v82, v75
	;;#ASMEND
	;; [unrolled: 3-line block ×8, first 2 shown]
	s_wait_dscnt 0x0
	;;#ASMSTART
	v_dot2_f32_f16 v76, v102, v81, v76
	;;#ASMEND
	;;#ASMSTART
	v_dot2_f32_f16 v76, v103, v82, v76
	;;#ASMEND
	;; [unrolled: 3-line block ×8, first 2 shown]
	ds_load_b128 v[77:80], v41 offset:112
	ds_load_b128 v[81:84], v44 offset:112
	;; [unrolled: 1-line block ×6, first 2 shown]
	s_wait_dscnt 0x4
	;;#ASMSTART
	v_dot2_f32_f16 v73, v77, v81, v73
	;;#ASMEND
	;;#ASMSTART
	v_dot2_f32_f16 v73, v78, v82, v73
	;;#ASMEND
	;;#ASMSTART
	v_dot2_f32_f16 v73, v79, v83, v73
	;;#ASMEND
	;;#ASMSTART
	v_dot2_f32_f16 v73, v80, v84, v73
	;;#ASMEND
	s_wait_dscnt 0x3
	;;#ASMSTART
	v_dot2_f32_f16 v55, v77, v90, v55
	;;#ASMEND
	;;#ASMSTART
	v_dot2_f32_f16 v55, v78, v91, v55
	;;#ASMEND
	;;#ASMSTART
	v_dot2_f32_f16 v55, v79, v92, v55
	;;#ASMEND
	;;#ASMSTART
	v_dot2_f32_f16 v55, v80, v93, v55
	;;#ASMEND
	;; [unrolled: 13-line block ×3, first 2 shown]
	;;#ASMSTART
	v_dot2_f32_f16 v70, v94, v90, v70
	;;#ASMEND
	;;#ASMSTART
	v_dot2_f32_f16 v70, v95, v91, v70
	;;#ASMEND
	;; [unrolled: 3-line block ×4, first 2 shown]
	s_wait_dscnt 0x1
	;;#ASMSTART
	v_dot2_f32_f16 v75, v98, v81, v75
	;;#ASMEND
	;;#ASMSTART
	v_dot2_f32_f16 v75, v99, v82, v75
	;;#ASMEND
	;; [unrolled: 3-line block ×8, first 2 shown]
	s_wait_dscnt 0x0
	;;#ASMSTART
	v_dot2_f32_f16 v76, v102, v81, v76
	;;#ASMEND
	;;#ASMSTART
	v_dot2_f32_f16 v76, v103, v82, v76
	;;#ASMEND
	;; [unrolled: 3-line block ×8, first 2 shown]
	ds_load_b128 v[77:80], v41 offset:128
	ds_load_b128 v[81:84], v44 offset:128
	;; [unrolled: 1-line block ×6, first 2 shown]
	s_wait_dscnt 0x4
	;;#ASMSTART
	v_dot2_f32_f16 v73, v77, v81, v73
	;;#ASMEND
	;;#ASMSTART
	v_dot2_f32_f16 v73, v78, v82, v73
	;;#ASMEND
	;;#ASMSTART
	v_dot2_f32_f16 v73, v79, v83, v73
	;;#ASMEND
	;;#ASMSTART
	v_dot2_f32_f16 v73, v80, v84, v73
	;;#ASMEND
	s_wait_dscnt 0x3
	;;#ASMSTART
	v_dot2_f32_f16 v55, v77, v90, v55
	;;#ASMEND
	;;#ASMSTART
	v_dot2_f32_f16 v55, v78, v91, v55
	;;#ASMEND
	;;#ASMSTART
	v_dot2_f32_f16 v55, v79, v92, v55
	;;#ASMEND
	;;#ASMSTART
	v_dot2_f32_f16 v55, v80, v93, v55
	;;#ASMEND
	;; [unrolled: 13-line block ×3, first 2 shown]
	;;#ASMSTART
	v_dot2_f32_f16 v70, v94, v90, v70
	;;#ASMEND
	;;#ASMSTART
	v_dot2_f32_f16 v70, v95, v91, v70
	;;#ASMEND
	;; [unrolled: 3-line block ×4, first 2 shown]
	s_wait_dscnt 0x1
	;;#ASMSTART
	v_dot2_f32_f16 v75, v98, v81, v75
	;;#ASMEND
	;;#ASMSTART
	v_dot2_f32_f16 v75, v99, v82, v75
	;;#ASMEND
	;; [unrolled: 3-line block ×8, first 2 shown]
	s_wait_dscnt 0x0
	;;#ASMSTART
	v_dot2_f32_f16 v76, v102, v81, v76
	;;#ASMEND
	;;#ASMSTART
	v_dot2_f32_f16 v76, v103, v82, v76
	;;#ASMEND
	;; [unrolled: 3-line block ×8, first 2 shown]
	ds_load_b128 v[77:80], v41 offset:144
	ds_load_b128 v[81:84], v44 offset:144
	;; [unrolled: 1-line block ×6, first 2 shown]
	s_wait_dscnt 0x4
	;;#ASMSTART
	v_dot2_f32_f16 v73, v77, v81, v73
	;;#ASMEND
	;;#ASMSTART
	v_dot2_f32_f16 v73, v78, v82, v73
	;;#ASMEND
	;;#ASMSTART
	v_dot2_f32_f16 v73, v79, v83, v73
	;;#ASMEND
	;;#ASMSTART
	v_dot2_f32_f16 v73, v80, v84, v73
	;;#ASMEND
	s_wait_dscnt 0x3
	;;#ASMSTART
	v_dot2_f32_f16 v55, v77, v90, v55
	;;#ASMEND
	;;#ASMSTART
	v_dot2_f32_f16 v55, v78, v91, v55
	;;#ASMEND
	;;#ASMSTART
	v_dot2_f32_f16 v55, v79, v92, v55
	;;#ASMEND
	;;#ASMSTART
	v_dot2_f32_f16 v55, v80, v93, v55
	;;#ASMEND
	;; [unrolled: 13-line block ×3, first 2 shown]
	;;#ASMSTART
	v_dot2_f32_f16 v70, v94, v90, v70
	;;#ASMEND
	;;#ASMSTART
	v_dot2_f32_f16 v70, v95, v91, v70
	;;#ASMEND
	;; [unrolled: 3-line block ×4, first 2 shown]
	s_wait_dscnt 0x1
	;;#ASMSTART
	v_dot2_f32_f16 v75, v98, v81, v75
	;;#ASMEND
	;;#ASMSTART
	v_dot2_f32_f16 v75, v99, v82, v75
	;;#ASMEND
	;; [unrolled: 3-line block ×8, first 2 shown]
	s_wait_dscnt 0x0
	;;#ASMSTART
	v_dot2_f32_f16 v76, v102, v81, v76
	;;#ASMEND
	;;#ASMSTART
	v_dot2_f32_f16 v76, v103, v82, v76
	;;#ASMEND
	;; [unrolled: 3-line block ×8, first 2 shown]
	ds_load_b128 v[77:80], v41 offset:160
	ds_load_b128 v[81:84], v44 offset:160
	;; [unrolled: 1-line block ×6, first 2 shown]
	s_wait_dscnt 0x4
	;;#ASMSTART
	v_dot2_f32_f16 v73, v77, v81, v73
	;;#ASMEND
	;;#ASMSTART
	v_dot2_f32_f16 v73, v78, v82, v73
	;;#ASMEND
	;;#ASMSTART
	v_dot2_f32_f16 v73, v79, v83, v73
	;;#ASMEND
	;;#ASMSTART
	v_dot2_f32_f16 v73, v80, v84, v73
	;;#ASMEND
	s_wait_dscnt 0x3
	;;#ASMSTART
	v_dot2_f32_f16 v55, v77, v90, v55
	;;#ASMEND
	;;#ASMSTART
	v_dot2_f32_f16 v55, v78, v91, v55
	;;#ASMEND
	;;#ASMSTART
	v_dot2_f32_f16 v55, v79, v92, v55
	;;#ASMEND
	;;#ASMSTART
	v_dot2_f32_f16 v55, v80, v93, v55
	;;#ASMEND
	;; [unrolled: 13-line block ×3, first 2 shown]
	;;#ASMSTART
	v_dot2_f32_f16 v70, v94, v90, v70
	;;#ASMEND
	;;#ASMSTART
	v_dot2_f32_f16 v70, v95, v91, v70
	;;#ASMEND
	;; [unrolled: 3-line block ×4, first 2 shown]
	s_wait_dscnt 0x1
	;;#ASMSTART
	v_dot2_f32_f16 v75, v98, v81, v75
	;;#ASMEND
	;;#ASMSTART
	v_dot2_f32_f16 v75, v99, v82, v75
	;;#ASMEND
	;; [unrolled: 3-line block ×8, first 2 shown]
	s_wait_dscnt 0x0
	;;#ASMSTART
	v_dot2_f32_f16 v76, v102, v81, v76
	;;#ASMEND
	;;#ASMSTART
	v_dot2_f32_f16 v76, v103, v82, v76
	;;#ASMEND
	;; [unrolled: 3-line block ×8, first 2 shown]
	ds_load_b128 v[77:80], v41 offset:176
	ds_load_b128 v[81:84], v44 offset:176
	;; [unrolled: 1-line block ×6, first 2 shown]
	s_wait_dscnt 0x4
	;;#ASMSTART
	v_dot2_f32_f16 v73, v77, v81, v73
	;;#ASMEND
	;;#ASMSTART
	v_dot2_f32_f16 v73, v78, v82, v73
	;;#ASMEND
	;;#ASMSTART
	v_dot2_f32_f16 v73, v79, v83, v73
	;;#ASMEND
	;;#ASMSTART
	v_dot2_f32_f16 v73, v80, v84, v73
	;;#ASMEND
	s_wait_dscnt 0x3
	;;#ASMSTART
	v_dot2_f32_f16 v55, v77, v90, v55
	;;#ASMEND
	;;#ASMSTART
	v_dot2_f32_f16 v55, v78, v91, v55
	;;#ASMEND
	;;#ASMSTART
	v_dot2_f32_f16 v55, v79, v92, v55
	;;#ASMEND
	;;#ASMSTART
	v_dot2_f32_f16 v55, v80, v93, v55
	;;#ASMEND
	;; [unrolled: 13-line block ×3, first 2 shown]
	;;#ASMSTART
	v_dot2_f32_f16 v70, v94, v90, v70
	;;#ASMEND
	;;#ASMSTART
	v_dot2_f32_f16 v70, v95, v91, v70
	;;#ASMEND
	;; [unrolled: 3-line block ×4, first 2 shown]
	s_wait_dscnt 0x1
	;;#ASMSTART
	v_dot2_f32_f16 v75, v98, v81, v75
	;;#ASMEND
	;;#ASMSTART
	v_dot2_f32_f16 v75, v99, v82, v75
	;;#ASMEND
	;; [unrolled: 3-line block ×8, first 2 shown]
	s_wait_dscnt 0x0
	;;#ASMSTART
	v_dot2_f32_f16 v76, v102, v81, v76
	;;#ASMEND
	;;#ASMSTART
	v_dot2_f32_f16 v76, v103, v82, v76
	;;#ASMEND
	;; [unrolled: 3-line block ×8, first 2 shown]
	ds_load_b128 v[77:80], v41 offset:192
	ds_load_b128 v[81:84], v44 offset:192
	;; [unrolled: 1-line block ×6, first 2 shown]
	s_wait_dscnt 0x4
	;;#ASMSTART
	v_dot2_f32_f16 v73, v77, v81, v73
	;;#ASMEND
	;;#ASMSTART
	v_dot2_f32_f16 v73, v78, v82, v73
	;;#ASMEND
	;;#ASMSTART
	v_dot2_f32_f16 v73, v79, v83, v73
	;;#ASMEND
	;;#ASMSTART
	v_dot2_f32_f16 v73, v80, v84, v73
	;;#ASMEND
	s_wait_dscnt 0x3
	;;#ASMSTART
	v_dot2_f32_f16 v55, v77, v90, v55
	;;#ASMEND
	;;#ASMSTART
	v_dot2_f32_f16 v55, v78, v91, v55
	;;#ASMEND
	;;#ASMSTART
	v_dot2_f32_f16 v55, v79, v92, v55
	;;#ASMEND
	;;#ASMSTART
	v_dot2_f32_f16 v55, v80, v93, v55
	;;#ASMEND
	;; [unrolled: 13-line block ×3, first 2 shown]
	;;#ASMSTART
	v_dot2_f32_f16 v70, v94, v90, v70
	;;#ASMEND
	;;#ASMSTART
	v_dot2_f32_f16 v70, v95, v91, v70
	;;#ASMEND
	;; [unrolled: 3-line block ×4, first 2 shown]
	s_wait_dscnt 0x1
	;;#ASMSTART
	v_dot2_f32_f16 v75, v98, v81, v75
	;;#ASMEND
	;;#ASMSTART
	v_dot2_f32_f16 v75, v99, v82, v75
	;;#ASMEND
	;; [unrolled: 3-line block ×8, first 2 shown]
	s_wait_dscnt 0x0
	;;#ASMSTART
	v_dot2_f32_f16 v76, v102, v81, v76
	;;#ASMEND
	;;#ASMSTART
	v_dot2_f32_f16 v76, v103, v82, v76
	;;#ASMEND
	;; [unrolled: 3-line block ×8, first 2 shown]
	ds_load_b128 v[77:80], v41 offset:208
	ds_load_b128 v[81:84], v44 offset:208
	;; [unrolled: 1-line block ×6, first 2 shown]
	s_wait_dscnt 0x4
	;;#ASMSTART
	v_dot2_f32_f16 v73, v77, v81, v73
	;;#ASMEND
	;;#ASMSTART
	v_dot2_f32_f16 v73, v78, v82, v73
	;;#ASMEND
	;;#ASMSTART
	v_dot2_f32_f16 v73, v79, v83, v73
	;;#ASMEND
	;;#ASMSTART
	v_dot2_f32_f16 v73, v80, v84, v73
	;;#ASMEND
	s_wait_dscnt 0x3
	;;#ASMSTART
	v_dot2_f32_f16 v55, v77, v90, v55
	;;#ASMEND
	;;#ASMSTART
	v_dot2_f32_f16 v55, v78, v91, v55
	;;#ASMEND
	;;#ASMSTART
	v_dot2_f32_f16 v55, v79, v92, v55
	;;#ASMEND
	;;#ASMSTART
	v_dot2_f32_f16 v55, v80, v93, v55
	;;#ASMEND
	;; [unrolled: 13-line block ×3, first 2 shown]
	;;#ASMSTART
	v_dot2_f32_f16 v70, v94, v90, v70
	;;#ASMEND
	;;#ASMSTART
	v_dot2_f32_f16 v70, v95, v91, v70
	;;#ASMEND
	;; [unrolled: 3-line block ×4, first 2 shown]
	s_wait_dscnt 0x1
	;;#ASMSTART
	v_dot2_f32_f16 v75, v98, v81, v75
	;;#ASMEND
	;;#ASMSTART
	v_dot2_f32_f16 v75, v99, v82, v75
	;;#ASMEND
	;; [unrolled: 3-line block ×8, first 2 shown]
	s_wait_dscnt 0x0
	;;#ASMSTART
	v_dot2_f32_f16 v76, v102, v81, v76
	;;#ASMEND
	;;#ASMSTART
	v_dot2_f32_f16 v76, v103, v82, v76
	;;#ASMEND
	;; [unrolled: 3-line block ×8, first 2 shown]
	ds_load_b128 v[77:80], v41 offset:224
	ds_load_b128 v[81:84], v44 offset:224
	;; [unrolled: 1-line block ×6, first 2 shown]
	s_wait_dscnt 0x4
	;;#ASMSTART
	v_dot2_f32_f16 v73, v77, v81, v73
	;;#ASMEND
	;;#ASMSTART
	v_dot2_f32_f16 v73, v78, v82, v73
	;;#ASMEND
	;;#ASMSTART
	v_dot2_f32_f16 v73, v79, v83, v73
	;;#ASMEND
	;;#ASMSTART
	v_dot2_f32_f16 v73, v80, v84, v73
	;;#ASMEND
	s_wait_dscnt 0x3
	;;#ASMSTART
	v_dot2_f32_f16 v55, v77, v90, v55
	;;#ASMEND
	;;#ASMSTART
	v_dot2_f32_f16 v55, v78, v91, v55
	;;#ASMEND
	;;#ASMSTART
	v_dot2_f32_f16 v55, v79, v92, v55
	;;#ASMEND
	;;#ASMSTART
	v_dot2_f32_f16 v55, v80, v93, v55
	;;#ASMEND
	;; [unrolled: 13-line block ×3, first 2 shown]
	;;#ASMSTART
	v_dot2_f32_f16 v70, v94, v90, v70
	;;#ASMEND
	;;#ASMSTART
	v_dot2_f32_f16 v70, v95, v91, v70
	;;#ASMEND
	;; [unrolled: 3-line block ×4, first 2 shown]
	s_wait_dscnt 0x1
	;;#ASMSTART
	v_dot2_f32_f16 v75, v98, v81, v75
	;;#ASMEND
	;;#ASMSTART
	v_dot2_f32_f16 v75, v99, v82, v75
	;;#ASMEND
	;; [unrolled: 3-line block ×8, first 2 shown]
	s_wait_dscnt 0x0
	;;#ASMSTART
	v_dot2_f32_f16 v76, v102, v81, v76
	;;#ASMEND
	;;#ASMSTART
	v_dot2_f32_f16 v76, v103, v82, v76
	;;#ASMEND
	;; [unrolled: 3-line block ×8, first 2 shown]
	ds_load_b128 v[77:80], v41 offset:240
	ds_load_b128 v[81:84], v44 offset:240
	;; [unrolled: 1-line block ×6, first 2 shown]
	s_wait_dscnt 0x4
	;;#ASMSTART
	v_dot2_f32_f16 v73, v77, v81, v73
	;;#ASMEND
	;;#ASMSTART
	v_dot2_f32_f16 v73, v78, v82, v73
	;;#ASMEND
	;;#ASMSTART
	v_dot2_f32_f16 v73, v79, v83, v73
	;;#ASMEND
	;;#ASMSTART
	v_dot2_f32_f16 v73, v80, v84, v73
	;;#ASMEND
	s_wait_dscnt 0x3
	;;#ASMSTART
	v_dot2_f32_f16 v55, v77, v90, v55
	;;#ASMEND
	;;#ASMSTART
	v_dot2_f32_f16 v55, v78, v91, v55
	;;#ASMEND
	;;#ASMSTART
	v_dot2_f32_f16 v55, v79, v92, v55
	;;#ASMEND
	;;#ASMSTART
	v_dot2_f32_f16 v55, v80, v93, v55
	;;#ASMEND
	;; [unrolled: 13-line block ×3, first 2 shown]
	;;#ASMSTART
	v_dot2_f32_f16 v70, v94, v90, v70
	;;#ASMEND
	;;#ASMSTART
	v_dot2_f32_f16 v70, v95, v91, v70
	;;#ASMEND
	;; [unrolled: 3-line block ×4, first 2 shown]
	s_wait_dscnt 0x1
	;;#ASMSTART
	v_dot2_f32_f16 v75, v98, v81, v75
	;;#ASMEND
	;;#ASMSTART
	v_dot2_f32_f16 v75, v99, v82, v75
	;;#ASMEND
	;; [unrolled: 3-line block ×8, first 2 shown]
	s_wait_dscnt 0x0
	;;#ASMSTART
	v_dot2_f32_f16 v76, v102, v81, v76
	;;#ASMEND
	v_cmp_ngt_f32_e64 s12, 0x3f200000, |v73|
	;;#ASMSTART
	v_dot2_f32_f16 v76, v103, v82, v76
	;;#ASMEND
	;;#ASMSTART
	v_dot2_f32_f16 v76, v104, v83, v76
	;;#ASMEND
	;;#ASMSTART
	v_dot2_f32_f16 v76, v105, v84, v76
	;;#ASMEND
	;;#ASMSTART
	v_dot2_f32_f16 v72, v102, v90, v72
	;;#ASMEND
	;;#ASMSTART
	v_dot2_f32_f16 v72, v103, v91, v72
	;;#ASMEND
	;;#ASMSTART
	v_dot2_f32_f16 v72, v104, v92, v72
	;;#ASMEND
	;;#ASMSTART
	v_dot2_f32_f16 v72, v105, v93, v72
	;;#ASMEND
                                        ; implicit-def: $vgpr82
	s_and_saveexec_b32 s13, s12
	s_wait_alu 0xfffe
	s_xor_b32 s12, exec_lo, s13
	s_cbranch_execz .LBB88_10
; %bb.9:                                ;   in Loop: Header=BB88_8 Depth=1
	v_add_f32_e64 v4, |v73|, |v73|
	s_delay_alu instid0(VALU_DEP_1) | instskip(SKIP_1) | instid1(VALU_DEP_2)
	v_mul_f32_e32 v5, 0x3fb8aa3b, v4
	v_cmp_ngt_f32_e32 vcc_lo, 0xc2ce8ed0, v4
	v_rndne_f32_e32 v77, v5
	v_fma_f32 v78, 0x3fb8aa3b, v4, -v5
	s_delay_alu instid0(VALU_DEP_1) | instskip(SKIP_1) | instid1(VALU_DEP_2)
	v_dual_sub_f32 v5, v5, v77 :: v_dual_fmac_f32 v78, 0x32a5705f, v4
	v_cvt_i32_f32_e32 v77, v77
	v_add_f32_e32 v5, v5, v78
	s_delay_alu instid0(VALU_DEP_1) | instskip(NEXT) | instid1(TRANS32_DEP_1)
	v_exp_f32_e32 v5, v5
	v_ldexp_f32 v5, v5, v77
	s_wait_alu 0xfffd
	s_delay_alu instid0(VALU_DEP_1) | instskip(SKIP_2) | instid1(VALU_DEP_2)
	v_cndmask_b32_e32 v5, 0, v5, vcc_lo
	v_cmp_nlt_f32_e32 vcc_lo, 0x42b17218, v4
	s_wait_alu 0xfffd
	v_cndmask_b32_e32 v4, 0x7f800000, v5, vcc_lo
	s_delay_alu instid0(VALU_DEP_1) | instskip(NEXT) | instid1(VALU_DEP_1)
	v_add_f32_e32 v4, 1.0, v4
	v_rcp_f32_e32 v4, v4
	s_delay_alu instid0(TRANS32_DEP_1)
	v_fma_f32 v82, v4, -2.0, 1.0
.LBB88_10:                              ;   in Loop: Header=BB88_8 Depth=1
	s_wait_alu 0xfffe
	s_and_not1_saveexec_b32 s12, s12
	s_cbranch_execz .LBB88_12
; %bb.11:                               ;   in Loop: Header=BB88_8 Depth=1
	v_mul_f32_e32 v4, v73, v73
	s_delay_alu instid0(VALU_DEP_1) | instskip(NEXT) | instid1(VALU_DEP_1)
	v_fmaak_f32 v5, s11, v4, 0x3ca908c9
	v_fmaak_f32 v5, v4, v5, 0xbd5c1c4e
	s_delay_alu instid0(VALU_DEP_1) | instskip(NEXT) | instid1(VALU_DEP_1)
	v_fmaak_f32 v5, v4, v5, 0x3e088382
	v_fmaak_f32 v5, v4, v5, 0xbeaaaa99
	s_delay_alu instid0(VALU_DEP_1) | instskip(NEXT) | instid1(VALU_DEP_1)
	v_mul_f32_e64 v5, |v73|, v5
	v_fma_f32 v82, v4, v5, |v73|
.LBB88_12:                              ;   in Loop: Header=BB88_8 Depth=1
	s_wait_alu 0xfffe
	s_or_b32 exec_lo, exec_lo, s12
	v_add_nc_u32_e32 v81, s40, v135
	s_and_not1_b32 vcc_lo, exec_lo, s10
	s_delay_alu instid0(VALU_DEP_1) | instskip(NEXT) | instid1(VALU_DEP_1)
	v_add_nc_u32_e32 v4, v81, v45
	v_ashrrev_i32_e32 v5, 31, v4
	s_wait_alu 0xfffe
	s_cbranch_vccnz .LBB88_58
; %bb.13:                               ;   in Loop: Header=BB88_8 Depth=1
	s_delay_alu instid0(VALU_DEP_1) | instskip(NEXT) | instid1(VALU_DEP_1)
	v_lshlrev_b64_e32 v[77:78], 1, v[4:5]
	v_add_co_u32 v77, vcc_lo, s36, v77
	s_wait_alu 0xfffd
	s_delay_alu instid0(VALU_DEP_2) | instskip(SKIP_3) | instid1(VALU_DEP_1)
	v_add_co_ci_u32_e64 v78, null, s37, v78, vcc_lo
	global_load_u16 v77, v[77:78], off
	s_wait_loadcnt 0x0
	v_cvt_f32_f16_e32 v77, v77
	v_mul_f32_e32 v77, v37, v77
	v_cmp_ngt_f32_e64 s12, 0x3f200000, |v74|
                                        ; implicit-def: $vgpr83
	s_and_saveexec_b32 s13, s12
	s_wait_alu 0xfffe
	s_xor_b32 s12, exec_lo, s13
	s_cbranch_execz .LBB88_15
.LBB88_14:                              ;   in Loop: Header=BB88_8 Depth=1
	v_add_f32_e64 v78, |v74|, |v74|
	s_delay_alu instid0(VALU_DEP_1) | instskip(SKIP_1) | instid1(VALU_DEP_2)
	v_mul_f32_e32 v79, 0x3fb8aa3b, v78
	v_cmp_ngt_f32_e32 vcc_lo, 0xc2ce8ed0, v78
	v_rndne_f32_e32 v80, v79
	v_fma_f32 v83, 0x3fb8aa3b, v78, -v79
	s_delay_alu instid0(VALU_DEP_2) | instskip(NEXT) | instid1(VALU_DEP_2)
	v_sub_f32_e32 v79, v79, v80
	v_fmac_f32_e32 v83, 0x32a5705f, v78
	v_cvt_i32_f32_e32 v80, v80
	s_delay_alu instid0(VALU_DEP_2) | instskip(NEXT) | instid1(VALU_DEP_1)
	v_add_f32_e32 v79, v79, v83
	v_exp_f32_e32 v79, v79
	s_delay_alu instid0(TRANS32_DEP_1) | instskip(SKIP_1) | instid1(VALU_DEP_1)
	v_ldexp_f32 v79, v79, v80
	s_wait_alu 0xfffd
	v_cndmask_b32_e32 v79, 0, v79, vcc_lo
	v_cmp_nlt_f32_e32 vcc_lo, 0x42b17218, v78
	s_wait_alu 0xfffd
	s_delay_alu instid0(VALU_DEP_2) | instskip(NEXT) | instid1(VALU_DEP_1)
	v_cndmask_b32_e32 v78, 0x7f800000, v79, vcc_lo
	v_add_f32_e32 v78, 1.0, v78
	s_delay_alu instid0(VALU_DEP_1) | instskip(NEXT) | instid1(TRANS32_DEP_1)
	v_rcp_f32_e32 v78, v78
	v_fma_f32 v83, v78, -2.0, 1.0
.LBB88_15:                              ;   in Loop: Header=BB88_8 Depth=1
	s_wait_alu 0xfffe
	s_and_not1_saveexec_b32 s12, s12
	s_cbranch_execz .LBB88_18
; %bb.16:                               ;   in Loop: Header=BB88_8 Depth=1
	v_mul_f32_e32 v78, v74, v74
	s_delay_alu instid0(VALU_DEP_1) | instskip(NEXT) | instid1(VALU_DEP_1)
	v_fmaak_f32 v79, s11, v78, 0x3ca908c9
	v_fmaak_f32 v79, v78, v79, 0xbd5c1c4e
	s_delay_alu instid0(VALU_DEP_1) | instskip(NEXT) | instid1(VALU_DEP_1)
	v_fmaak_f32 v79, v78, v79, 0x3e088382
	v_fmaak_f32 v79, v78, v79, 0xbeaaaa99
	s_delay_alu instid0(VALU_DEP_1) | instskip(NEXT) | instid1(VALU_DEP_1)
	v_mul_f32_e64 v79, |v74|, v79
	v_fma_f32 v83, v78, v79, |v74|
	s_wait_alu 0xfffe
	s_or_b32 exec_lo, exec_lo, s12
	s_delay_alu instid0(SALU_CYCLE_1)
	s_and_not1_b32 vcc_lo, exec_lo, s10
	s_wait_alu 0xfffe
	s_cbranch_vccz .LBB88_19
.LBB88_17:                              ;   in Loop: Header=BB88_8 Depth=1
	v_mov_b32_e32 v78, 0
	v_cmp_ngt_f32_e64 s12, 0x3f200000, |v75|
                                        ; implicit-def: $vgpr84
	s_and_saveexec_b32 s13, s12
	s_wait_alu 0xfffe
	s_xor_b32 s12, exec_lo, s13
	s_cbranch_execz .LBB88_21
	s_branch .LBB88_20
.LBB88_18:                              ;   in Loop: Header=BB88_8 Depth=1
	s_wait_alu 0xfffe
	s_or_b32 exec_lo, exec_lo, s12
	s_delay_alu instid0(SALU_CYCLE_1)
	s_and_not1_b32 vcc_lo, exec_lo, s10
	s_wait_alu 0xfffe
	s_cbranch_vccnz .LBB88_17
.LBB88_19:                              ;   in Loop: Header=BB88_8 Depth=1
	v_lshlrev_b64_e32 v[78:79], 1, v[4:5]
	s_delay_alu instid0(VALU_DEP_1) | instskip(SKIP_1) | instid1(VALU_DEP_2)
	v_add_co_u32 v78, vcc_lo, s36, v78
	s_wait_alu 0xfffd
	v_add_co_ci_u32_e64 v79, null, s37, v79, vcc_lo
	global_load_u16 v78, v[78:79], off offset:64
	s_wait_loadcnt 0x0
	v_cvt_f32_f16_e32 v78, v78
	s_delay_alu instid0(VALU_DEP_1)
	v_mul_f32_e32 v78, v37, v78
	v_cmp_ngt_f32_e64 s12, 0x3f200000, |v75|
                                        ; implicit-def: $vgpr84
	s_and_saveexec_b32 s13, s12
	s_wait_alu 0xfffe
	s_xor_b32 s12, exec_lo, s13
	s_cbranch_execz .LBB88_21
.LBB88_20:                              ;   in Loop: Header=BB88_8 Depth=1
	v_add_f32_e64 v79, |v75|, |v75|
	s_delay_alu instid0(VALU_DEP_1) | instskip(SKIP_1) | instid1(VALU_DEP_2)
	v_mul_f32_e32 v80, 0x3fb8aa3b, v79
	v_cmp_ngt_f32_e32 vcc_lo, 0xc2ce8ed0, v79
	v_rndne_f32_e32 v84, v80
	v_fma_f32 v85, 0x3fb8aa3b, v79, -v80
	s_delay_alu instid0(VALU_DEP_1) | instskip(SKIP_1) | instid1(VALU_DEP_2)
	v_dual_sub_f32 v80, v80, v84 :: v_dual_fmac_f32 v85, 0x32a5705f, v79
	v_cvt_i32_f32_e32 v84, v84
	v_add_f32_e32 v80, v80, v85
	s_delay_alu instid0(VALU_DEP_1) | instskip(NEXT) | instid1(TRANS32_DEP_1)
	v_exp_f32_e32 v80, v80
	v_ldexp_f32 v80, v80, v84
	s_wait_alu 0xfffd
	s_delay_alu instid0(VALU_DEP_1) | instskip(SKIP_2) | instid1(VALU_DEP_2)
	v_cndmask_b32_e32 v80, 0, v80, vcc_lo
	v_cmp_nlt_f32_e32 vcc_lo, 0x42b17218, v79
	s_wait_alu 0xfffd
	v_cndmask_b32_e32 v79, 0x7f800000, v80, vcc_lo
	s_delay_alu instid0(VALU_DEP_1) | instskip(NEXT) | instid1(VALU_DEP_1)
	v_add_f32_e32 v79, 1.0, v79
	v_rcp_f32_e32 v79, v79
	s_delay_alu instid0(TRANS32_DEP_1)
	v_fma_f32 v84, v79, -2.0, 1.0
.LBB88_21:                              ;   in Loop: Header=BB88_8 Depth=1
	s_wait_alu 0xfffe
	s_and_not1_saveexec_b32 s12, s12
	s_cbranch_execz .LBB88_24
; %bb.22:                               ;   in Loop: Header=BB88_8 Depth=1
	v_mul_f32_e32 v79, v75, v75
	s_delay_alu instid0(VALU_DEP_1) | instskip(NEXT) | instid1(VALU_DEP_1)
	v_fmaak_f32 v80, s11, v79, 0x3ca908c9
	v_fmaak_f32 v80, v79, v80, 0xbd5c1c4e
	s_delay_alu instid0(VALU_DEP_1) | instskip(NEXT) | instid1(VALU_DEP_1)
	v_fmaak_f32 v80, v79, v80, 0x3e088382
	v_fmaak_f32 v80, v79, v80, 0xbeaaaa99
	s_delay_alu instid0(VALU_DEP_1) | instskip(NEXT) | instid1(VALU_DEP_1)
	v_mul_f32_e64 v80, |v75|, v80
	v_fma_f32 v84, v79, v80, |v75|
	s_wait_alu 0xfffe
	s_or_b32 exec_lo, exec_lo, s12
	s_delay_alu instid0(SALU_CYCLE_1)
	s_and_not1_b32 vcc_lo, exec_lo, s10
	s_wait_alu 0xfffe
	s_cbranch_vccz .LBB88_25
.LBB88_23:                              ;   in Loop: Header=BB88_8 Depth=1
	v_mov_b32_e32 v79, 0
	v_cmp_ngt_f32_e64 s12, 0x3f200000, |v76|
                                        ; implicit-def: $vgpr85
	s_and_saveexec_b32 s13, s12
	s_wait_alu 0xfffe
	s_xor_b32 s12, exec_lo, s13
	s_cbranch_execz .LBB88_27
	s_branch .LBB88_26
.LBB88_24:                              ;   in Loop: Header=BB88_8 Depth=1
	s_wait_alu 0xfffe
	s_or_b32 exec_lo, exec_lo, s12
	s_delay_alu instid0(SALU_CYCLE_1)
	s_and_not1_b32 vcc_lo, exec_lo, s10
	s_wait_alu 0xfffe
	s_cbranch_vccnz .LBB88_23
.LBB88_25:                              ;   in Loop: Header=BB88_8 Depth=1
	v_lshlrev_b64_e32 v[79:80], 1, v[4:5]
	s_delay_alu instid0(VALU_DEP_1) | instskip(SKIP_1) | instid1(VALU_DEP_2)
	v_add_co_u32 v79, vcc_lo, s36, v79
	s_wait_alu 0xfffd
	v_add_co_ci_u32_e64 v80, null, s37, v80, vcc_lo
	global_load_u16 v79, v[79:80], off offset:128
	s_wait_loadcnt 0x0
	v_cvt_f32_f16_e32 v79, v79
	s_delay_alu instid0(VALU_DEP_1)
	v_mul_f32_e32 v79, v37, v79
	v_cmp_ngt_f32_e64 s12, 0x3f200000, |v76|
                                        ; implicit-def: $vgpr85
	s_and_saveexec_b32 s13, s12
	s_wait_alu 0xfffe
	s_xor_b32 s12, exec_lo, s13
	s_cbranch_execz .LBB88_27
.LBB88_26:                              ;   in Loop: Header=BB88_8 Depth=1
	v_add_f32_e64 v80, |v76|, |v76|
	s_delay_alu instid0(VALU_DEP_1) | instskip(SKIP_1) | instid1(VALU_DEP_2)
	v_mul_f32_e32 v85, 0x3fb8aa3b, v80
	v_cmp_ngt_f32_e32 vcc_lo, 0xc2ce8ed0, v80
	v_rndne_f32_e32 v86, v85
	v_fma_f32 v87, 0x3fb8aa3b, v80, -v85
	s_delay_alu instid0(VALU_DEP_2) | instskip(NEXT) | instid1(VALU_DEP_2)
	v_sub_f32_e32 v85, v85, v86
	v_fmac_f32_e32 v87, 0x32a5705f, v80
	v_cvt_i32_f32_e32 v86, v86
	s_delay_alu instid0(VALU_DEP_2) | instskip(NEXT) | instid1(VALU_DEP_1)
	v_add_f32_e32 v85, v85, v87
	v_exp_f32_e32 v85, v85
	s_delay_alu instid0(TRANS32_DEP_1) | instskip(SKIP_1) | instid1(VALU_DEP_1)
	v_ldexp_f32 v85, v85, v86
	s_wait_alu 0xfffd
	v_cndmask_b32_e32 v85, 0, v85, vcc_lo
	v_cmp_nlt_f32_e32 vcc_lo, 0x42b17218, v80
	s_wait_alu 0xfffd
	s_delay_alu instid0(VALU_DEP_2) | instskip(NEXT) | instid1(VALU_DEP_1)
	v_cndmask_b32_e32 v80, 0x7f800000, v85, vcc_lo
	v_add_f32_e32 v80, 1.0, v80
	s_delay_alu instid0(VALU_DEP_1) | instskip(NEXT) | instid1(TRANS32_DEP_1)
	v_rcp_f32_e32 v80, v80
	v_fma_f32 v85, v80, -2.0, 1.0
.LBB88_27:                              ;   in Loop: Header=BB88_8 Depth=1
	s_wait_alu 0xfffe
	s_and_not1_saveexec_b32 s12, s12
	s_cbranch_execz .LBB88_30
; %bb.28:                               ;   in Loop: Header=BB88_8 Depth=1
	v_mul_f32_e32 v80, v76, v76
	s_delay_alu instid0(VALU_DEP_1) | instskip(NEXT) | instid1(VALU_DEP_1)
	v_fmaak_f32 v85, s11, v80, 0x3ca908c9
	v_fmaak_f32 v85, v80, v85, 0xbd5c1c4e
	s_delay_alu instid0(VALU_DEP_1) | instskip(NEXT) | instid1(VALU_DEP_1)
	v_fmaak_f32 v85, v80, v85, 0x3e088382
	v_fmaak_f32 v85, v80, v85, 0xbeaaaa99
	s_delay_alu instid0(VALU_DEP_1) | instskip(NEXT) | instid1(VALU_DEP_1)
	v_mul_f32_e64 v85, |v76|, v85
	v_fma_f32 v85, v80, v85, |v76|
	s_wait_alu 0xfffe
	s_or_b32 exec_lo, exec_lo, s12
	s_delay_alu instid0(SALU_CYCLE_1)
	s_and_not1_b32 vcc_lo, exec_lo, s10
	s_wait_alu 0xfffe
	s_cbranch_vccz .LBB88_31
.LBB88_29:                              ;   in Loop: Header=BB88_8 Depth=1
	v_mov_b32_e32 v80, 0
	s_branch .LBB88_32
.LBB88_30:                              ;   in Loop: Header=BB88_8 Depth=1
	s_wait_alu 0xfffe
	s_or_b32 exec_lo, exec_lo, s12
	s_delay_alu instid0(SALU_CYCLE_1)
	s_and_not1_b32 vcc_lo, exec_lo, s10
	s_wait_alu 0xfffe
	s_cbranch_vccnz .LBB88_29
.LBB88_31:                              ;   in Loop: Header=BB88_8 Depth=1
	v_lshlrev_b64_e32 v[4:5], 1, v[4:5]
	s_delay_alu instid0(VALU_DEP_1) | instskip(SKIP_1) | instid1(VALU_DEP_2)
	v_add_co_u32 v4, vcc_lo, s36, v4
	s_wait_alu 0xfffd
	v_add_co_ci_u32_e64 v5, null, s37, v5, vcc_lo
	global_load_u16 v4, v[4:5], off offset:192
	s_wait_loadcnt 0x0
	v_cvt_f32_f16_e32 v4, v4
	s_delay_alu instid0(VALU_DEP_1)
	v_mul_f32_e32 v80, v37, v4
.LBB88_32:                              ;   in Loop: Header=BB88_8 Depth=1
	v_bfi_b32 v4, 0x7fffffff, v82, v73
	v_bfi_b32 v5, 0x7fffffff, v83, v74
	;; [unrolled: 1-line block ×3, first 2 shown]
	v_cmp_ngt_f32_e64 s12, 0x3f200000, |v55|
                                        ; implicit-def: $vgpr90
	s_delay_alu instid0(VALU_DEP_3) | instskip(SKIP_3) | instid1(VALU_DEP_4)
	v_dual_fmac_f32 v77, s15, v4 :: v_dual_fmac_f32 v78, s15, v5
	v_bfi_b32 v4, 0x7fffffff, v85, v76
	v_xor_b32_e32 v5, 16, v65
	v_fmac_f32_e32 v79, s15, v73
	v_dual_add_f32 v73, 0x40051340, v77 :: v_dual_add_f32 v74, 0x40051340, v78
	s_delay_alu instid0(VALU_DEP_4) | instskip(NEXT) | instid1(VALU_DEP_4)
	v_fmac_f32_e32 v80, s15, v4
	v_cmp_gt_i32_e32 vcc_lo, 32, v5
	s_delay_alu instid0(VALU_DEP_3) | instskip(NEXT) | instid1(VALU_DEP_3)
	v_max3_num_f32 v73, v69, v73, v74
	v_add_f32_e32 v74, 0x40051340, v80
	s_wait_alu 0xfffd
	v_dual_cndmask_b32 v4, v65, v5 :: v_dual_add_f32 v5, 0x40051340, v79
	s_delay_alu instid0(VALU_DEP_1) | instskip(NEXT) | instid1(VALU_DEP_2)
	v_lshlrev_b32_e32 v82, 2, v4
	v_max3_num_f32 v4, v73, v5, v74
	v_xor_b32_e32 v73, 8, v65
	ds_bpermute_b32 v5, v82, v4
	v_cmp_gt_i32_e32 vcc_lo, 32, v73
	s_wait_alu 0xfffd
	v_cndmask_b32_e32 v73, v65, v73, vcc_lo
	s_delay_alu instid0(VALU_DEP_1) | instskip(SKIP_1) | instid1(VALU_DEP_1)
	v_lshlrev_b32_e32 v83, 2, v73
	v_xor_b32_e32 v73, 4, v65
	v_cmp_gt_i32_e32 vcc_lo, 32, v73
	s_wait_dscnt 0x0
	v_max_num_f32_e32 v5, v5, v5
	s_wait_alu 0xfffd
	v_cndmask_b32_e32 v73, v65, v73, vcc_lo
	s_delay_alu instid0(VALU_DEP_2) | instskip(NEXT) | instid1(VALU_DEP_2)
	v_max_num_f32_e32 v4, v4, v5
	v_lshlrev_b32_e32 v84, 2, v73
	v_xor_b32_e32 v73, 2, v65
	ds_bpermute_b32 v5, v83, v4
	v_cmp_gt_i32_e32 vcc_lo, 32, v73
	s_wait_alu 0xfffd
	v_cndmask_b32_e32 v73, v65, v73, vcc_lo
	s_delay_alu instid0(VALU_DEP_1) | instskip(SKIP_1) | instid1(VALU_DEP_1)
	v_lshlrev_b32_e32 v74, 2, v73
	v_xor_b32_e32 v73, 1, v65
	v_cmp_gt_i32_e32 vcc_lo, 32, v73
	s_wait_dscnt 0x0
	v_max_num_f32_e32 v5, v5, v5
	s_wait_alu 0xfffd
	v_cndmask_b32_e32 v73, v65, v73, vcc_lo
	s_delay_alu instid0(VALU_DEP_2) | instskip(NEXT) | instid1(VALU_DEP_2)
	v_max_num_f32_e32 v4, v4, v5
	v_lshlrev_b32_e32 v73, 2, v73
	ds_bpermute_b32 v5, v84, v4
	s_wait_dscnt 0x0
	v_max_num_f32_e32 v5, v5, v5
	s_delay_alu instid0(VALU_DEP_1) | instskip(SKIP_3) | instid1(VALU_DEP_1)
	v_max_num_f32_e32 v4, v4, v5
	ds_bpermute_b32 v5, v74, v4
	s_wait_dscnt 0x0
	v_max_num_f32_e32 v5, v5, v5
	v_max_num_f32_e32 v85, v4, v5
	ds_bpermute_b32 v86, v73, v85
	s_and_saveexec_b32 s13, s12
	s_wait_alu 0xfffe
	s_xor_b32 s12, exec_lo, s13
	s_cbranch_execz .LBB88_34
; %bb.33:                               ;   in Loop: Header=BB88_8 Depth=1
	v_add_f32_e64 v4, |v55|, |v55|
	s_delay_alu instid0(VALU_DEP_1) | instskip(SKIP_1) | instid1(VALU_DEP_2)
	v_mul_f32_e32 v5, 0x3fb8aa3b, v4
	v_cmp_ngt_f32_e32 vcc_lo, 0xc2ce8ed0, v4
	v_rndne_f32_e32 v75, v5
	v_fma_f32 v76, 0x3fb8aa3b, v4, -v5
	s_delay_alu instid0(VALU_DEP_1) | instskip(SKIP_1) | instid1(VALU_DEP_2)
	v_dual_sub_f32 v5, v5, v75 :: v_dual_fmac_f32 v76, 0x32a5705f, v4
	v_cvt_i32_f32_e32 v75, v75
	v_add_f32_e32 v5, v5, v76
	s_delay_alu instid0(VALU_DEP_1) | instskip(NEXT) | instid1(TRANS32_DEP_1)
	v_exp_f32_e32 v5, v5
	v_ldexp_f32 v5, v5, v75
	s_wait_alu 0xfffd
	s_delay_alu instid0(VALU_DEP_1) | instskip(SKIP_2) | instid1(VALU_DEP_2)
	v_cndmask_b32_e32 v5, 0, v5, vcc_lo
	v_cmp_nlt_f32_e32 vcc_lo, 0x42b17218, v4
	s_wait_alu 0xfffd
	v_cndmask_b32_e32 v4, 0x7f800000, v5, vcc_lo
	s_delay_alu instid0(VALU_DEP_1) | instskip(NEXT) | instid1(VALU_DEP_1)
	v_add_f32_e32 v4, 1.0, v4
	v_rcp_f32_e32 v4, v4
	s_delay_alu instid0(TRANS32_DEP_1)
	v_fma_f32 v90, v4, -2.0, 1.0
.LBB88_34:                              ;   in Loop: Header=BB88_8 Depth=1
	s_wait_alu 0xfffe
	s_and_not1_saveexec_b32 s12, s12
	s_cbranch_execz .LBB88_36
; %bb.35:                               ;   in Loop: Header=BB88_8 Depth=1
	v_mul_f32_e32 v4, v55, v55
	s_delay_alu instid0(VALU_DEP_1) | instskip(NEXT) | instid1(VALU_DEP_1)
	v_fmaak_f32 v5, s11, v4, 0x3ca908c9
	v_fmaak_f32 v5, v4, v5, 0xbd5c1c4e
	s_delay_alu instid0(VALU_DEP_1) | instskip(NEXT) | instid1(VALU_DEP_1)
	v_fmaak_f32 v5, v4, v5, 0x3e088382
	v_fmaak_f32 v5, v4, v5, 0xbeaaaa99
	s_delay_alu instid0(VALU_DEP_1) | instskip(NEXT) | instid1(VALU_DEP_1)
	v_mul_f32_e64 v5, |v55|, v5
	v_fma_f32 v90, v4, v5, |v55|
.LBB88_36:                              ;   in Loop: Header=BB88_8 Depth=1
	s_wait_alu 0xfffe
	s_or_b32 exec_lo, exec_lo, s12
	v_add_nc_u32_e32 v4, v81, v57
	s_and_not1_b32 vcc_lo, exec_lo, s10
	s_delay_alu instid0(VALU_DEP_1)
	v_ashrrev_i32_e32 v5, 31, v4
	s_wait_alu 0xfffe
	s_cbranch_vccnz .LBB88_59
; %bb.37:                               ;   in Loop: Header=BB88_8 Depth=1
	s_delay_alu instid0(VALU_DEP_1) | instskip(NEXT) | instid1(VALU_DEP_1)
	v_lshlrev_b64_e32 v[75:76], 1, v[4:5]
	v_add_co_u32 v75, vcc_lo, s36, v75
	s_wait_alu 0xfffd
	s_delay_alu instid0(VALU_DEP_2) | instskip(SKIP_3) | instid1(VALU_DEP_1)
	v_add_co_ci_u32_e64 v76, null, s37, v76, vcc_lo
	global_load_u16 v75, v[75:76], off
	s_wait_loadcnt 0x0
	v_cvt_f32_f16_e32 v75, v75
	v_mul_f32_e32 v75, v37, v75
	v_cmp_ngt_f32_e64 s12, 0x3f200000, |v70|
                                        ; implicit-def: $vgpr91
	s_and_saveexec_b32 s13, s12
	s_wait_alu 0xfffe
	s_xor_b32 s12, exec_lo, s13
	s_cbranch_execz .LBB88_39
.LBB88_38:                              ;   in Loop: Header=BB88_8 Depth=1
	v_add_f32_e64 v76, |v70|, |v70|
	s_delay_alu instid0(VALU_DEP_1) | instskip(SKIP_1) | instid1(VALU_DEP_2)
	v_mul_f32_e32 v81, 0x3fb8aa3b, v76
	v_cmp_ngt_f32_e32 vcc_lo, 0xc2ce8ed0, v76
	v_rndne_f32_e32 v87, v81
	v_fma_f32 v91, 0x3fb8aa3b, v76, -v81
	s_delay_alu instid0(VALU_DEP_2) | instskip(NEXT) | instid1(VALU_DEP_2)
	v_sub_f32_e32 v81, v81, v87
	v_fmac_f32_e32 v91, 0x32a5705f, v76
	v_cvt_i32_f32_e32 v87, v87
	s_delay_alu instid0(VALU_DEP_2) | instskip(NEXT) | instid1(VALU_DEP_1)
	v_add_f32_e32 v81, v81, v91
	v_exp_f32_e32 v81, v81
	s_delay_alu instid0(TRANS32_DEP_1) | instskip(SKIP_1) | instid1(VALU_DEP_1)
	v_ldexp_f32 v81, v81, v87
	s_wait_alu 0xfffd
	v_cndmask_b32_e32 v81, 0, v81, vcc_lo
	v_cmp_nlt_f32_e32 vcc_lo, 0x42b17218, v76
	s_wait_alu 0xfffd
	s_delay_alu instid0(VALU_DEP_2) | instskip(NEXT) | instid1(VALU_DEP_1)
	v_cndmask_b32_e32 v76, 0x7f800000, v81, vcc_lo
	v_add_f32_e32 v76, 1.0, v76
	s_delay_alu instid0(VALU_DEP_1) | instskip(NEXT) | instid1(TRANS32_DEP_1)
	v_rcp_f32_e32 v76, v76
	v_fma_f32 v91, v76, -2.0, 1.0
.LBB88_39:                              ;   in Loop: Header=BB88_8 Depth=1
	s_wait_alu 0xfffe
	s_and_not1_saveexec_b32 s12, s12
	s_cbranch_execz .LBB88_42
; %bb.40:                               ;   in Loop: Header=BB88_8 Depth=1
	v_mul_f32_e32 v76, v70, v70
	s_delay_alu instid0(VALU_DEP_1) | instskip(NEXT) | instid1(VALU_DEP_1)
	v_fmaak_f32 v81, s11, v76, 0x3ca908c9
	v_fmaak_f32 v81, v76, v81, 0xbd5c1c4e
	s_delay_alu instid0(VALU_DEP_1) | instskip(NEXT) | instid1(VALU_DEP_1)
	v_fmaak_f32 v81, v76, v81, 0x3e088382
	v_fmaak_f32 v81, v76, v81, 0xbeaaaa99
	s_delay_alu instid0(VALU_DEP_1) | instskip(NEXT) | instid1(VALU_DEP_1)
	v_mul_f32_e64 v81, |v70|, v81
	v_fma_f32 v91, v76, v81, |v70|
	s_wait_alu 0xfffe
	s_or_b32 exec_lo, exec_lo, s12
	s_delay_alu instid0(SALU_CYCLE_1)
	s_and_not1_b32 vcc_lo, exec_lo, s10
	s_wait_alu 0xfffe
	s_cbranch_vccz .LBB88_43
.LBB88_41:                              ;   in Loop: Header=BB88_8 Depth=1
	v_mov_b32_e32 v76, 0
	v_cmp_ngt_f32_e64 s12, 0x3f200000, |v71|
                                        ; implicit-def: $vgpr92
	s_and_saveexec_b32 s13, s12
	s_wait_alu 0xfffe
	s_xor_b32 s12, exec_lo, s13
	s_cbranch_execz .LBB88_45
	s_branch .LBB88_44
.LBB88_42:                              ;   in Loop: Header=BB88_8 Depth=1
	s_wait_alu 0xfffe
	s_or_b32 exec_lo, exec_lo, s12
	s_delay_alu instid0(SALU_CYCLE_1)
	s_and_not1_b32 vcc_lo, exec_lo, s10
	s_wait_alu 0xfffe
	s_cbranch_vccnz .LBB88_41
.LBB88_43:                              ;   in Loop: Header=BB88_8 Depth=1
	v_lshlrev_b64_e32 v[92:93], 1, v[4:5]
	s_delay_alu instid0(VALU_DEP_1) | instskip(SKIP_1) | instid1(VALU_DEP_2)
	v_add_co_u32 v92, vcc_lo, s36, v92
	s_wait_alu 0xfffd
	v_add_co_ci_u32_e64 v93, null, s37, v93, vcc_lo
	global_load_u16 v76, v[92:93], off offset:64
	s_wait_loadcnt 0x0
	v_cvt_f32_f16_e32 v76, v76
	s_delay_alu instid0(VALU_DEP_1)
	v_mul_f32_e32 v76, v37, v76
	v_cmp_ngt_f32_e64 s12, 0x3f200000, |v71|
                                        ; implicit-def: $vgpr92
	s_and_saveexec_b32 s13, s12
	s_wait_alu 0xfffe
	s_xor_b32 s12, exec_lo, s13
	s_cbranch_execz .LBB88_45
.LBB88_44:                              ;   in Loop: Header=BB88_8 Depth=1
	v_add_f32_e64 v81, |v71|, |v71|
	s_delay_alu instid0(VALU_DEP_1) | instskip(SKIP_1) | instid1(VALU_DEP_2)
	v_mul_f32_e32 v87, 0x3fb8aa3b, v81
	v_cmp_ngt_f32_e32 vcc_lo, 0xc2ce8ed0, v81
	v_rndne_f32_e32 v92, v87
	v_fma_f32 v93, 0x3fb8aa3b, v81, -v87
	s_delay_alu instid0(VALU_DEP_2) | instskip(NEXT) | instid1(VALU_DEP_2)
	v_sub_f32_e32 v87, v87, v92
	v_fmac_f32_e32 v93, 0x32a5705f, v81
	v_cvt_i32_f32_e32 v92, v92
	s_delay_alu instid0(VALU_DEP_2) | instskip(NEXT) | instid1(VALU_DEP_1)
	v_add_f32_e32 v87, v87, v93
	v_exp_f32_e32 v87, v87
	s_delay_alu instid0(TRANS32_DEP_1) | instskip(SKIP_1) | instid1(VALU_DEP_1)
	v_ldexp_f32 v87, v87, v92
	s_wait_alu 0xfffd
	v_cndmask_b32_e32 v87, 0, v87, vcc_lo
	v_cmp_nlt_f32_e32 vcc_lo, 0x42b17218, v81
	s_wait_alu 0xfffd
	s_delay_alu instid0(VALU_DEP_2) | instskip(NEXT) | instid1(VALU_DEP_1)
	v_cndmask_b32_e32 v81, 0x7f800000, v87, vcc_lo
	v_add_f32_e32 v81, 1.0, v81
	s_delay_alu instid0(VALU_DEP_1) | instskip(NEXT) | instid1(TRANS32_DEP_1)
	v_rcp_f32_e32 v81, v81
	v_fma_f32 v92, v81, -2.0, 1.0
.LBB88_45:                              ;   in Loop: Header=BB88_8 Depth=1
	s_wait_alu 0xfffe
	s_and_not1_saveexec_b32 s12, s12
	s_cbranch_execz .LBB88_48
; %bb.46:                               ;   in Loop: Header=BB88_8 Depth=1
	v_mul_f32_e32 v81, v71, v71
	s_delay_alu instid0(VALU_DEP_1) | instskip(NEXT) | instid1(VALU_DEP_1)
	v_fmaak_f32 v87, s11, v81, 0x3ca908c9
	v_fmaak_f32 v87, v81, v87, 0xbd5c1c4e
	s_delay_alu instid0(VALU_DEP_1) | instskip(NEXT) | instid1(VALU_DEP_1)
	v_fmaak_f32 v87, v81, v87, 0x3e088382
	v_fmaak_f32 v87, v81, v87, 0xbeaaaa99
	s_delay_alu instid0(VALU_DEP_1) | instskip(NEXT) | instid1(VALU_DEP_1)
	v_mul_f32_e64 v87, |v71|, v87
	v_fma_f32 v92, v81, v87, |v71|
	s_wait_alu 0xfffe
	s_or_b32 exec_lo, exec_lo, s12
	s_delay_alu instid0(SALU_CYCLE_1)
	s_and_not1_b32 vcc_lo, exec_lo, s10
	s_wait_alu 0xfffe
	s_cbranch_vccz .LBB88_49
.LBB88_47:                              ;   in Loop: Header=BB88_8 Depth=1
	v_mov_b32_e32 v81, 0
	v_cmp_ngt_f32_e64 s12, 0x3f200000, |v72|
                                        ; implicit-def: $vgpr93
	s_and_saveexec_b32 s13, s12
	s_wait_alu 0xfffe
	s_xor_b32 s12, exec_lo, s13
	s_cbranch_execz .LBB88_51
	s_branch .LBB88_50
.LBB88_48:                              ;   in Loop: Header=BB88_8 Depth=1
	s_wait_alu 0xfffe
	s_or_b32 exec_lo, exec_lo, s12
	s_delay_alu instid0(SALU_CYCLE_1)
	s_and_not1_b32 vcc_lo, exec_lo, s10
	s_wait_alu 0xfffe
	s_cbranch_vccnz .LBB88_47
.LBB88_49:                              ;   in Loop: Header=BB88_8 Depth=1
	v_lshlrev_b64_e32 v[93:94], 1, v[4:5]
	s_delay_alu instid0(VALU_DEP_1) | instskip(SKIP_1) | instid1(VALU_DEP_2)
	v_add_co_u32 v93, vcc_lo, s36, v93
	s_wait_alu 0xfffd
	v_add_co_ci_u32_e64 v94, null, s37, v94, vcc_lo
	global_load_u16 v81, v[93:94], off offset:128
	s_wait_loadcnt 0x0
	v_cvt_f32_f16_e32 v81, v81
	s_delay_alu instid0(VALU_DEP_1)
	v_mul_f32_e32 v81, v37, v81
	v_cmp_ngt_f32_e64 s12, 0x3f200000, |v72|
                                        ; implicit-def: $vgpr93
	s_and_saveexec_b32 s13, s12
	s_wait_alu 0xfffe
	s_xor_b32 s12, exec_lo, s13
	s_cbranch_execz .LBB88_51
.LBB88_50:                              ;   in Loop: Header=BB88_8 Depth=1
	v_add_f32_e64 v87, |v72|, |v72|
	s_delay_alu instid0(VALU_DEP_1) | instskip(SKIP_1) | instid1(VALU_DEP_2)
	v_mul_f32_e32 v93, 0x3fb8aa3b, v87
	v_cmp_ngt_f32_e32 vcc_lo, 0xc2ce8ed0, v87
	v_rndne_f32_e32 v94, v93
	v_fma_f32 v95, 0x3fb8aa3b, v87, -v93
	s_delay_alu instid0(VALU_DEP_2) | instskip(NEXT) | instid1(VALU_DEP_2)
	v_sub_f32_e32 v93, v93, v94
	v_fmac_f32_e32 v95, 0x32a5705f, v87
	v_cvt_i32_f32_e32 v94, v94
	s_delay_alu instid0(VALU_DEP_2) | instskip(NEXT) | instid1(VALU_DEP_1)
	v_add_f32_e32 v93, v93, v95
	v_exp_f32_e32 v93, v93
	s_delay_alu instid0(TRANS32_DEP_1) | instskip(SKIP_1) | instid1(VALU_DEP_1)
	v_ldexp_f32 v93, v93, v94
	s_wait_alu 0xfffd
	v_cndmask_b32_e32 v93, 0, v93, vcc_lo
	v_cmp_nlt_f32_e32 vcc_lo, 0x42b17218, v87
	s_wait_alu 0xfffd
	s_delay_alu instid0(VALU_DEP_2) | instskip(NEXT) | instid1(VALU_DEP_1)
	v_cndmask_b32_e32 v87, 0x7f800000, v93, vcc_lo
	v_add_f32_e32 v87, 1.0, v87
	s_delay_alu instid0(VALU_DEP_1) | instskip(NEXT) | instid1(TRANS32_DEP_1)
	v_rcp_f32_e32 v87, v87
	v_fma_f32 v93, v87, -2.0, 1.0
.LBB88_51:                              ;   in Loop: Header=BB88_8 Depth=1
	s_wait_alu 0xfffe
	s_and_not1_saveexec_b32 s12, s12
	s_cbranch_execz .LBB88_54
; %bb.52:                               ;   in Loop: Header=BB88_8 Depth=1
	v_mul_f32_e32 v87, v72, v72
	s_delay_alu instid0(VALU_DEP_1) | instskip(NEXT) | instid1(VALU_DEP_1)
	v_fmaak_f32 v93, s11, v87, 0x3ca908c9
	v_fmaak_f32 v93, v87, v93, 0xbd5c1c4e
	s_delay_alu instid0(VALU_DEP_1) | instskip(NEXT) | instid1(VALU_DEP_1)
	v_fmaak_f32 v93, v87, v93, 0x3e088382
	v_fmaak_f32 v93, v87, v93, 0xbeaaaa99
	s_delay_alu instid0(VALU_DEP_1) | instskip(NEXT) | instid1(VALU_DEP_1)
	v_mul_f32_e64 v93, |v72|, v93
	v_fma_f32 v93, v87, v93, |v72|
	s_wait_alu 0xfffe
	s_or_b32 exec_lo, exec_lo, s12
	s_delay_alu instid0(SALU_CYCLE_1)
	s_and_not1_b32 vcc_lo, exec_lo, s10
	s_wait_alu 0xfffe
	s_cbranch_vccz .LBB88_55
.LBB88_53:                              ;   in Loop: Header=BB88_8 Depth=1
	v_mov_b32_e32 v87, 0
	s_branch .LBB88_56
.LBB88_54:                              ;   in Loop: Header=BB88_8 Depth=1
	s_wait_alu 0xfffe
	s_or_b32 exec_lo, exec_lo, s12
	s_delay_alu instid0(SALU_CYCLE_1)
	s_and_not1_b32 vcc_lo, exec_lo, s10
	s_wait_alu 0xfffe
	s_cbranch_vccnz .LBB88_53
.LBB88_55:                              ;   in Loop: Header=BB88_8 Depth=1
	v_lshlrev_b64_e32 v[4:5], 1, v[4:5]
	s_delay_alu instid0(VALU_DEP_1) | instskip(SKIP_1) | instid1(VALU_DEP_2)
	v_add_co_u32 v4, vcc_lo, s36, v4
	s_wait_alu 0xfffd
	v_add_co_ci_u32_e64 v5, null, s37, v5, vcc_lo
	global_load_u16 v4, v[4:5], off offset:192
	s_wait_loadcnt 0x0
	v_cvt_f32_f16_e32 v4, v4
	s_delay_alu instid0(VALU_DEP_1)
	v_mul_f32_e32 v87, v37, v4
.LBB88_56:                              ;   in Loop: Header=BB88_8 Depth=1
	s_mul_u64 s[12:13], s[40:41], s[34:35]
	s_wait_loadcnt_dscnt 0x0
	s_wait_alu 0xfffe
	s_lshl_b64 s[12:13], s[12:13], 2
	s_barrier_signal -1
	s_wait_alu 0xfffe
	s_add_nc_u64 s[12:13], s[38:39], s[12:13]
	s_barrier_wait -1
	s_wait_alu 0xfffe
	v_add_co_u32 v4, vcc_lo, s12, v18
	s_wait_alu 0xfffd
	v_add_co_ci_u32_e64 v5, null, s13, v19, vcc_lo
	v_add_co_u32 v94, vcc_lo, s12, v20
	s_wait_alu 0xfffd
	v_add_co_ci_u32_e64 v95, null, s13, v21, vcc_lo
	;; [unrolled: 3-line block ×16, first 2 shown]
	global_inv scope:SCOPE_SE
	s_clause 0x7
	global_load_b128 v[94:97], v[4:5], off
	global_load_b128 v[98:101], v[98:99], off
	global_load_b128 v[102:105], v[102:103], off
	global_load_b128 v[106:109], v[106:107], off
	global_load_b128 v[110:113], v[110:111], off
	global_load_b128 v[114:117], v[114:115], off
	global_load_b128 v[118:121], v[118:119], off
	global_load_b128 v[122:125], v[122:123], off
	v_bfi_b32 v4, 0x7fffffff, v90, v55
	v_bfi_b32 v5, 0x7fffffff, v91, v70
	;; [unrolled: 1-line block ×4, first 2 shown]
	s_delay_alu instid0(VALU_DEP_3) | instskip(NEXT) | instid1(VALU_DEP_3)
	v_dual_fmac_f32 v75, s15, v4 :: v_dual_fmac_f32 v76, s15, v5
	v_fmac_f32_e32 v81, s15, v55
	s_delay_alu instid0(VALU_DEP_2) | instskip(NEXT) | instid1(VALU_DEP_3)
	v_dual_fmac_f32 v87, s15, v70 :: v_dual_add_f32 v4, 0x40051340, v75
	v_add_f32_e32 v5, 0x40051340, v76
	s_delay_alu instid0(VALU_DEP_2) | instskip(NEXT) | instid1(VALU_DEP_2)
	v_dual_add_f32 v55, 0x40051340, v81 :: v_dual_add_f32 v70, 0x40051340, v87
	v_max3_num_f32 v4, v68, v4, v5
	s_delay_alu instid0(VALU_DEP_1)
	v_max3_num_f32 v4, v4, v55, v70
	v_dual_max_num_f32 v55, v86, v86 :: v_dual_max_num_f32 v70, v85, v85
	v_add_nc_u32_e32 v86, 0x1000, v34
	ds_bpermute_b32 v5, v82, v4
	s_wait_dscnt 0x0
	v_max_num_f32_e32 v5, v5, v5
	s_delay_alu instid0(VALU_DEP_1) | instskip(SKIP_3) | instid1(VALU_DEP_1)
	v_max_num_f32_e32 v4, v4, v5
	ds_bpermute_b32 v5, v83, v4
	s_wait_dscnt 0x0
	v_max_num_f32_e32 v5, v5, v5
	v_dual_max_num_f32 v5, v4, v5 :: v_dual_max_num_f32 v4, v70, v55
	v_add_nc_u32_e32 v85, 0x800, v34
	s_delay_alu instid0(VALU_DEP_2)
	v_dual_sub_f32 v71, v77, v4 :: v_dual_add_nc_u32 v70, v36, v169
	v_sub_f32_e32 v72, v78, v4
	v_sub_f32_e32 v78, v80, v4
	;; [unrolled: 1-line block ×4, first 2 shown]
	v_cmp_ngt_f32_e32 vcc_lo, 0xc2ce8ed0, v71
	v_mul_f32_e32 v80, 0x3fb8aa3b, v72
	ds_bpermute_b32 v55, v84, v5
	v_mul_f32_e32 v84, 0x3fb8aa3b, v69
	v_mul_f32_e32 v82, 0x3fb8aa3b, v77
	v_rndne_f32_e32 v93, v80
	v_mul_f32_e32 v79, 0x3fb8aa3b, v71
	v_fma_f32 v92, 0x3fb8aa3b, v72, -v80
	s_delay_alu instid0(VALU_DEP_4) | instskip(NEXT) | instid1(VALU_DEP_4)
	v_rndne_f32_e32 v127, v82
	v_dual_mul_f32 v83, 0x3fb8aa3b, v78 :: v_dual_sub_f32 v80, v80, v93
	s_delay_alu instid0(VALU_DEP_4)
	v_fma_f32 v90, 0x3fb8aa3b, v71, -v79
	v_rndne_f32_e32 v91, v79
	v_fma_f32 v126, 0x3fb8aa3b, v77, -v82
	v_fma_f32 v130, 0x3fb8aa3b, v69, -v84
	v_fmac_f32_e32 v92, 0x32a5705f, v72
	v_sub_f32_e32 v82, v82, v127
	v_fma_f32 v128, 0x3fb8aa3b, v78, -v83
	v_rndne_f32_e32 v129, v83
	v_fmac_f32_e32 v90, 0x32a5705f, v71
	s_wait_dscnt 0x0
	v_dual_fmac_f32 v126, 0x32a5705f, v77 :: v_dual_max_num_f32 v55, v55, v55
	s_delay_alu instid0(VALU_DEP_3) | instskip(SKIP_1) | instid1(VALU_DEP_3)
	v_dual_fmac_f32 v128, 0x32a5705f, v78 :: v_dual_sub_f32 v83, v83, v129
	v_rndne_f32_e32 v131, v84
	v_max_num_f32_e32 v5, v5, v55
	v_dual_sub_f32 v55, v79, v91 :: v_dual_fmac_f32 v130, 0x32a5705f, v69
	v_cvt_i32_f32_e32 v79, v91
	s_delay_alu instid0(VALU_DEP_4)
	v_dual_sub_f32 v84, v84, v131 :: v_dual_add_f32 v83, v83, v128
	ds_bpermute_b32 v74, v74, v5
	v_add_f32_e32 v55, v55, v90
	v_cvt_i32_f32_e32 v90, v93
	v_cvt_i32_f32_e32 v91, v127
	v_exp_f32_e32 v83, v83
	v_cvt_i32_f32_e32 v93, v131
	v_exp_f32_e32 v55, v55
	s_delay_alu instid0(TRANS32_DEP_1) | instskip(SKIP_1) | instid1(VALU_DEP_1)
	v_ldexp_f32 v55, v55, v79
	s_wait_alu 0xfffd
	v_dual_add_f32 v82, v82, v126 :: v_dual_cndmask_b32 v55, 0, v55
	s_wait_dscnt 0x0
	v_max_num_f32_e32 v74, v74, v74
	v_add_f32_e32 v80, v80, v92
	s_delay_alu instid0(VALU_DEP_3) | instskip(SKIP_4) | instid1(VALU_DEP_2)
	v_exp_f32_e32 v82, v82
	v_cmp_ngt_f32_e32 vcc_lo, 0xc2ce8ed0, v72
	v_cvt_i32_f32_e32 v92, v129
	v_max_num_f32_e32 v5, v5, v74
	v_exp_f32_e32 v80, v80
	v_ldexp_f32 v74, v83, v92
	ds_bpermute_b32 v73, v73, v5
	v_ldexp_f32 v79, v80, v90
	v_add_f32_e32 v84, v84, v130
	v_ldexp_f32 v80, v82, v91
	s_wait_alu 0xfffd
	s_delay_alu instid0(VALU_DEP_3) | instskip(NEXT) | instid1(VALU_DEP_3)
	v_cndmask_b32_e32 v79, 0, v79, vcc_lo
	v_exp_f32_e32 v84, v84
	v_cmp_ngt_f32_e32 vcc_lo, 0xc2ce8ed0, v77
	s_wait_alu 0xfffd
	v_cndmask_b32_e32 v80, 0, v80, vcc_lo
	v_cmp_ngt_f32_e32 vcc_lo, 0xc2ce8ed0, v78
	s_wait_dscnt 0x0
	v_max_num_f32_e32 v73, v73, v73
	s_delay_alu instid0(TRANS32_DEP_1)
	v_ldexp_f32 v82, v84, v93
	s_wait_alu 0xfffd
	v_cndmask_b32_e32 v74, 0, v74, vcc_lo
	v_cmp_ngt_f32_e32 vcc_lo, 0xc2ce8ed0, v69
	s_wait_alu 0xfffd
	v_dual_max_num_f32 v5, v5, v73 :: v_dual_cndmask_b32 v82, 0, v82
	v_cmp_nlt_f32_e32 vcc_lo, 0x42b17218, v71
	s_wait_alu 0xfffd
	v_cndmask_b32_e32 v55, 0x7f800000, v55, vcc_lo
	v_cmp_nlt_f32_e32 vcc_lo, 0x42b17218, v72
	s_wait_alu 0xfffd
	v_cndmask_b32_e32 v71, 0x7f800000, v79, vcc_lo
	v_cmp_nlt_f32_e32 vcc_lo, 0x42b17218, v69
	v_cvt_f16_f32_e32 v79, v55
	s_wait_alu 0xfffd
	v_cndmask_b32_e32 v69, 0x7f800000, v82, vcc_lo
	v_cmp_nlt_f32_e32 vcc_lo, 0x42b17218, v77
	s_wait_alu 0xfffd
	v_dual_add_f32 v77, v55, v71 :: v_dual_cndmask_b32 v72, 0x7f800000, v80
	v_cmp_nlt_f32_e32 vcc_lo, 0x42b17218, v78
	s_wait_alu 0xfffd
	s_delay_alu instid0(VALU_DEP_2) | instskip(NEXT) | instid1(VALU_DEP_1)
	v_dual_add_f32 v55, v72, v77 :: v_dual_cndmask_b32 v74, 0x7f800000, v74
	v_add_f32_e32 v138, v74, v55
	v_cvt_f16_f32_e32 v78, v69
	v_sub_f32_e32 v55, v75, v5
	v_sub_f32_e32 v75, v81, v5
	v_cvt_f16_f32_e32 v73, v74
	s_delay_alu instid0(VALU_DEP_4) | instskip(NEXT) | instid1(VALU_DEP_4)
	v_dual_sub_f32 v74, v76, v5 :: v_dual_and_b32 v77, 0xffff, v78
	v_cmp_ngt_f32_e32 vcc_lo, 0xc2ce8ed0, v55
	v_cvt_f16_f32_e32 v71, v71
	v_cvt_f16_f32_e32 v72, v72
	s_delay_alu instid0(VALU_DEP_4)
	v_mul_f32_e32 v78, 0x3fb8aa3b, v74
	v_sub_f32_e32 v76, v87, v5
	v_sub_f32_e32 v68, v68, v5
	v_mul_f32_e32 v80, 0x3fb8aa3b, v75
	v_mul_u32_u24_e32 v130, 0x10001, v77
	v_mul_f32_e32 v77, 0x3fb8aa3b, v55
	v_mul_f32_e32 v81, 0x3fb8aa3b, v76
	v_fma_f32 v87, 0x3fb8aa3b, v74, -v78
	v_fma_f32 v91, 0x3fb8aa3b, v75, -v80
	v_rndne_f32_e32 v92, v80
	v_fma_f32 v83, 0x3fb8aa3b, v55, -v77
	v_rndne_f32_e32 v126, v81
	v_mul_f32_e32 v82, 0x3fb8aa3b, v68
	v_fma_f32 v93, 0x3fb8aa3b, v76, -v81
	v_dual_fmac_f32 v87, 0x32a5705f, v74 :: v_dual_sub_f32 v80, v80, v92
	s_delay_alu instid0(VALU_DEP_4) | instskip(NEXT) | instid1(VALU_DEP_4)
	v_sub_f32_e32 v81, v81, v126
	v_rndne_f32_e32 v128, v82
	v_fmac_f32_e32 v91, 0x32a5705f, v75
	v_rndne_f32_e32 v90, v78
	v_fma_f32 v127, 0x3fb8aa3b, v68, -v82
	v_rndne_f32_e32 v84, v77
	v_sub_f32_e32 v82, v82, v128
	v_dual_fmac_f32 v93, 0x32a5705f, v76 :: v_dual_add_f32 v80, v80, v91
	v_dual_fmac_f32 v83, 0x32a5705f, v55 :: v_dual_sub_f32 v78, v78, v90
	s_delay_alu instid0(VALU_DEP_4) | instskip(SKIP_1) | instid1(VALU_DEP_4)
	v_sub_f32_e32 v77, v77, v84
	v_cvt_i32_f32_e32 v91, v128
	v_exp_f32_e32 v80, v80
	v_pk_mul_f16 v131, v38, v130
	v_add_f32_e32 v78, v78, v87
	v_cvt_i32_f32_e32 v87, v92
	v_fmac_f32_e32 v138, v67, v69
	s_delay_alu instid0(VALU_DEP_3)
	v_exp_f32_e32 v78, v78
	s_delay_alu instid0(TRANS32_DEP_2) | instid1(VALU_DEP_2)
	v_ldexp_f32 v80, v80, v87
	v_add_f32_e32 v77, v77, v83
	v_cvt_i32_f32_e32 v83, v84
	v_cvt_i32_f32_e32 v84, v90
	;; [unrolled: 1-line block ×3, first 2 shown]
	s_delay_alu instid0(VALU_DEP_4)
	v_exp_f32_e32 v77, v77
	s_delay_alu instid0(TRANS32_DEP_2) | instid1(VALU_DEP_2)
	v_ldexp_f32 v78, v78, v84
	s_delay_alu instid0(TRANS32_DEP_1) | instskip(SKIP_1) | instid1(VALU_DEP_1)
	v_ldexp_f32 v77, v77, v83
	s_wait_alu 0xfffd
	v_cndmask_b32_e32 v77, 0, v77, vcc_lo
	v_cmp_ngt_f32_e32 vcc_lo, 0xc2ce8ed0, v74
	s_wait_alu 0xfffd
	v_dual_fmac_f32 v127, 0x32a5705f, v68 :: v_dual_cndmask_b32 v78, 0, v78
	s_delay_alu instid0(VALU_DEP_1) | instskip(SKIP_1) | instid1(VALU_DEP_2)
	v_dual_add_f32 v81, v81, v93 :: v_dual_add_f32 v82, v82, v127
	v_cmp_ngt_f32_e32 vcc_lo, 0xc2ce8ed0, v75
	v_exp_f32_e32 v81, v81
	s_delay_alu instid0(VALU_DEP_2) | instskip(SKIP_3) | instid1(TRANS32_DEP_2)
	v_exp_f32_e32 v82, v82
	s_wait_alu 0xfffd
	v_cndmask_b32_e32 v80, 0, v80, vcc_lo
	v_cmp_ngt_f32_e32 vcc_lo, 0xc2ce8ed0, v76
	v_ldexp_f32 v81, v81, v90
	s_delay_alu instid0(TRANS32_DEP_1) | instskip(SKIP_1) | instid1(VALU_DEP_2)
	v_ldexp_f32 v82, v82, v91
	s_wait_alu 0xfffd
	v_cndmask_b32_e32 v81, 0, v81, vcc_lo
	v_cmp_ngt_f32_e32 vcc_lo, 0xc2ce8ed0, v68
	s_wait_alu 0xfffd
	v_cndmask_b32_e32 v82, 0, v82, vcc_lo
	v_cmp_nlt_f32_e32 vcc_lo, 0x42b17218, v55
	s_wait_alu 0xfffd
	v_cndmask_b32_e32 v77, 0x7f800000, v77, vcc_lo
	v_cmp_nlt_f32_e32 vcc_lo, 0x42b17218, v74
	;; [unrolled: 3-line block ×3, first 2 shown]
	s_delay_alu instid0(VALU_DEP_2)
	v_add_f32_e32 v67, v77, v74
	s_wait_alu 0xfffd
	v_cndmask_b32_e32 v68, 0x7f800000, v82, vcc_lo
	v_cmp_nlt_f32_e32 vcc_lo, 0x42b17218, v75
	s_wait_alu 0xfffd
	v_cndmask_b32_e32 v75, 0x7f800000, v80, vcc_lo
	v_cmp_nlt_f32_e32 vcc_lo, 0x42b17218, v76
	v_cvt_f16_f32_e32 v76, v68
	s_delay_alu instid0(VALU_DEP_3) | instskip(SKIP_1) | instid1(VALU_DEP_3)
	v_add_f32_e32 v38, v75, v67
	v_cvt_f16_f32_e32 v78, v77
	v_and_b32_e32 v76, 0xffff, v76
	s_wait_alu 0xfffd
	v_cndmask_b32_e32 v55, 0x7f800000, v81, vcc_lo
	v_cvt_f16_f32_e32 v81, v75
	v_pack_b32_f16 v78, v79, v78
	v_mul_u32_u24_e32 v87, 0x10001, v76
	s_delay_alu instid0(VALU_DEP_4) | instskip(SKIP_2) | instid1(VALU_DEP_4)
	v_cvt_f16_f32_e32 v82, v55
	v_add_f32_e32 v55, v55, v38
	v_pack_b32_f16 v72, v72, v81
	v_pk_mul_f16 v35, v35, v87
	s_delay_alu instid0(VALU_DEP_4) | instskip(NEXT) | instid1(VALU_DEP_4)
	v_pack_b32_f16 v73, v73, v82
	v_fmac_f32_e32 v55, v66, v68
	v_cvt_f16_f32_e32 v80, v74
	s_delay_alu instid0(VALU_DEP_1)
	v_pack_b32_f16 v71, v71, v80
	ds_store_2addr_b32 v70, v78, v71 offset1:32
	ds_store_2addr_b32 v70, v72, v73 offset0:64 offset1:96
	s_wait_loadcnt 0x7
	ds_store_b128 v47, v[94:97]
	s_wait_loadcnt 0x6
	ds_store_b128 v56, v[98:101]
	s_wait_loadcnt 0x5
	ds_store_b128 v58, v[102:105]
	s_wait_loadcnt 0x4
	ds_store_b128 v59, v[106:109]
	s_wait_loadcnt 0x3
	ds_store_b128 v60, v[110:113]
	s_wait_loadcnt 0x2
	ds_store_b128 v61, v[114:117]
	s_wait_loadcnt 0x1
	ds_store_b128 v62, v[118:121]
	s_wait_loadcnt 0x0
	ds_store_b128 v63, v[122:125]
	s_wait_dscnt 0x0
	s_barrier_signal -1
	s_barrier_wait -1
	global_inv scope:SCOPE_SE
	ds_load_b128 v[69:72], v36
	ds_load_2addr_b64 v[73:76], v34 offset1:32
	ds_load_2addr_b64 v[77:80], v34 offset0:64 offset1:96
	ds_load_2addr_b64 v[81:84], v34 offset0:128 offset1:160
	ds_load_b128 v[90:93], v36 offset:16
	ds_load_2addr_b64 v[94:97], v34 offset0:192 offset1:224
	ds_load_2addr_b64 v[98:101], v85 offset1:32
	ds_load_2addr_b64 v[102:105], v85 offset0:64 offset1:96
	ds_load_2addr_b64 v[106:109], v85 offset0:128 offset1:160
	ds_load_b128 v[110:113], v36 offset:32
	ds_load_b128 v[114:117], v36 offset:48
	ds_load_2addr_b64 v[118:121], v85 offset0:192 offset1:224
	ds_load_2addr_b64 v[122:125], v86 offset1:32
	ds_load_2addr_b64 v[126:129], v86 offset0:64 offset1:96
	ds_load_2addr_b64 v[139:142], v86 offset0:128 offset1:160
	ds_load_b128 v[143:146], v36 offset:64
	ds_load_b128 v[147:150], v36 offset:80
	s_wait_dscnt 0xc
	v_lshrrev_b32_e32 v134, 16, v90
	v_and_b32_e32 v90, 0xffff, v90
	v_lshrrev_b32_e32 v136, 16, v91
	v_and_b32_e32 v91, 0xffff, v91
	v_lshrrev_b32_e32 v151, 16, v92
	v_mul_u32_u24_e32 v134, 0x10001, v134
	v_mul_u32_u24_e32 v90, 0x10001, v90
	v_and_b32_e32 v92, 0xffff, v92
	v_mul_u32_u24_e32 v91, 0x10001, v91
	v_mul_u32_u24_e32 v136, 0x10001, v136
	v_lshrrev_b32_e32 v152, 16, v93
	v_lshrrev_b32_e32 v67, 16, v69
	v_and_b32_e32 v69, 0xffff, v69
	v_lshrrev_b32_e32 v85, 16, v70
	v_and_b32_e32 v70, 0xffff, v70
	v_lshrrev_b32_e32 v132, 16, v71
	v_mul_u32_u24_e32 v67, 0x10001, v67
	v_mul_u32_u24_e32 v69, 0x10001, v69
	v_and_b32_e32 v71, 0xffff, v71
	v_mul_u32_u24_e32 v70, 0x10001, v70
	v_mul_u32_u24_e32 v85, 0x10001, v85
	v_pk_fma_f16 v35, v74, v67, v35
	v_pk_mul_f16 v165, v73, v69
	v_pk_mul_f16 v73, v73, v67
	v_pk_fma_f16 v69, v74, v69, v131
	v_lshrrev_b32_e32 v133, 16, v72
	v_and_b32_e32 v72, 0xffff, v72
	v_pk_fma_f16 v89, v89, v130, v165
	v_pk_fma_f16 v73, v88, v87, v73
	v_mul_u32_u24_e32 v71, 0x10001, v71
	v_mul_u32_u24_e32 v132, 0x10001, v132
	v_pk_fma_f16 v69, v76, v70, v69
	v_pk_fma_f16 v67, v75, v70, v89
	;; [unrolled: 1-line block ×4, first 2 shown]
	v_mul_u32_u24_e32 v72, 0x10001, v72
	v_mul_u32_u24_e32 v133, 0x10001, v133
	v_pk_fma_f16 v67, v77, v71, v67
	v_pk_fma_f16 v73, v77, v132, v73
	;; [unrolled: 1-line block ×4, first 2 shown]
	v_and_b32_e32 v93, 0xffff, v93
	v_pk_fma_f16 v67, v79, v72, v67
	v_pk_fma_f16 v73, v79, v133, v73
	;; [unrolled: 1-line block ×4, first 2 shown]
	v_mul_u32_u24_e32 v92, 0x10001, v92
	v_pk_fma_f16 v67, v81, v90, v67
	v_pk_fma_f16 v73, v81, v134, v73
	;; [unrolled: 1-line block ×4, first 2 shown]
	v_mul_u32_u24_e32 v151, 0x10001, v151
	v_pk_fma_f16 v67, v83, v91, v67
	v_pk_fma_f16 v73, v83, v136, v73
	;; [unrolled: 1-line block ×4, first 2 shown]
	s_wait_dscnt 0x7
	v_lshrrev_b32_e32 v153, 16, v110
	v_and_b32_e32 v110, 0xffff, v110
	v_mul_u32_u24_e32 v93, 0x10001, v93
	v_mul_u32_u24_e32 v152, 0x10001, v152
	v_pk_fma_f16 v67, v94, v92, v67
	v_pk_fma_f16 v73, v94, v151, v73
	v_pk_fma_f16 v69, v95, v92, v69
	v_pk_fma_f16 v35, v95, v151, v35
	v_lshrrev_b32_e32 v154, 16, v111
	v_and_b32_e32 v111, 0xffff, v111
	v_mul_u32_u24_e32 v110, 0x10001, v110
	v_mul_u32_u24_e32 v153, 0x10001, v153
	v_pk_fma_f16 v67, v96, v93, v67
	v_pk_fma_f16 v73, v96, v152, v73
	v_pk_fma_f16 v69, v97, v93, v69
	v_pk_fma_f16 v35, v97, v152, v35
	;; [unrolled: 8-line block ×4, first 2 shown]
	s_wait_dscnt 0x6
	v_lshrrev_b32_e32 v157, 16, v114
	v_and_b32_e32 v114, 0xffff, v114
	v_mul_u32_u24_e32 v70, 0x10001, v113
	v_mul_u32_u24_e32 v71, 0x10001, v156
	v_pk_fma_f16 v67, v102, v112, v67
	v_pk_fma_f16 v73, v102, v87, v73
	v_pk_fma_f16 v69, v103, v112, v69
	v_pk_fma_f16 v35, v103, v87, v35
	v_lshrrev_b32_e32 v158, 16, v115
	v_and_b32_e32 v115, 0xffff, v115
	v_mul_u32_u24_e32 v72, 0x10001, v114
	v_mul_u32_u24_e32 v74, 0x10001, v157
	v_pk_fma_f16 v67, v104, v70, v67
	v_pk_fma_f16 v73, v104, v71, v73
	v_pk_fma_f16 v69, v105, v70, v69
	v_pk_fma_f16 v35, v105, v71, v35
	;; [unrolled: 8-line block ×4, first 2 shown]
	s_wait_dscnt 0x1
	v_lshrrev_b32_e32 v161, 16, v143
	v_and_b32_e32 v143, 0xffff, v143
	v_mul_u32_u24_e32 v79, 0x10001, v117
	v_mul_u32_u24_e32 v80, 0x10001, v160
	v_pk_fma_f16 v67, v118, v77, v67
	v_pk_fma_f16 v71, v118, v78, v71
	v_pk_fma_f16 v69, v119, v77, v69
	v_pk_fma_f16 v35, v119, v78, v35
	v_lshrrev_b32_e32 v162, 16, v144
	v_and_b32_e32 v144, 0xffff, v144
	v_mul_u32_u24_e32 v70, 0x10001, v143
	v_mul_u32_u24_e32 v72, 0x10001, v161
	v_pk_fma_f16 v67, v120, v79, v67
	v_pk_fma_f16 v71, v120, v80, v71
	v_pk_fma_f16 v69, v121, v79, v69
	v_pk_fma_f16 v35, v121, v80, v35
	;; [unrolled: 8-line block ×3, first 2 shown]
	v_lshrrev_b32_e32 v164, 16, v146
	v_mul_u32_u24_e32 v75, 0x10001, v145
	v_mul_u32_u24_e32 v70, 0x10001, v163
	v_pk_fma_f16 v67, v124, v73, v67
	v_pk_fma_f16 v71, v124, v74, v71
	;; [unrolled: 1-line block ×3, first 2 shown]
	v_and_b32_e32 v72, 0xffff, v146
	v_pk_fma_f16 v35, v125, v74, v35
	v_pk_fma_f16 v67, v126, v75, v67
	;; [unrolled: 1-line block ×4, first 2 shown]
	v_mul_u32_u24_e32 v72, 0x10001, v72
	v_mul_u32_u24_e32 v73, 0x10001, v164
	v_pk_fma_f16 v35, v127, v70, v35
	s_wait_dscnt 0x0
	v_and_b32_e32 v70, 0xffff, v147
	v_lshrrev_b32_e32 v74, 16, v147
	v_pk_fma_f16 v67, v128, v72, v67
	v_pk_fma_f16 v75, v128, v73, v71
	;; [unrolled: 1-line block ×3, first 2 shown]
	v_mul_u32_u24_e32 v77, 0x10001, v70
	v_mul_u32_u24_e32 v78, 0x10001, v74
	v_pk_fma_f16 v35, v129, v73, v35
	v_and_b32_e32 v73, 0xffff, v148
	v_lshrrev_b32_e32 v74, 16, v148
	ds_load_2addr_b64 v[69:72], v86 offset0:192 offset1:224
	v_pk_fma_f16 v67, v139, v77, v67
	v_pk_fma_f16 v79, v139, v78, v75
	;; [unrolled: 1-line block ×3, first 2 shown]
	v_mul_u32_u24_e32 v80, 0x10001, v73
	v_mul_u32_u24_e32 v81, 0x10001, v74
	ds_load_b128 v[73:76], v36 offset:96
	v_pk_fma_f16 v35, v140, v78, v35
	v_lshrrev_b32_e32 v78, 16, v149
	v_add_nc_u32_e32 v89, 0x1800, v34
	v_and_b32_e32 v82, 0xffff, v149
	v_pk_fma_f16 v67, v141, v80, v67
	v_pk_fma_f16 v83, v141, v81, v79
	;; [unrolled: 1-line block ×4, first 2 shown]
	v_mul_u32_u24_e32 v81, 0x10001, v78
	ds_load_2addr_b64 v[77:80], v89 offset1:32
	v_mul_u32_u24_e32 v82, 0x10001, v82
	v_and_b32_e32 v85, 0xffff, v150
	v_lshrrev_b32_e32 v86, 16, v150
	s_wait_dscnt 0x2
	v_pk_fma_f16 v35, v70, v81, v35
	v_pk_fma_f16 v67, v69, v82, v67
	;; [unrolled: 1-line block ×4, first 2 shown]
	v_mul_u32_u24_e32 v70, 0x10001, v85
	v_mul_u32_u24_e32 v90, 0x10001, v86
	ds_load_b128 v[81:84], v36 offset:112
	s_wait_dscnt 0x2
	v_and_b32_e32 v85, 0xffff, v73
	v_lshrrev_b32_e32 v73, 16, v73
	v_pk_fma_f16 v67, v71, v70, v67
	v_pk_fma_f16 v69, v71, v90, v69
	;; [unrolled: 1-line block ×3, first 2 shown]
	v_mul_u32_u24_e32 v71, 0x10001, v85
	v_mul_u32_u24_e32 v73, 0x10001, v73
	v_and_b32_e32 v91, 0xffff, v74
	ds_load_2addr_b64 v[85:88], v89 offset0:64 offset1:96
	v_pk_fma_f16 v35, v72, v90, v35
	v_lshrrev_b32_e32 v72, 16, v74
	s_wait_dscnt 0x2
	v_pk_fma_f16 v67, v77, v71, v67
	v_mul_u32_u24_e32 v74, 0x10001, v91
	v_pk_fma_f16 v69, v77, v73, v69
	v_pk_fma_f16 v70, v78, v71, v70
	v_mul_u32_u24_e32 v71, 0x10001, v72
	v_pk_fma_f16 v35, v78, v73, v35
	v_and_b32_e32 v72, 0xffff, v75
	v_pk_fma_f16 v67, v79, v74, v67
	v_lshrrev_b32_e32 v73, 16, v75
	v_pk_fma_f16 v75, v79, v71, v69
	v_pk_fma_f16 v74, v80, v74, v70
	;; [unrolled: 1-line block ×3, first 2 shown]
	v_mul_u32_u24_e32 v77, 0x10001, v72
	ds_load_2addr_b64 v[69:72], v89 offset0:128 offset1:160
	v_mul_u32_u24_e32 v73, 0x10001, v73
	v_and_b32_e32 v78, 0xffff, v76
	v_lshrrev_b32_e32 v76, 16, v76
	s_wait_dscnt 0x1
	v_pk_fma_f16 v67, v85, v77, v67
	v_pk_fma_f16 v74, v86, v77, v74
	;; [unrolled: 1-line block ×3, first 2 shown]
	v_mul_u32_u24_e32 v77, 0x10001, v78
	v_mul_u32_u24_e32 v78, 0x10001, v76
	v_pk_fma_f16 v35, v86, v73, v35
	v_and_b32_e32 v73, 0xffff, v81
	v_lshrrev_b32_e32 v76, 16, v81
	v_pk_fma_f16 v67, v87, v77, v67
	v_pk_fma_f16 v79, v87, v78, v75
	;; [unrolled: 1-line block ×3, first 2 shown]
	v_mul_u32_u24_e32 v80, 0x10001, v73
	v_mul_u32_u24_e32 v81, 0x10001, v76
	v_pk_fma_f16 v35, v88, v78, v35
	v_and_b32_e32 v78, 0xffff, v82
	v_lshrrev_b32_e32 v82, 16, v82
	ds_load_2addr_b64 v[73:76], v89 offset0:192 offset1:224
	s_wait_dscnt 0x1
	v_pk_fma_f16 v67, v69, v80, v67
	v_pk_fma_f16 v69, v69, v81, v79
	;; [unrolled: 1-line block ×3, first 2 shown]
	v_mul_u32_u24_e32 v86, 0x10001, v78
	v_mul_u32_u24_e32 v82, 0x10001, v82
	ds_load_b128 v[77:80], v36 offset:128
	v_pk_fma_f16 v35, v70, v81, v35
	v_add_nc_u32_e32 v89, 0x2000, v34
	v_and_b32_e32 v87, 0xffff, v83
	v_pk_fma_f16 v81, v71, v82, v69
	v_lshrrev_b32_e32 v69, 16, v83
	v_pk_fma_f16 v67, v71, v86, v67
	v_pk_fma_f16 v85, v72, v86, v85
	;; [unrolled: 1-line block ×3, first 2 shown]
	v_mul_u32_u24_e32 v83, 0x10001, v87
	v_mul_u32_u24_e32 v82, 0x10001, v69
	ds_load_2addr_b64 v[69:72], v89 offset1:32
	v_and_b32_e32 v86, 0xffff, v84
	v_lshrrev_b32_e32 v84, 16, v84
	s_wait_dscnt 0x2
	v_pk_fma_f16 v67, v73, v83, v67
	v_pk_fma_f16 v73, v73, v82, v81
	;; [unrolled: 1-line block ×4, first 2 shown]
	v_mul_u32_u24_e32 v74, 0x10001, v86
	v_mul_u32_u24_e32 v90, 0x10001, v84
	ds_load_b128 v[81:84], v36 offset:144
	s_wait_dscnt 0x2
	v_and_b32_e32 v86, 0xffff, v77
	v_lshrrev_b32_e32 v77, 16, v77
	v_pk_fma_f16 v67, v75, v74, v67
	v_pk_fma_f16 v73, v75, v90, v73
	;; [unrolled: 1-line block ×3, first 2 shown]
	v_mul_u32_u24_e32 v75, 0x10001, v86
	v_mul_u32_u24_e32 v77, 0x10001, v77
	v_and_b32_e32 v91, 0xffff, v78
	ds_load_2addr_b64 v[85:88], v89 offset0:64 offset1:96
	v_pk_fma_f16 v35, v76, v90, v35
	v_lshrrev_b32_e32 v76, 16, v78
	s_wait_dscnt 0x2
	v_pk_fma_f16 v67, v69, v75, v67
	v_mul_u32_u24_e32 v78, 0x10001, v91
	v_pk_fma_f16 v69, v69, v77, v73
	v_pk_fma_f16 v73, v70, v75, v74
	v_mul_u32_u24_e32 v74, 0x10001, v76
	v_pk_fma_f16 v35, v70, v77, v35
	v_and_b32_e32 v70, 0xffff, v79
	v_pk_fma_f16 v67, v71, v78, v67
	v_lshrrev_b32_e32 v75, 16, v79
	v_pk_fma_f16 v76, v71, v74, v69
	v_pk_fma_f16 v73, v72, v78, v73
	;; [unrolled: 1-line block ×3, first 2 shown]
	v_mul_u32_u24_e32 v74, 0x10001, v70
	ds_load_2addr_b64 v[69:72], v89 offset0:128 offset1:160
	v_mul_u32_u24_e32 v75, 0x10001, v75
	v_and_b32_e32 v77, 0xffff, v80
	v_lshrrev_b32_e32 v78, 16, v80
	s_wait_dscnt 0x1
	v_pk_fma_f16 v67, v85, v74, v67
	v_pk_fma_f16 v73, v86, v74, v73
	;; [unrolled: 1-line block ×3, first 2 shown]
	v_mul_u32_u24_e32 v74, 0x10001, v77
	v_mul_u32_u24_e32 v77, 0x10001, v78
	v_pk_fma_f16 v35, v86, v75, v35
	v_and_b32_e32 v75, 0xffff, v81
	v_lshrrev_b32_e32 v78, 16, v81
	v_pk_fma_f16 v67, v87, v74, v67
	v_pk_fma_f16 v79, v87, v77, v76
	;; [unrolled: 1-line block ×3, first 2 shown]
	v_mul_u32_u24_e32 v81, 0x10001, v75
	v_mul_u32_u24_e32 v85, 0x10001, v78
	v_pk_fma_f16 v35, v88, v77, v35
	v_and_b32_e32 v77, 0xffff, v82
	v_lshrrev_b32_e32 v78, 16, v82
	ds_load_2addr_b64 v[73:76], v89 offset0:192 offset1:224
	s_wait_dscnt 0x1
	v_pk_fma_f16 v67, v69, v81, v67
	v_pk_fma_f16 v69, v69, v85, v79
	;; [unrolled: 1-line block ×3, first 2 shown]
	v_mul_u32_u24_e32 v82, 0x10001, v77
	v_mul_u32_u24_e32 v86, 0x10001, v78
	ds_load_b128 v[77:80], v36 offset:160
	v_pk_fma_f16 v35, v70, v85, v35
	v_add_nc_u32_e32 v89, 0x2800, v34
	v_and_b32_e32 v87, 0xffff, v83
	v_pk_fma_f16 v85, v71, v86, v69
	v_lshrrev_b32_e32 v69, 16, v83
	v_pk_fma_f16 v67, v71, v82, v67
	v_pk_fma_f16 v81, v72, v82, v81
	;; [unrolled: 1-line block ×3, first 2 shown]
	v_mul_u32_u24_e32 v83, 0x10001, v87
	v_mul_u32_u24_e32 v82, 0x10001, v69
	ds_load_2addr_b64 v[69:72], v89 offset1:32
	v_and_b32_e32 v86, 0xffff, v84
	v_lshrrev_b32_e32 v84, 16, v84
	s_wait_dscnt 0x2
	v_pk_fma_f16 v67, v73, v83, v67
	v_pk_fma_f16 v73, v73, v82, v85
	;; [unrolled: 1-line block ×4, first 2 shown]
	v_mul_u32_u24_e32 v74, 0x10001, v86
	v_mul_u32_u24_e32 v90, 0x10001, v84
	ds_load_b128 v[81:84], v36 offset:176
	s_wait_dscnt 0x2
	v_and_b32_e32 v86, 0xffff, v77
	v_lshrrev_b32_e32 v77, 16, v77
	v_pk_fma_f16 v67, v75, v74, v67
	v_pk_fma_f16 v73, v75, v90, v73
	;; [unrolled: 1-line block ×3, first 2 shown]
	v_mul_u32_u24_e32 v75, 0x10001, v86
	v_mul_u32_u24_e32 v77, 0x10001, v77
	v_and_b32_e32 v91, 0xffff, v78
	ds_load_2addr_b64 v[85:88], v89 offset0:64 offset1:96
	v_pk_fma_f16 v35, v76, v90, v35
	v_lshrrev_b32_e32 v76, 16, v78
	s_wait_dscnt 0x2
	v_pk_fma_f16 v67, v69, v75, v67
	v_mul_u32_u24_e32 v78, 0x10001, v91
	v_pk_fma_f16 v69, v69, v77, v73
	v_pk_fma_f16 v73, v70, v75, v74
	v_mul_u32_u24_e32 v74, 0x10001, v76
	v_pk_fma_f16 v35, v70, v77, v35
	v_and_b32_e32 v70, 0xffff, v79
	v_pk_fma_f16 v67, v71, v78, v67
	v_lshrrev_b32_e32 v75, 16, v79
	v_pk_fma_f16 v76, v71, v74, v69
	v_pk_fma_f16 v73, v72, v78, v73
	;; [unrolled: 1-line block ×3, first 2 shown]
	v_mul_u32_u24_e32 v74, 0x10001, v70
	ds_load_2addr_b64 v[69:72], v89 offset0:128 offset1:160
	v_mul_u32_u24_e32 v75, 0x10001, v75
	v_and_b32_e32 v77, 0xffff, v80
	v_lshrrev_b32_e32 v78, 16, v80
	s_wait_dscnt 0x1
	v_pk_fma_f16 v67, v85, v74, v67
	v_pk_fma_f16 v73, v86, v74, v73
	;; [unrolled: 1-line block ×3, first 2 shown]
	v_mul_u32_u24_e32 v74, 0x10001, v77
	v_mul_u32_u24_e32 v77, 0x10001, v78
	v_pk_fma_f16 v35, v86, v75, v35
	v_and_b32_e32 v75, 0xffff, v81
	v_lshrrev_b32_e32 v78, 16, v81
	v_pk_fma_f16 v67, v87, v74, v67
	v_pk_fma_f16 v79, v87, v77, v76
	;; [unrolled: 1-line block ×3, first 2 shown]
	v_mul_u32_u24_e32 v81, 0x10001, v75
	v_mul_u32_u24_e32 v85, 0x10001, v78
	v_pk_fma_f16 v35, v88, v77, v35
	v_and_b32_e32 v77, 0xffff, v82
	v_lshrrev_b32_e32 v78, 16, v82
	ds_load_2addr_b64 v[73:76], v89 offset0:192 offset1:224
	s_wait_dscnt 0x1
	v_pk_fma_f16 v67, v69, v81, v67
	v_pk_fma_f16 v69, v69, v85, v79
	;; [unrolled: 1-line block ×3, first 2 shown]
	v_mul_u32_u24_e32 v82, 0x10001, v77
	v_mul_u32_u24_e32 v86, 0x10001, v78
	ds_load_b128 v[77:80], v36 offset:192
	v_pk_fma_f16 v35, v70, v85, v35
	v_add_nc_u32_e32 v89, 0x3000, v34
	v_and_b32_e32 v87, 0xffff, v83
	v_pk_fma_f16 v85, v71, v86, v69
	v_lshrrev_b32_e32 v69, 16, v83
	v_pk_fma_f16 v67, v71, v82, v67
	v_pk_fma_f16 v81, v72, v82, v81
	v_pk_fma_f16 v35, v72, v86, v35
	v_mul_u32_u24_e32 v83, 0x10001, v87
	v_mul_u32_u24_e32 v82, 0x10001, v69
	ds_load_2addr_b64 v[69:72], v89 offset1:32
	v_and_b32_e32 v86, 0xffff, v84
	v_lshrrev_b32_e32 v84, 16, v84
	s_wait_dscnt 0x2
	v_pk_fma_f16 v67, v73, v83, v67
	v_pk_fma_f16 v73, v73, v82, v85
	;; [unrolled: 1-line block ×4, first 2 shown]
	v_mul_u32_u24_e32 v74, 0x10001, v86
	v_mul_u32_u24_e32 v90, 0x10001, v84
	ds_load_b128 v[81:84], v36 offset:208
	s_wait_dscnt 0x2
	v_and_b32_e32 v86, 0xffff, v77
	v_lshrrev_b32_e32 v77, 16, v77
	v_pk_fma_f16 v67, v75, v74, v67
	v_pk_fma_f16 v73, v75, v90, v73
	v_pk_fma_f16 v74, v76, v74, v85
	v_mul_u32_u24_e32 v75, 0x10001, v86
	v_mul_u32_u24_e32 v77, 0x10001, v77
	v_and_b32_e32 v91, 0xffff, v78
	ds_load_2addr_b64 v[85:88], v89 offset0:64 offset1:96
	v_pk_fma_f16 v35, v76, v90, v35
	v_lshrrev_b32_e32 v76, 16, v78
	s_wait_dscnt 0x2
	v_pk_fma_f16 v67, v69, v75, v67
	v_mul_u32_u24_e32 v78, 0x10001, v91
	v_pk_fma_f16 v69, v69, v77, v73
	v_pk_fma_f16 v73, v70, v75, v74
	v_mul_u32_u24_e32 v74, 0x10001, v76
	v_pk_fma_f16 v35, v70, v77, v35
	v_and_b32_e32 v70, 0xffff, v79
	v_pk_fma_f16 v67, v71, v78, v67
	v_lshrrev_b32_e32 v75, 16, v79
	v_pk_fma_f16 v76, v71, v74, v69
	v_pk_fma_f16 v73, v72, v78, v73
	;; [unrolled: 1-line block ×3, first 2 shown]
	v_mul_u32_u24_e32 v74, 0x10001, v70
	ds_load_2addr_b64 v[69:72], v89 offset0:128 offset1:160
	v_mul_u32_u24_e32 v75, 0x10001, v75
	v_and_b32_e32 v77, 0xffff, v80
	v_lshrrev_b32_e32 v78, 16, v80
	s_wait_dscnt 0x1
	v_pk_fma_f16 v67, v85, v74, v67
	v_pk_fma_f16 v73, v86, v74, v73
	v_pk_fma_f16 v76, v85, v75, v76
	v_mul_u32_u24_e32 v74, 0x10001, v77
	v_mul_u32_u24_e32 v77, 0x10001, v78
	v_pk_fma_f16 v35, v86, v75, v35
	v_and_b32_e32 v75, 0xffff, v81
	v_lshrrev_b32_e32 v78, 16, v81
	v_pk_fma_f16 v67, v87, v74, v67
	v_pk_fma_f16 v79, v87, v77, v76
	;; [unrolled: 1-line block ×3, first 2 shown]
	v_mul_u32_u24_e32 v81, 0x10001, v75
	v_mul_u32_u24_e32 v85, 0x10001, v78
	v_pk_fma_f16 v35, v88, v77, v35
	v_and_b32_e32 v77, 0xffff, v82
	v_lshrrev_b32_e32 v78, 16, v82
	ds_load_2addr_b64 v[73:76], v89 offset0:192 offset1:224
	s_wait_dscnt 0x1
	v_pk_fma_f16 v67, v69, v81, v67
	v_pk_fma_f16 v69, v69, v85, v79
	;; [unrolled: 1-line block ×3, first 2 shown]
	v_mul_u32_u24_e32 v82, 0x10001, v77
	v_mul_u32_u24_e32 v86, 0x10001, v78
	ds_load_b128 v[77:80], v36 offset:224
	v_pk_fma_f16 v35, v70, v85, v35
	v_add_nc_u32_e32 v89, 0x3800, v34
	v_and_b32_e32 v87, 0xffff, v83
	v_pk_fma_f16 v85, v71, v86, v69
	v_lshrrev_b32_e32 v69, 16, v83
	v_pk_fma_f16 v67, v71, v82, v67
	v_pk_fma_f16 v81, v72, v82, v81
	v_pk_fma_f16 v35, v72, v86, v35
	v_mul_u32_u24_e32 v83, 0x10001, v87
	v_mul_u32_u24_e32 v82, 0x10001, v69
	ds_load_2addr_b64 v[69:72], v89 offset1:32
	v_and_b32_e32 v86, 0xffff, v84
	v_lshrrev_b32_e32 v84, 16, v84
	s_wait_dscnt 0x2
	v_pk_fma_f16 v67, v73, v83, v67
	v_pk_fma_f16 v73, v73, v82, v85
	;; [unrolled: 1-line block ×4, first 2 shown]
	v_mul_u32_u24_e32 v74, 0x10001, v86
	v_mul_u32_u24_e32 v90, 0x10001, v84
	ds_load_b128 v[81:84], v36 offset:240
	s_wait_dscnt 0x2
	v_and_b32_e32 v86, 0xffff, v77
	v_lshrrev_b32_e32 v77, 16, v77
	v_pk_fma_f16 v67, v75, v74, v67
	v_pk_fma_f16 v73, v75, v90, v73
	;; [unrolled: 1-line block ×3, first 2 shown]
	v_mul_u32_u24_e32 v75, 0x10001, v86
	v_mul_u32_u24_e32 v77, 0x10001, v77
	v_and_b32_e32 v91, 0xffff, v78
	ds_load_2addr_b64 v[85:88], v89 offset0:64 offset1:96
	v_pk_fma_f16 v35, v76, v90, v35
	v_lshrrev_b32_e32 v76, 16, v78
	s_wait_dscnt 0x2
	v_pk_fma_f16 v67, v69, v75, v67
	v_mul_u32_u24_e32 v78, 0x10001, v91
	v_pk_fma_f16 v69, v69, v77, v73
	v_pk_fma_f16 v73, v70, v75, v74
	v_mul_u32_u24_e32 v74, 0x10001, v76
	v_pk_fma_f16 v35, v70, v77, v35
	v_and_b32_e32 v70, 0xffff, v79
	v_pk_fma_f16 v67, v71, v78, v67
	v_lshrrev_b32_e32 v75, 16, v79
	v_pk_fma_f16 v76, v71, v74, v69
	v_pk_fma_f16 v73, v72, v78, v73
	;; [unrolled: 1-line block ×3, first 2 shown]
	v_mul_u32_u24_e32 v74, 0x10001, v70
	ds_load_2addr_b64 v[69:72], v89 offset0:128 offset1:160
	v_mul_u32_u24_e32 v75, 0x10001, v75
	v_and_b32_e32 v77, 0xffff, v80
	v_lshrrev_b32_e32 v78, 16, v80
	s_wait_dscnt 0x1
	v_pk_fma_f16 v67, v85, v74, v67
	v_pk_fma_f16 v73, v86, v74, v73
	;; [unrolled: 1-line block ×3, first 2 shown]
	v_mul_u32_u24_e32 v74, 0x10001, v77
	v_mul_u32_u24_e32 v77, 0x10001, v78
	v_pk_fma_f16 v35, v86, v75, v35
	v_and_b32_e32 v75, 0xffff, v81
	v_lshrrev_b32_e32 v78, 16, v81
	v_pk_fma_f16 v67, v87, v74, v67
	v_pk_fma_f16 v79, v87, v77, v76
	;; [unrolled: 1-line block ×3, first 2 shown]
	v_mul_u32_u24_e32 v81, 0x10001, v75
	v_mul_u32_u24_e32 v85, 0x10001, v78
	v_pk_fma_f16 v35, v88, v77, v35
	v_and_b32_e32 v77, 0xffff, v82
	v_lshrrev_b32_e32 v78, 16, v82
	ds_load_2addr_b64 v[73:76], v89 offset0:192 offset1:224
	s_wait_dscnt 0x1
	v_pk_fma_f16 v67, v69, v81, v67
	v_pk_fma_f16 v69, v69, v85, v79
	;; [unrolled: 1-line block ×3, first 2 shown]
	v_mul_u32_u24_e32 v82, 0x10001, v77
	v_mul_u32_u24_e32 v86, 0x10001, v78
	ds_load_b128 v[77:80], v36 offset:256
	v_pk_fma_f16 v35, v70, v85, v35
	v_add_nc_u32_e32 v89, 0x4000, v34
	v_and_b32_e32 v87, 0xffff, v83
	v_pk_fma_f16 v85, v71, v86, v69
	v_lshrrev_b32_e32 v69, 16, v83
	v_pk_fma_f16 v67, v71, v82, v67
	v_pk_fma_f16 v81, v72, v82, v81
	;; [unrolled: 1-line block ×3, first 2 shown]
	v_mul_u32_u24_e32 v83, 0x10001, v87
	v_mul_u32_u24_e32 v82, 0x10001, v69
	ds_load_2addr_b64 v[69:72], v89 offset1:32
	v_and_b32_e32 v86, 0xffff, v84
	v_lshrrev_b32_e32 v84, 16, v84
	s_wait_dscnt 0x2
	v_pk_fma_f16 v67, v73, v83, v67
	v_pk_fma_f16 v73, v73, v82, v85
	;; [unrolled: 1-line block ×4, first 2 shown]
	v_mul_u32_u24_e32 v74, 0x10001, v86
	v_mul_u32_u24_e32 v90, 0x10001, v84
	ds_load_b128 v[81:84], v36 offset:272
	s_wait_dscnt 0x2
	v_and_b32_e32 v86, 0xffff, v77
	v_lshrrev_b32_e32 v77, 16, v77
	v_pk_fma_f16 v67, v75, v74, v67
	v_pk_fma_f16 v73, v75, v90, v73
	;; [unrolled: 1-line block ×3, first 2 shown]
	v_mul_u32_u24_e32 v75, 0x10001, v86
	v_mul_u32_u24_e32 v77, 0x10001, v77
	v_and_b32_e32 v91, 0xffff, v78
	ds_load_2addr_b64 v[85:88], v89 offset0:64 offset1:96
	v_pk_fma_f16 v35, v76, v90, v35
	v_lshrrev_b32_e32 v76, 16, v78
	s_wait_dscnt 0x2
	v_pk_fma_f16 v67, v69, v75, v67
	v_mul_u32_u24_e32 v78, 0x10001, v91
	v_pk_fma_f16 v69, v69, v77, v73
	v_pk_fma_f16 v73, v70, v75, v74
	v_mul_u32_u24_e32 v74, 0x10001, v76
	v_pk_fma_f16 v35, v70, v77, v35
	v_and_b32_e32 v70, 0xffff, v79
	v_pk_fma_f16 v67, v71, v78, v67
	v_lshrrev_b32_e32 v75, 16, v79
	v_pk_fma_f16 v76, v71, v74, v69
	v_pk_fma_f16 v73, v72, v78, v73
	;; [unrolled: 1-line block ×3, first 2 shown]
	v_mul_u32_u24_e32 v74, 0x10001, v70
	ds_load_2addr_b64 v[69:72], v89 offset0:128 offset1:160
	v_mul_u32_u24_e32 v75, 0x10001, v75
	v_and_b32_e32 v77, 0xffff, v80
	v_lshrrev_b32_e32 v78, 16, v80
	s_wait_dscnt 0x1
	v_pk_fma_f16 v67, v85, v74, v67
	v_pk_fma_f16 v73, v86, v74, v73
	;; [unrolled: 1-line block ×3, first 2 shown]
	v_mul_u32_u24_e32 v74, 0x10001, v77
	v_mul_u32_u24_e32 v77, 0x10001, v78
	v_pk_fma_f16 v35, v86, v75, v35
	v_and_b32_e32 v75, 0xffff, v81
	v_lshrrev_b32_e32 v78, 16, v81
	v_pk_fma_f16 v67, v87, v74, v67
	v_pk_fma_f16 v79, v87, v77, v76
	;; [unrolled: 1-line block ×3, first 2 shown]
	v_mul_u32_u24_e32 v81, 0x10001, v75
	v_mul_u32_u24_e32 v85, 0x10001, v78
	v_pk_fma_f16 v35, v88, v77, v35
	v_and_b32_e32 v77, 0xffff, v82
	v_lshrrev_b32_e32 v78, 16, v82
	ds_load_2addr_b64 v[73:76], v89 offset0:192 offset1:224
	s_wait_dscnt 0x1
	v_pk_fma_f16 v67, v69, v81, v67
	v_pk_fma_f16 v69, v69, v85, v79
	;; [unrolled: 1-line block ×3, first 2 shown]
	v_mul_u32_u24_e32 v82, 0x10001, v77
	v_mul_u32_u24_e32 v86, 0x10001, v78
	ds_load_b128 v[77:80], v36 offset:288
	v_pk_fma_f16 v35, v70, v85, v35
	v_add_nc_u32_e32 v89, 0x4800, v34
	v_and_b32_e32 v87, 0xffff, v83
	v_pk_fma_f16 v85, v71, v86, v69
	v_lshrrev_b32_e32 v69, 16, v83
	v_pk_fma_f16 v67, v71, v82, v67
	v_pk_fma_f16 v81, v72, v82, v81
	v_pk_fma_f16 v35, v72, v86, v35
	v_mul_u32_u24_e32 v83, 0x10001, v87
	v_mul_u32_u24_e32 v82, 0x10001, v69
	ds_load_2addr_b64 v[69:72], v89 offset1:32
	v_and_b32_e32 v86, 0xffff, v84
	v_lshrrev_b32_e32 v84, 16, v84
	s_wait_dscnt 0x2
	v_pk_fma_f16 v67, v73, v83, v67
	v_pk_fma_f16 v73, v73, v82, v85
	;; [unrolled: 1-line block ×4, first 2 shown]
	v_mul_u32_u24_e32 v74, 0x10001, v86
	v_mul_u32_u24_e32 v90, 0x10001, v84
	ds_load_b128 v[81:84], v36 offset:304
	s_wait_dscnt 0x2
	v_and_b32_e32 v86, 0xffff, v77
	v_lshrrev_b32_e32 v77, 16, v77
	v_pk_fma_f16 v67, v75, v74, v67
	v_pk_fma_f16 v73, v75, v90, v73
	;; [unrolled: 1-line block ×3, first 2 shown]
	v_mul_u32_u24_e32 v75, 0x10001, v86
	v_mul_u32_u24_e32 v77, 0x10001, v77
	v_and_b32_e32 v91, 0xffff, v78
	ds_load_2addr_b64 v[85:88], v89 offset0:64 offset1:96
	v_pk_fma_f16 v35, v76, v90, v35
	v_lshrrev_b32_e32 v76, 16, v78
	s_wait_dscnt 0x2
	v_pk_fma_f16 v67, v69, v75, v67
	v_mul_u32_u24_e32 v78, 0x10001, v91
	v_pk_fma_f16 v69, v69, v77, v73
	v_pk_fma_f16 v73, v70, v75, v74
	v_mul_u32_u24_e32 v74, 0x10001, v76
	v_pk_fma_f16 v35, v70, v77, v35
	v_and_b32_e32 v70, 0xffff, v79
	v_pk_fma_f16 v67, v71, v78, v67
	v_lshrrev_b32_e32 v75, 16, v79
	v_pk_fma_f16 v76, v71, v74, v69
	v_pk_fma_f16 v73, v72, v78, v73
	v_pk_fma_f16 v35, v72, v74, v35
	v_mul_u32_u24_e32 v74, 0x10001, v70
	ds_load_2addr_b64 v[69:72], v89 offset0:128 offset1:160
	v_mul_u32_u24_e32 v75, 0x10001, v75
	v_and_b32_e32 v77, 0xffff, v80
	v_lshrrev_b32_e32 v78, 16, v80
	s_wait_dscnt 0x1
	v_pk_fma_f16 v67, v85, v74, v67
	v_pk_fma_f16 v73, v86, v74, v73
	;; [unrolled: 1-line block ×3, first 2 shown]
	v_mul_u32_u24_e32 v74, 0x10001, v77
	v_mul_u32_u24_e32 v77, 0x10001, v78
	v_pk_fma_f16 v35, v86, v75, v35
	v_and_b32_e32 v75, 0xffff, v81
	v_lshrrev_b32_e32 v78, 16, v81
	v_pk_fma_f16 v67, v87, v74, v67
	v_pk_fma_f16 v79, v87, v77, v76
	;; [unrolled: 1-line block ×3, first 2 shown]
	v_mul_u32_u24_e32 v81, 0x10001, v75
	v_mul_u32_u24_e32 v85, 0x10001, v78
	v_pk_fma_f16 v35, v88, v77, v35
	v_and_b32_e32 v77, 0xffff, v82
	v_lshrrev_b32_e32 v78, 16, v82
	ds_load_2addr_b64 v[73:76], v89 offset0:192 offset1:224
	s_wait_dscnt 0x1
	v_pk_fma_f16 v67, v69, v81, v67
	v_pk_fma_f16 v69, v69, v85, v79
	v_pk_fma_f16 v81, v70, v81, v80
	v_mul_u32_u24_e32 v82, 0x10001, v77
	v_mul_u32_u24_e32 v86, 0x10001, v78
	ds_load_b128 v[77:80], v36 offset:320
	v_pk_fma_f16 v35, v70, v85, v35
	v_add_nc_u32_e32 v89, 0x5000, v34
	v_and_b32_e32 v87, 0xffff, v83
	v_pk_fma_f16 v85, v71, v86, v69
	v_lshrrev_b32_e32 v69, 16, v83
	v_pk_fma_f16 v67, v71, v82, v67
	v_pk_fma_f16 v81, v72, v82, v81
	;; [unrolled: 1-line block ×3, first 2 shown]
	v_mul_u32_u24_e32 v83, 0x10001, v87
	v_mul_u32_u24_e32 v82, 0x10001, v69
	ds_load_2addr_b64 v[69:72], v89 offset1:32
	v_and_b32_e32 v86, 0xffff, v84
	v_lshrrev_b32_e32 v84, 16, v84
	s_wait_dscnt 0x2
	v_pk_fma_f16 v67, v73, v83, v67
	v_pk_fma_f16 v73, v73, v82, v85
	;; [unrolled: 1-line block ×4, first 2 shown]
	v_mul_u32_u24_e32 v74, 0x10001, v86
	v_mul_u32_u24_e32 v90, 0x10001, v84
	ds_load_b128 v[81:84], v36 offset:336
	s_wait_dscnt 0x2
	v_and_b32_e32 v86, 0xffff, v77
	v_lshrrev_b32_e32 v77, 16, v77
	v_pk_fma_f16 v67, v75, v74, v67
	v_pk_fma_f16 v73, v75, v90, v73
	;; [unrolled: 1-line block ×3, first 2 shown]
	v_mul_u32_u24_e32 v75, 0x10001, v86
	v_mul_u32_u24_e32 v77, 0x10001, v77
	v_and_b32_e32 v91, 0xffff, v78
	ds_load_2addr_b64 v[85:88], v89 offset0:64 offset1:96
	v_pk_fma_f16 v35, v76, v90, v35
	v_lshrrev_b32_e32 v76, 16, v78
	s_wait_dscnt 0x2
	v_pk_fma_f16 v67, v69, v75, v67
	v_mul_u32_u24_e32 v78, 0x10001, v91
	v_pk_fma_f16 v69, v69, v77, v73
	v_pk_fma_f16 v73, v70, v75, v74
	v_mul_u32_u24_e32 v74, 0x10001, v76
	v_pk_fma_f16 v35, v70, v77, v35
	v_and_b32_e32 v70, 0xffff, v79
	v_pk_fma_f16 v67, v71, v78, v67
	v_lshrrev_b32_e32 v75, 16, v79
	v_pk_fma_f16 v76, v71, v74, v69
	v_pk_fma_f16 v73, v72, v78, v73
	;; [unrolled: 1-line block ×3, first 2 shown]
	v_mul_u32_u24_e32 v74, 0x10001, v70
	ds_load_2addr_b64 v[69:72], v89 offset0:128 offset1:160
	v_mul_u32_u24_e32 v75, 0x10001, v75
	v_and_b32_e32 v77, 0xffff, v80
	v_lshrrev_b32_e32 v78, 16, v80
	s_wait_dscnt 0x1
	v_pk_fma_f16 v67, v85, v74, v67
	v_pk_fma_f16 v73, v86, v74, v73
	;; [unrolled: 1-line block ×3, first 2 shown]
	v_mul_u32_u24_e32 v74, 0x10001, v77
	v_mul_u32_u24_e32 v77, 0x10001, v78
	v_pk_fma_f16 v35, v86, v75, v35
	v_and_b32_e32 v75, 0xffff, v81
	v_lshrrev_b32_e32 v78, 16, v81
	v_pk_fma_f16 v67, v87, v74, v67
	v_pk_fma_f16 v79, v87, v77, v76
	;; [unrolled: 1-line block ×3, first 2 shown]
	v_mul_u32_u24_e32 v81, 0x10001, v75
	v_mul_u32_u24_e32 v85, 0x10001, v78
	v_pk_fma_f16 v35, v88, v77, v35
	v_and_b32_e32 v77, 0xffff, v82
	v_lshrrev_b32_e32 v78, 16, v82
	ds_load_2addr_b64 v[73:76], v89 offset0:192 offset1:224
	s_wait_dscnt 0x1
	v_pk_fma_f16 v67, v69, v81, v67
	v_pk_fma_f16 v69, v69, v85, v79
	;; [unrolled: 1-line block ×3, first 2 shown]
	v_mul_u32_u24_e32 v82, 0x10001, v77
	v_mul_u32_u24_e32 v86, 0x10001, v78
	ds_load_b128 v[77:80], v36 offset:352
	v_pk_fma_f16 v35, v70, v85, v35
	v_add_nc_u32_e32 v89, 0x5800, v34
	v_and_b32_e32 v87, 0xffff, v83
	v_pk_fma_f16 v85, v71, v86, v69
	v_lshrrev_b32_e32 v69, 16, v83
	v_pk_fma_f16 v67, v71, v82, v67
	v_pk_fma_f16 v81, v72, v82, v81
	;; [unrolled: 1-line block ×3, first 2 shown]
	v_mul_u32_u24_e32 v83, 0x10001, v87
	v_mul_u32_u24_e32 v82, 0x10001, v69
	ds_load_2addr_b64 v[69:72], v89 offset1:32
	v_and_b32_e32 v86, 0xffff, v84
	v_lshrrev_b32_e32 v84, 16, v84
	s_wait_dscnt 0x2
	v_pk_fma_f16 v67, v73, v83, v67
	v_pk_fma_f16 v73, v73, v82, v85
	;; [unrolled: 1-line block ×4, first 2 shown]
	v_mul_u32_u24_e32 v74, 0x10001, v86
	v_mul_u32_u24_e32 v90, 0x10001, v84
	ds_load_b128 v[81:84], v36 offset:368
	s_wait_dscnt 0x2
	v_and_b32_e32 v86, 0xffff, v77
	v_lshrrev_b32_e32 v77, 16, v77
	v_pk_fma_f16 v67, v75, v74, v67
	v_pk_fma_f16 v73, v75, v90, v73
	;; [unrolled: 1-line block ×3, first 2 shown]
	v_mul_u32_u24_e32 v75, 0x10001, v86
	v_mul_u32_u24_e32 v77, 0x10001, v77
	v_and_b32_e32 v91, 0xffff, v78
	ds_load_2addr_b64 v[85:88], v89 offset0:64 offset1:96
	v_pk_fma_f16 v35, v76, v90, v35
	v_lshrrev_b32_e32 v76, 16, v78
	s_wait_dscnt 0x2
	v_pk_fma_f16 v67, v69, v75, v67
	v_mul_u32_u24_e32 v78, 0x10001, v91
	v_pk_fma_f16 v69, v69, v77, v73
	v_pk_fma_f16 v73, v70, v75, v74
	v_mul_u32_u24_e32 v74, 0x10001, v76
	v_pk_fma_f16 v35, v70, v77, v35
	v_and_b32_e32 v70, 0xffff, v79
	v_pk_fma_f16 v67, v71, v78, v67
	v_lshrrev_b32_e32 v75, 16, v79
	v_pk_fma_f16 v76, v71, v74, v69
	v_pk_fma_f16 v73, v72, v78, v73
	;; [unrolled: 1-line block ×3, first 2 shown]
	v_mul_u32_u24_e32 v74, 0x10001, v70
	ds_load_2addr_b64 v[69:72], v89 offset0:128 offset1:160
	v_mul_u32_u24_e32 v75, 0x10001, v75
	v_and_b32_e32 v77, 0xffff, v80
	v_lshrrev_b32_e32 v78, 16, v80
	s_wait_dscnt 0x1
	v_pk_fma_f16 v67, v85, v74, v67
	v_pk_fma_f16 v73, v86, v74, v73
	;; [unrolled: 1-line block ×3, first 2 shown]
	v_mul_u32_u24_e32 v74, 0x10001, v77
	v_mul_u32_u24_e32 v77, 0x10001, v78
	v_pk_fma_f16 v35, v86, v75, v35
	v_and_b32_e32 v75, 0xffff, v81
	v_lshrrev_b32_e32 v78, 16, v81
	v_pk_fma_f16 v67, v87, v74, v67
	v_pk_fma_f16 v79, v87, v77, v76
	;; [unrolled: 1-line block ×3, first 2 shown]
	v_mul_u32_u24_e32 v81, 0x10001, v75
	v_mul_u32_u24_e32 v85, 0x10001, v78
	v_pk_fma_f16 v35, v88, v77, v35
	v_and_b32_e32 v77, 0xffff, v82
	v_lshrrev_b32_e32 v78, 16, v82
	ds_load_2addr_b64 v[73:76], v89 offset0:192 offset1:224
	s_wait_dscnt 0x1
	v_pk_fma_f16 v67, v69, v81, v67
	v_pk_fma_f16 v69, v69, v85, v79
	;; [unrolled: 1-line block ×3, first 2 shown]
	v_mul_u32_u24_e32 v82, 0x10001, v77
	v_mul_u32_u24_e32 v86, 0x10001, v78
	ds_load_b128 v[77:80], v36 offset:384
	v_pk_fma_f16 v35, v70, v85, v35
	v_add_nc_u32_e32 v89, 0x6000, v34
	v_and_b32_e32 v87, 0xffff, v83
	v_pk_fma_f16 v85, v71, v86, v69
	v_lshrrev_b32_e32 v69, 16, v83
	v_pk_fma_f16 v67, v71, v82, v67
	v_pk_fma_f16 v81, v72, v82, v81
	;; [unrolled: 1-line block ×3, first 2 shown]
	v_mul_u32_u24_e32 v83, 0x10001, v87
	v_mul_u32_u24_e32 v82, 0x10001, v69
	ds_load_2addr_b64 v[69:72], v89 offset1:32
	v_and_b32_e32 v86, 0xffff, v84
	v_lshrrev_b32_e32 v84, 16, v84
	s_wait_dscnt 0x2
	v_pk_fma_f16 v67, v73, v83, v67
	v_pk_fma_f16 v73, v73, v82, v85
	;; [unrolled: 1-line block ×4, first 2 shown]
	v_mul_u32_u24_e32 v74, 0x10001, v86
	v_mul_u32_u24_e32 v90, 0x10001, v84
	ds_load_b128 v[81:84], v36 offset:400
	s_wait_dscnt 0x2
	v_and_b32_e32 v86, 0xffff, v77
	v_lshrrev_b32_e32 v77, 16, v77
	v_pk_fma_f16 v67, v75, v74, v67
	v_pk_fma_f16 v73, v75, v90, v73
	;; [unrolled: 1-line block ×3, first 2 shown]
	v_mul_u32_u24_e32 v75, 0x10001, v86
	v_mul_u32_u24_e32 v77, 0x10001, v77
	v_and_b32_e32 v91, 0xffff, v78
	ds_load_2addr_b64 v[85:88], v89 offset0:64 offset1:96
	v_pk_fma_f16 v35, v76, v90, v35
	v_lshrrev_b32_e32 v76, 16, v78
	s_wait_dscnt 0x2
	v_pk_fma_f16 v67, v69, v75, v67
	v_mul_u32_u24_e32 v78, 0x10001, v91
	v_pk_fma_f16 v69, v69, v77, v73
	v_pk_fma_f16 v73, v70, v75, v74
	v_mul_u32_u24_e32 v74, 0x10001, v76
	v_pk_fma_f16 v35, v70, v77, v35
	v_and_b32_e32 v70, 0xffff, v79
	v_pk_fma_f16 v67, v71, v78, v67
	v_lshrrev_b32_e32 v75, 16, v79
	v_pk_fma_f16 v76, v71, v74, v69
	v_pk_fma_f16 v73, v72, v78, v73
	;; [unrolled: 1-line block ×3, first 2 shown]
	v_mul_u32_u24_e32 v74, 0x10001, v70
	ds_load_2addr_b64 v[69:72], v89 offset0:128 offset1:160
	v_mul_u32_u24_e32 v75, 0x10001, v75
	v_and_b32_e32 v77, 0xffff, v80
	v_lshrrev_b32_e32 v78, 16, v80
	s_wait_dscnt 0x1
	v_pk_fma_f16 v67, v85, v74, v67
	v_pk_fma_f16 v73, v86, v74, v73
	;; [unrolled: 1-line block ×3, first 2 shown]
	v_mul_u32_u24_e32 v74, 0x10001, v77
	v_mul_u32_u24_e32 v77, 0x10001, v78
	v_pk_fma_f16 v35, v86, v75, v35
	v_and_b32_e32 v75, 0xffff, v81
	v_lshrrev_b32_e32 v78, 16, v81
	v_pk_fma_f16 v67, v87, v74, v67
	v_pk_fma_f16 v79, v87, v77, v76
	;; [unrolled: 1-line block ×3, first 2 shown]
	v_mul_u32_u24_e32 v81, 0x10001, v75
	v_mul_u32_u24_e32 v85, 0x10001, v78
	v_pk_fma_f16 v35, v88, v77, v35
	v_and_b32_e32 v77, 0xffff, v82
	v_lshrrev_b32_e32 v78, 16, v82
	ds_load_2addr_b64 v[73:76], v89 offset0:192 offset1:224
	s_wait_dscnt 0x1
	v_pk_fma_f16 v67, v69, v81, v67
	v_pk_fma_f16 v69, v69, v85, v79
	;; [unrolled: 1-line block ×3, first 2 shown]
	v_mul_u32_u24_e32 v82, 0x10001, v77
	v_mul_u32_u24_e32 v86, 0x10001, v78
	ds_load_b128 v[77:80], v36 offset:416
	v_pk_fma_f16 v35, v70, v85, v35
	v_add_nc_u32_e32 v89, 0x6800, v34
	v_and_b32_e32 v87, 0xffff, v83
	v_pk_fma_f16 v85, v71, v86, v69
	v_lshrrev_b32_e32 v69, 16, v83
	v_pk_fma_f16 v67, v71, v82, v67
	v_pk_fma_f16 v81, v72, v82, v81
	;; [unrolled: 1-line block ×3, first 2 shown]
	v_mul_u32_u24_e32 v83, 0x10001, v87
	v_mul_u32_u24_e32 v82, 0x10001, v69
	ds_load_2addr_b64 v[69:72], v89 offset1:32
	v_and_b32_e32 v86, 0xffff, v84
	v_lshrrev_b32_e32 v84, 16, v84
	s_wait_dscnt 0x2
	v_pk_fma_f16 v67, v73, v83, v67
	v_pk_fma_f16 v73, v73, v82, v85
	;; [unrolled: 1-line block ×4, first 2 shown]
	v_mul_u32_u24_e32 v74, 0x10001, v86
	v_mul_u32_u24_e32 v90, 0x10001, v84
	ds_load_b128 v[81:84], v36 offset:432
	s_wait_dscnt 0x2
	v_and_b32_e32 v86, 0xffff, v77
	v_lshrrev_b32_e32 v77, 16, v77
	v_pk_fma_f16 v67, v75, v74, v67
	v_pk_fma_f16 v73, v75, v90, v73
	;; [unrolled: 1-line block ×3, first 2 shown]
	v_mul_u32_u24_e32 v75, 0x10001, v86
	v_mul_u32_u24_e32 v77, 0x10001, v77
	v_and_b32_e32 v91, 0xffff, v78
	ds_load_2addr_b64 v[85:88], v89 offset0:64 offset1:96
	v_pk_fma_f16 v35, v76, v90, v35
	v_lshrrev_b32_e32 v76, 16, v78
	s_wait_dscnt 0x2
	v_pk_fma_f16 v67, v69, v75, v67
	v_mul_u32_u24_e32 v78, 0x10001, v91
	v_pk_fma_f16 v69, v69, v77, v73
	v_pk_fma_f16 v73, v70, v75, v74
	v_mul_u32_u24_e32 v74, 0x10001, v76
	v_pk_fma_f16 v35, v70, v77, v35
	v_and_b32_e32 v70, 0xffff, v79
	v_pk_fma_f16 v67, v71, v78, v67
	v_lshrrev_b32_e32 v75, 16, v79
	v_pk_fma_f16 v76, v71, v74, v69
	v_pk_fma_f16 v73, v72, v78, v73
	;; [unrolled: 1-line block ×3, first 2 shown]
	v_mul_u32_u24_e32 v74, 0x10001, v70
	ds_load_2addr_b64 v[69:72], v89 offset0:128 offset1:160
	v_mul_u32_u24_e32 v75, 0x10001, v75
	v_and_b32_e32 v77, 0xffff, v80
	v_lshrrev_b32_e32 v78, 16, v80
	s_wait_dscnt 0x1
	v_pk_fma_f16 v67, v85, v74, v67
	v_pk_fma_f16 v73, v86, v74, v73
	;; [unrolled: 1-line block ×3, first 2 shown]
	v_mul_u32_u24_e32 v74, 0x10001, v77
	v_mul_u32_u24_e32 v77, 0x10001, v78
	v_pk_fma_f16 v35, v86, v75, v35
	v_and_b32_e32 v75, 0xffff, v81
	v_lshrrev_b32_e32 v78, 16, v81
	v_pk_fma_f16 v67, v87, v74, v67
	v_pk_fma_f16 v79, v87, v77, v76
	;; [unrolled: 1-line block ×3, first 2 shown]
	v_mul_u32_u24_e32 v81, 0x10001, v75
	v_mul_u32_u24_e32 v85, 0x10001, v78
	v_pk_fma_f16 v35, v88, v77, v35
	v_and_b32_e32 v77, 0xffff, v82
	v_lshrrev_b32_e32 v78, 16, v82
	ds_load_2addr_b64 v[73:76], v89 offset0:192 offset1:224
	s_wait_dscnt 0x1
	v_pk_fma_f16 v67, v69, v81, v67
	v_pk_fma_f16 v69, v69, v85, v79
	;; [unrolled: 1-line block ×3, first 2 shown]
	v_mul_u32_u24_e32 v82, 0x10001, v77
	v_mul_u32_u24_e32 v86, 0x10001, v78
	ds_load_b128 v[77:80], v36 offset:448
	v_pk_fma_f16 v35, v70, v85, v35
	v_add_nc_u32_e32 v89, 0x7000, v34
	v_and_b32_e32 v87, 0xffff, v83
	v_pk_fma_f16 v85, v71, v86, v69
	v_lshrrev_b32_e32 v69, 16, v83
	v_pk_fma_f16 v67, v71, v82, v67
	v_pk_fma_f16 v81, v72, v82, v81
	;; [unrolled: 1-line block ×3, first 2 shown]
	v_mul_u32_u24_e32 v83, 0x10001, v87
	v_mul_u32_u24_e32 v82, 0x10001, v69
	ds_load_2addr_b64 v[69:72], v89 offset1:32
	v_and_b32_e32 v86, 0xffff, v84
	v_lshrrev_b32_e32 v84, 16, v84
	s_wait_dscnt 0x2
	v_pk_fma_f16 v67, v73, v83, v67
	v_pk_fma_f16 v73, v73, v82, v85
	;; [unrolled: 1-line block ×4, first 2 shown]
	v_mul_u32_u24_e32 v74, 0x10001, v86
	v_mul_u32_u24_e32 v90, 0x10001, v84
	ds_load_b128 v[81:84], v36 offset:464
	s_wait_dscnt 0x2
	v_and_b32_e32 v86, 0xffff, v77
	v_lshrrev_b32_e32 v77, 16, v77
	v_pk_fma_f16 v67, v75, v74, v67
	v_pk_fma_f16 v73, v75, v90, v73
	;; [unrolled: 1-line block ×3, first 2 shown]
	v_mul_u32_u24_e32 v75, 0x10001, v86
	v_mul_u32_u24_e32 v77, 0x10001, v77
	v_and_b32_e32 v91, 0xffff, v78
	ds_load_2addr_b64 v[85:88], v89 offset0:64 offset1:96
	v_pk_fma_f16 v35, v76, v90, v35
	v_lshrrev_b32_e32 v76, 16, v78
	s_wait_dscnt 0x2
	v_pk_fma_f16 v67, v69, v75, v67
	v_mul_u32_u24_e32 v78, 0x10001, v91
	v_pk_fma_f16 v69, v69, v77, v73
	v_pk_fma_f16 v73, v70, v75, v74
	v_mul_u32_u24_e32 v74, 0x10001, v76
	v_pk_fma_f16 v35, v70, v77, v35
	v_and_b32_e32 v70, 0xffff, v79
	v_pk_fma_f16 v67, v71, v78, v67
	v_lshrrev_b32_e32 v75, 16, v79
	v_pk_fma_f16 v76, v71, v74, v69
	v_pk_fma_f16 v73, v72, v78, v73
	;; [unrolled: 1-line block ×3, first 2 shown]
	v_mul_u32_u24_e32 v74, 0x10001, v70
	ds_load_2addr_b64 v[69:72], v89 offset0:128 offset1:160
	v_mul_u32_u24_e32 v75, 0x10001, v75
	v_and_b32_e32 v77, 0xffff, v80
	v_lshrrev_b32_e32 v78, 16, v80
	s_wait_dscnt 0x1
	v_pk_fma_f16 v67, v85, v74, v67
	v_pk_fma_f16 v73, v86, v74, v73
	;; [unrolled: 1-line block ×3, first 2 shown]
	v_mul_u32_u24_e32 v74, 0x10001, v77
	v_mul_u32_u24_e32 v77, 0x10001, v78
	v_pk_fma_f16 v35, v86, v75, v35
	v_and_b32_e32 v75, 0xffff, v81
	v_lshrrev_b32_e32 v78, 16, v81
	v_pk_fma_f16 v67, v87, v74, v67
	v_pk_fma_f16 v79, v87, v77, v76
	;; [unrolled: 1-line block ×3, first 2 shown]
	v_mul_u32_u24_e32 v81, 0x10001, v75
	v_mul_u32_u24_e32 v85, 0x10001, v78
	v_pk_fma_f16 v35, v88, v77, v35
	v_and_b32_e32 v77, 0xffff, v82
	v_lshrrev_b32_e32 v78, 16, v82
	ds_load_2addr_b64 v[73:76], v89 offset0:192 offset1:224
	s_wait_dscnt 0x1
	v_pk_fma_f16 v67, v69, v81, v67
	v_pk_fma_f16 v69, v69, v85, v79
	v_pk_fma_f16 v81, v70, v81, v80
	v_mul_u32_u24_e32 v82, 0x10001, v77
	v_mul_u32_u24_e32 v86, 0x10001, v78
	ds_load_b128 v[77:80], v36 offset:480
	v_pk_fma_f16 v35, v70, v85, v35
	v_add_nc_u32_e32 v89, 0x7800, v34
	v_and_b32_e32 v87, 0xffff, v83
	v_pk_fma_f16 v85, v71, v86, v69
	v_lshrrev_b32_e32 v69, 16, v83
	v_pk_fma_f16 v67, v71, v82, v67
	v_pk_fma_f16 v81, v72, v82, v81
	;; [unrolled: 1-line block ×3, first 2 shown]
	v_mul_u32_u24_e32 v83, 0x10001, v87
	v_mul_u32_u24_e32 v82, 0x10001, v69
	ds_load_2addr_b64 v[69:72], v89 offset1:32
	v_and_b32_e32 v86, 0xffff, v84
	v_lshrrev_b32_e32 v84, 16, v84
	s_wait_dscnt 0x2
	v_pk_fma_f16 v67, v73, v83, v67
	v_pk_fma_f16 v73, v73, v82, v85
	;; [unrolled: 1-line block ×4, first 2 shown]
	v_mul_u32_u24_e32 v74, 0x10001, v86
	v_mul_u32_u24_e32 v90, 0x10001, v84
	ds_load_b128 v[81:84], v36 offset:496
	s_wait_dscnt 0x2
	v_and_b32_e32 v86, 0xffff, v77
	v_lshrrev_b32_e32 v77, 16, v77
	v_pk_fma_f16 v67, v75, v74, v67
	v_pk_fma_f16 v73, v75, v90, v73
	;; [unrolled: 1-line block ×3, first 2 shown]
	v_mul_u32_u24_e32 v75, 0x10001, v86
	v_mul_u32_u24_e32 v77, 0x10001, v77
	v_and_b32_e32 v91, 0xffff, v78
	ds_load_2addr_b64 v[85:88], v89 offset0:64 offset1:96
	v_pk_fma_f16 v35, v76, v90, v35
	v_lshrrev_b32_e32 v76, 16, v78
	s_wait_dscnt 0x2
	v_pk_fma_f16 v67, v69, v75, v67
	v_pk_fma_f16 v69, v69, v77, v73
	v_mul_u32_u24_e32 v73, 0x10001, v91
	v_pk_fma_f16 v74, v70, v75, v74
	v_mul_u32_u24_e32 v78, 0x10001, v76
	v_pk_fma_f16 v35, v70, v77, v35
	v_and_b32_e32 v70, 0xffff, v79
	v_pk_fma_f16 v67, v71, v73, v67
	v_lshrrev_b32_e32 v77, 16, v79
	v_pk_fma_f16 v69, v71, v78, v69
	v_pk_fma_f16 v71, v72, v73, v74
	ds_load_2addr_b64 v[73:76], v89 offset0:128 offset1:160
	v_mul_u32_u24_e32 v70, 0x10001, v70
	v_mul_u32_u24_e32 v77, 0x10001, v77
	v_pk_fma_f16 v35, v72, v78, v35
	v_and_b32_e32 v72, 0xffff, v80
	v_lshrrev_b32_e32 v78, 16, v80
	s_wait_dscnt 0x1
	v_pk_fma_f16 v67, v85, v70, v67
	v_pk_fma_f16 v69, v85, v77, v69
	;; [unrolled: 1-line block ×3, first 2 shown]
	v_mul_u32_u24_e32 v71, 0x10001, v72
	v_mul_u32_u24_e32 v72, 0x10001, v78
	v_and_b32_e32 v78, 0xffff, v81
	v_lshrrev_b32_e32 v79, 16, v81
	v_pk_fma_f16 v35, v86, v77, v35
	v_pk_fma_f16 v67, v87, v71, v67
	v_pk_fma_f16 v69, v87, v72, v69
	v_mul_u32_u24_e32 v77, 0x10001, v78
	v_mul_u32_u24_e32 v78, 0x10001, v79
	v_pk_fma_f16 v38, v88, v71, v70
	v_pk_fma_f16 v35, v88, v72, v35
	v_and_b32_e32 v79, 0xffff, v82
	s_wait_dscnt 0x0
	v_pk_fma_f16 v67, v73, v77, v67
	v_pk_fma_f16 v73, v73, v78, v69
	ds_load_2addr_b64 v[69:72], v89 offset0:192 offset1:224
	s_wait_loadcnt_dscnt 0x0
	s_barrier_signal -1
	s_barrier_wait -1
	global_inv scope:SCOPE_SE
	s_load_b32 s12, s[6:7], 0x4
	v_lshrrev_b32_e32 v80, 16, v82
	v_pk_fma_f16 v38, v74, v77, v38
	v_pk_fma_f16 v35, v74, v78, v35
	v_mul_u32_u24_e32 v74, 0x10001, v79
	v_and_b32_e32 v78, 0xffff, v83
	v_mul_u32_u24_e32 v77, 0x10001, v80
	v_lshrrev_b32_e32 v79, 16, v83
	s_delay_alu instid0(VALU_DEP_4) | instskip(SKIP_1) | instid1(VALU_DEP_4)
	v_pk_fma_f16 v67, v75, v74, v67
	v_pk_fma_f16 v38, v76, v74, v38
	;; [unrolled: 1-line block ×3, first 2 shown]
	v_mul_u32_u24_e32 v74, 0x10001, v78
	v_mul_u32_u24_e32 v75, 0x10001, v79
	v_and_b32_e32 v78, 0xffff, v84
	v_lshrrev_b32_e32 v79, 16, v84
	v_pk_fma_f16 v35, v76, v77, v35
	v_pk_fma_f16 v67, v69, v74, v67
	;; [unrolled: 1-line block ×3, first 2 shown]
	v_mul_u32_u24_e32 v73, 0x10001, v78
	v_mul_u32_u24_e32 v76, 0x10001, v79
	v_pk_fma_f16 v38, v70, v74, v38
	v_pk_fma_f16 v35, v70, v75, v35
	s_wait_kmcnt 0x0
	s_lshl_b32 s12, s12, 7
	v_pk_fma_f16 v89, v71, v73, v67
	v_pk_fma_f16 v88, v71, v76, v69
	;; [unrolled: 1-line block ×4, first 2 shown]
	s_wait_alu 0xfffe
	s_add_co_i32 s40, s12, s40
	s_wait_alu 0xfffe
	s_cmp_lt_i32 s40, s3
	s_cbranch_scc0 .LBB88_61
; %bb.57:                               ;   in Loop: Header=BB88_8 Depth=1
	v_dual_mov_b32 v69, v4 :: v_dual_mov_b32 v68, v5
	v_dual_mov_b32 v67, v138 :: v_dual_mov_b32 v66, v55
	s_branch .LBB88_8
.LBB88_58:                              ;   in Loop: Header=BB88_8 Depth=1
	v_mov_b32_e32 v77, 0
	v_cmp_ngt_f32_e64 s12, 0x3f200000, |v74|
                                        ; implicit-def: $vgpr83
	s_and_saveexec_b32 s13, s12
	s_wait_alu 0xfffe
	s_xor_b32 s12, exec_lo, s13
	s_cbranch_execz .LBB88_15
	s_branch .LBB88_14
.LBB88_59:                              ;   in Loop: Header=BB88_8 Depth=1
	v_mov_b32_e32 v75, 0
	v_cmp_ngt_f32_e64 s12, 0x3f200000, |v70|
                                        ; implicit-def: $vgpr91
	s_and_saveexec_b32 s13, s12
	s_wait_alu 0xfffe
	s_xor_b32 s12, exec_lo, s13
	s_cbranch_execz .LBB88_39
	s_branch .LBB88_38
.LBB88_60:
	v_dual_mov_b32 v4, 0xfeffffff :: v_dual_mov_b32 v89, 0
	v_mov_b32_e32 v138, 0
	v_dual_mov_b32 v38, 0 :: v_dual_mov_b32 v35, 0
	s_delay_alu instid0(VALU_DEP_3)
	v_dual_mov_b32 v88, 0 :: v_dual_mov_b32 v5, v4
.LBB88_61:
	s_cmp_gt_i32 s2, s40
	s_cbranch_scc1 .LBB88_64
; %bb.62:
	v_mbcnt_lo_u32_b32 v0, -1, 0
	v_mov_b32_e32 v8, 32
	s_delay_alu instid0(VALU_DEP_2)
	v_xor_b32_e32 v1, 16, v0
	v_xor_b32_e32 v2, 8, v0
	;; [unrolled: 1-line block ×5, first 2 shown]
	s_cbranch_execz .LBB88_65
; %bb.63:
	v_mov_b32_e32 v7, v0
	s_branch .LBB88_138
.LBB88_64:
                                        ; implicit-def: $vgpr0
                                        ; implicit-def: $vgpr8
                                        ; implicit-def: $vgpr1
                                        ; implicit-def: $vgpr2
                                        ; implicit-def: $vgpr6
                                        ; implicit-def: $vgpr9
                                        ; implicit-def: $vgpr10
.LBB88_65:
	s_mov_b32 s44, 0
	s_ashr_i32 s41, s40, 31
	s_mov_b32 s45, s44
	s_mov_b32 s46, s44
	v_dual_mov_b32 v16, s44 :: v_dual_add_nc_u32 v7, v43, v168
	s_ashr_i32 s9, s8, 31
	s_sub_co_i32 s19, s2, s40
	s_wait_alu 0xfffe
	s_mul_u64 s[6:7], s[40:41], s[8:9]
	v_mul_lo_u32 v8, s8, v7
	s_wait_alu 0xfffe
	s_lshl_b64 s[2:3], s[6:7], 2
	v_dual_mov_b32 v15, 0 :: v_dual_lshlrev_b32 v6, 2, v42
	s_add_nc_u64 s[12:13], s[4:5], s[2:3]
	v_cmp_gt_i32_e64 s2, s19, v7
	s_mov_b64 s[10:11], src_private_base
	v_dual_mov_b32 v17, s45 :: v_dual_mov_b32 v18, s46
	v_ashrrev_i32_e32 v9, 31, v8
	s_clause 0x1
	scratch_store_b32 off, v15, off
	scratch_store_b96 off, v[16:18], off offset:4
	s_lshl_b32 s9, s8, 4
	v_lshlrev_b64_e32 v[0:1], 2, v[8:9]
	s_wait_alu 0xfffe
	v_add_nc_u32_e32 v8, s9, v8
	v_mad_u32_u24 v22, 0x110, v7, v6
	s_delay_alu instid0(VALU_DEP_3) | instskip(SKIP_3) | instid1(VALU_DEP_3)
	v_add_co_u32 v0, vcc_lo, s12, v0
	s_wait_alu 0xfffd
	v_add_co_ci_u32_e64 v1, null, s13, v1, vcc_lo
	v_ashrrev_i32_e32 v9, 31, v8
	v_add_co_u32 v0, vcc_lo, v0, v6
	s_wait_alu 0xfffd
	s_delay_alu instid0(VALU_DEP_3) | instskip(NEXT) | instid1(VALU_DEP_3)
	v_add_co_ci_u32_e64 v1, null, 0, v1, vcc_lo
	v_lshlrev_b64_e32 v[9:10], 2, v[8:9]
	s_delay_alu instid0(VALU_DEP_3) | instskip(NEXT) | instid1(VALU_DEP_3)
	v_cndmask_b32_e64 v0, 0, v0, s2
	v_cndmask_b32_e64 v1, s11, v1, s2
	s_delay_alu instid0(VALU_DEP_3)
	v_add_co_u32 v11, vcc_lo, s12, v9
	flat_load_b128 v[0:3], v[0:1]
	s_wait_alu 0xfffd
	v_add_co_ci_u32_e64 v10, null, s13, v10, vcc_lo
	v_add_nc_u32_e32 v9, 16, v7
	v_add_co_u32 v12, vcc_lo, v11, v6
	s_wait_alu 0xfffd
	s_delay_alu instid0(VALU_DEP_3) | instskip(NEXT) | instid1(VALU_DEP_3)
	v_add_co_ci_u32_e64 v10, null, 0, v10, vcc_lo
	v_cmp_gt_i32_e64 s3, s19, v9
	s_clause 0x1
	scratch_store_b32 off, v15, off
	scratch_store_b96 off, v[16:18], off offset:4
	s_wait_alu 0xf1ff
	v_cndmask_b32_e64 v11, s11, v10, s3
	v_cndmask_b32_e64 v10, 0, v12, s3
	s_wait_loadcnt_dscnt 0x0
	ds_store_b128 v22, v[0:3]
	flat_load_b128 v[0:3], v[10:11]
	v_add_nc_u32_e32 v11, s9, v8
	v_add_nc_u32_e32 v10, 32, v7
	s_clause 0x1
	scratch_store_b32 off, v15, off
	scratch_store_b96 off, v[16:18], off offset:4
	v_ashrrev_i32_e32 v12, 31, v11
	v_cmp_gt_i32_e64 s4, s19, v10
	s_delay_alu instid0(VALU_DEP_2) | instskip(NEXT) | instid1(VALU_DEP_1)
	v_lshlrev_b64_e32 v[12:13], 2, v[11:12]
	v_add_co_u32 v8, vcc_lo, s12, v12
	s_wait_alu 0xfffd
	s_delay_alu instid0(VALU_DEP_2) | instskip(NEXT) | instid1(VALU_DEP_2)
	v_add_co_ci_u32_e64 v12, null, s13, v13, vcc_lo
	v_add_co_u32 v8, vcc_lo, v8, v6
	s_wait_alu 0xfffd
	s_delay_alu instid0(VALU_DEP_2) | instskip(SKIP_1) | instid1(VALU_DEP_1)
	v_add_co_ci_u32_e64 v12, null, 0, v12, vcc_lo
	s_wait_alu 0xf1ff
	v_cndmask_b32_e64 v13, s11, v12, s4
	v_cndmask_b32_e64 v12, 0, v8, s4
	s_wait_loadcnt_dscnt 0x0
	ds_store_b128 v22, v[0:3] offset:4352
	flat_load_b128 v[0:3], v[12:13]
	v_add_nc_u32_e32 v12, s9, v11
	v_add_nc_u32_e32 v11, 48, v7
	s_clause 0x1
	scratch_store_b32 off, v15, off
	scratch_store_b96 off, v[16:18], off offset:4
	v_ashrrev_i32_e32 v13, 31, v12
	v_cmp_gt_i32_e64 s5, s19, v11
	s_delay_alu instid0(VALU_DEP_2) | instskip(NEXT) | instid1(VALU_DEP_1)
	v_lshlrev_b64_e32 v[13:14], 2, v[12:13]
	v_add_co_u32 v8, vcc_lo, s12, v13
	s_wait_alu 0xfffd
	s_delay_alu instid0(VALU_DEP_2) | instskip(NEXT) | instid1(VALU_DEP_2)
	v_add_co_ci_u32_e64 v13, null, s13, v14, vcc_lo
	v_add_co_u32 v8, vcc_lo, v8, v6
	s_wait_alu 0xfffd
	s_delay_alu instid0(VALU_DEP_2) | instskip(SKIP_1) | instid1(VALU_DEP_1)
	v_add_co_ci_u32_e64 v13, null, 0, v13, vcc_lo
	s_wait_alu 0xf1ff
	v_cndmask_b32_e64 v14, s11, v13, s5
	v_cndmask_b32_e64 v13, 0, v8, s5
	s_wait_loadcnt_dscnt 0x0
	ds_store_b128 v22, v[0:3] offset:8704
	flat_load_b128 v[0:3], v[13:14]
	v_add_nc_u32_e32 v13, s9, v12
	v_add_nc_u32_e32 v12, 64, v7
	s_clause 0x1
	scratch_store_b32 off, v15, off
	scratch_store_b96 off, v[16:18], off offset:4
	v_ashrrev_i32_e32 v14, 31, v13
	v_cmp_gt_i32_e64 s6, s19, v12
	s_delay_alu instid0(VALU_DEP_2) | instskip(NEXT) | instid1(VALU_DEP_1)
	v_lshlrev_b64_e32 v[19:20], 2, v[13:14]
	v_add_co_u32 v8, vcc_lo, s12, v19
	s_wait_alu 0xfffd
	s_delay_alu instid0(VALU_DEP_2) | instskip(NEXT) | instid1(VALU_DEP_2)
	v_add_co_ci_u32_e64 v14, null, s13, v20, vcc_lo
	v_add_co_u32 v8, vcc_lo, v8, v6
	s_wait_alu 0xfffd
	s_delay_alu instid0(VALU_DEP_2) | instskip(SKIP_1) | instid1(VALU_DEP_2)
	v_add_co_ci_u32_e64 v14, null, 0, v14, vcc_lo
	s_wait_alu 0xf1ff
	v_cndmask_b32_e64 v19, 0, v8, s6
	s_delay_alu instid0(VALU_DEP_2)
	v_cndmask_b32_e64 v20, s11, v14, s6
	s_wait_loadcnt_dscnt 0x0
	ds_store_b128 v22, v[0:3] offset:13056
	flat_load_b128 v[0:3], v[19:20]
	v_add_nc_u32_e32 v19, s9, v13
	s_clause 0x1
	scratch_store_b32 off, v15, off
	scratch_store_b96 off, v[16:18], off offset:4
	v_ashrrev_i32_e32 v20, 31, v19
	s_delay_alu instid0(VALU_DEP_1) | instskip(SKIP_1) | instid1(VALU_DEP_2)
	v_lshlrev_b64_e32 v[13:14], 2, v[19:20]
	v_add_nc_u32_e32 v19, s9, v19
	v_add_co_u32 v8, vcc_lo, s12, v13
	s_wait_alu 0xfffd
	s_delay_alu instid0(VALU_DEP_3) | instskip(SKIP_1) | instid1(VALU_DEP_3)
	v_add_co_ci_u32_e64 v14, null, s13, v14, vcc_lo
	v_add_nc_u32_e32 v13, 0x50, v7
	v_add_co_u32 v8, vcc_lo, v8, v6
	s_wait_alu 0xfffd
	s_delay_alu instid0(VALU_DEP_3) | instskip(NEXT) | instid1(VALU_DEP_3)
	v_add_co_ci_u32_e64 v14, null, 0, v14, vcc_lo
	v_cmp_gt_i32_e64 s7, s19, v13
	s_wait_alu 0xf1ff
	s_delay_alu instid0(VALU_DEP_1) | instskip(SKIP_2) | instid1(VALU_DEP_1)
	v_cndmask_b32_e64 v21, s11, v14, s7
	v_cndmask_b32_e64 v20, 0, v8, s7
	v_add_nc_u32_e32 v14, 0x60, v7
	v_cmp_gt_i32_e64 s8, s19, v14
	s_wait_loadcnt_dscnt 0x0
	ds_store_b128 v22, v[0:3] offset:17408
	flat_load_b128 v[0:3], v[20:21]
	v_ashrrev_i32_e32 v20, 31, v19
	s_clause 0x1
	scratch_store_b32 off, v15, off
	scratch_store_b96 off, v[16:18], off offset:4
	v_lshlrev_b64_e32 v[20:21], 2, v[19:20]
	v_add_nc_u32_e32 v19, s9, v19
	s_delay_alu instid0(VALU_DEP_2) | instskip(SKIP_1) | instid1(VALU_DEP_3)
	v_add_co_u32 v8, vcc_lo, s12, v20
	s_wait_alu 0xfffd
	v_add_co_ci_u32_e64 v20, null, s13, v21, vcc_lo
	s_delay_alu instid0(VALU_DEP_2) | instskip(SKIP_1) | instid1(VALU_DEP_2)
	v_add_co_u32 v8, vcc_lo, v8, v6
	s_wait_alu 0xfffd
	v_add_co_ci_u32_e64 v20, null, 0, v20, vcc_lo
	s_wait_alu 0xf1ff
	s_delay_alu instid0(VALU_DEP_1) | instskip(SKIP_2) | instid1(VALU_DEP_1)
	v_cndmask_b32_e64 v21, s11, v20, s8
	v_cndmask_b32_e64 v20, 0, v8, s8
	v_add_nc_u32_e32 v8, 0x70, v7
	v_cmp_gt_i32_e64 s9, s19, v8
	s_wait_loadcnt_dscnt 0x0
	ds_store_b128 v22, v[0:3] offset:21760
	flat_load_b128 v[0:3], v[20:21]
	v_ashrrev_i32_e32 v20, 31, v19
	s_clause 0x1
	scratch_store_b32 off, v15, off
	scratch_store_b96 off, v[16:18], off offset:4
	v_dual_mov_b32 v18, 0 :: v_dual_mov_b32 v21, 0
	v_mov_b32_e32 v17, 0
	v_lshlrev_b64_e32 v[19:20], 2, v[19:20]
	v_mov_b32_e32 v16, 0
	s_delay_alu instid0(VALU_DEP_2) | instskip(SKIP_1) | instid1(VALU_DEP_3)
	v_add_co_u32 v19, vcc_lo, s12, v19
	s_wait_alu 0xfffd
	v_add_co_ci_u32_e64 v20, null, s13, v20, vcc_lo
	s_delay_alu instid0(VALU_DEP_2) | instskip(SKIP_1) | instid1(VALU_DEP_2)
	v_add_co_u32 v19, vcc_lo, v19, v6
	s_wait_alu 0xfffd
	v_add_co_ci_u32_e64 v20, null, 0, v20, vcc_lo
	s_wait_alu 0xf1ff
	s_delay_alu instid0(VALU_DEP_2) | instskip(NEXT) | instid1(VALU_DEP_2)
	v_cndmask_b32_e64 v19, 0, v19, s9
	v_cndmask_b32_e64 v20, s11, v20, s9
	s_wait_loadcnt_dscnt 0x0
	ds_store_b128 v22, v[0:3] offset:26112
	flat_load_b128 v[0:3], v[19:20]
	v_dual_mov_b32 v20, 0 :: v_dual_mov_b32 v19, 0
	s_wait_loadcnt_dscnt 0x0
	ds_store_b128 v22, v[0:3] offset:30464
	s_wait_storecnt_dscnt 0x0
	s_barrier_signal -1
	s_barrier_wait -1
	global_inv scope:SCOPE_SE
	ds_load_b128 v[22:25], v41
	ds_load_b128 v[26:29], v137 offset:38912
	ds_load_b128 v[30:33], v137 offset:39168
	;; [unrolled: 1-line block ×3, first 2 shown]
	v_mov_b32_e32 v0, 0
	ds_load_b128 v[46:49], v41 offset:17408
	ds_load_b128 v[50:53], v41 offset:26112
                                        ; implicit-def: $vgpr1
	s_wait_dscnt 0x4
	;;#ASMSTART
	v_dot2_f32_f16 v0, v22, v26, v0
	;;#ASMEND
	;;#ASMSTART
	v_dot2_f32_f16 v0, v23, v27, v0
	;;#ASMEND
	;;#ASMSTART
	v_dot2_f32_f16 v0, v24, v28, v0
	;;#ASMEND
	;;#ASMSTART
	v_dot2_f32_f16 v0, v25, v29, v0
	;;#ASMEND
	s_wait_dscnt 0x3
	;;#ASMSTART
	v_dot2_f32_f16 v18, v22, v30, v18
	;;#ASMEND
	;;#ASMSTART
	v_dot2_f32_f16 v18, v23, v31, v18
	;;#ASMEND
	;;#ASMSTART
	v_dot2_f32_f16 v18, v24, v32, v18
	;;#ASMEND
	;;#ASMSTART
	v_dot2_f32_f16 v18, v25, v33, v18
	;;#ASMEND
	;; [unrolled: 13-line block ×3, first 2 shown]
	;;#ASMSTART
	v_dot2_f32_f16 v17, v42, v30, v17
	;;#ASMEND
	;;#ASMSTART
	v_dot2_f32_f16 v17, v43, v31, v17
	;;#ASMEND
	;; [unrolled: 3-line block ×4, first 2 shown]
	s_wait_dscnt 0x1
	;;#ASMSTART
	v_dot2_f32_f16 v20, v46, v26, v20
	;;#ASMEND
	;;#ASMSTART
	v_dot2_f32_f16 v20, v47, v27, v20
	;;#ASMEND
	;; [unrolled: 3-line block ×8, first 2 shown]
	s_wait_dscnt 0x0
	;;#ASMSTART
	v_dot2_f32_f16 v19, v50, v26, v19
	;;#ASMEND
	;;#ASMSTART
	v_dot2_f32_f16 v19, v51, v27, v19
	;;#ASMEND
	;; [unrolled: 3-line block ×8, first 2 shown]
	ds_load_b128 v[22:25], v41 offset:16
	ds_load_b128 v[26:29], v137 offset:38928
	;; [unrolled: 1-line block ×6, first 2 shown]
	s_wait_dscnt 0x4
	;;#ASMSTART
	v_dot2_f32_f16 v0, v22, v26, v0
	;;#ASMEND
	;;#ASMSTART
	v_dot2_f32_f16 v0, v23, v27, v0
	;;#ASMEND
	;;#ASMSTART
	v_dot2_f32_f16 v0, v24, v28, v0
	;;#ASMEND
	;;#ASMSTART
	v_dot2_f32_f16 v0, v25, v29, v0
	;;#ASMEND
	s_wait_dscnt 0x3
	;;#ASMSTART
	v_dot2_f32_f16 v18, v22, v30, v18
	;;#ASMEND
	;;#ASMSTART
	v_dot2_f32_f16 v18, v23, v31, v18
	;;#ASMEND
	;;#ASMSTART
	v_dot2_f32_f16 v18, v24, v32, v18
	;;#ASMEND
	;;#ASMSTART
	v_dot2_f32_f16 v18, v25, v33, v18
	;;#ASMEND
	;; [unrolled: 13-line block ×3, first 2 shown]
	;;#ASMSTART
	v_dot2_f32_f16 v17, v42, v30, v17
	;;#ASMEND
	;;#ASMSTART
	v_dot2_f32_f16 v17, v43, v31, v17
	;;#ASMEND
	;; [unrolled: 3-line block ×4, first 2 shown]
	s_wait_dscnt 0x1
	;;#ASMSTART
	v_dot2_f32_f16 v20, v46, v26, v20
	;;#ASMEND
	;;#ASMSTART
	v_dot2_f32_f16 v20, v47, v27, v20
	;;#ASMEND
	;; [unrolled: 3-line block ×8, first 2 shown]
	s_wait_dscnt 0x0
	;;#ASMSTART
	v_dot2_f32_f16 v19, v50, v26, v19
	;;#ASMEND
	;;#ASMSTART
	v_dot2_f32_f16 v19, v51, v27, v19
	;;#ASMEND
	;; [unrolled: 3-line block ×8, first 2 shown]
	ds_load_b128 v[22:25], v41 offset:32
	ds_load_b128 v[26:29], v137 offset:38944
	;; [unrolled: 1-line block ×6, first 2 shown]
	s_wait_dscnt 0x4
	;;#ASMSTART
	v_dot2_f32_f16 v0, v22, v26, v0
	;;#ASMEND
	;;#ASMSTART
	v_dot2_f32_f16 v0, v23, v27, v0
	;;#ASMEND
	;;#ASMSTART
	v_dot2_f32_f16 v0, v24, v28, v0
	;;#ASMEND
	;;#ASMSTART
	v_dot2_f32_f16 v0, v25, v29, v0
	;;#ASMEND
	s_wait_dscnt 0x3
	;;#ASMSTART
	v_dot2_f32_f16 v18, v22, v30, v18
	;;#ASMEND
	;;#ASMSTART
	v_dot2_f32_f16 v18, v23, v31, v18
	;;#ASMEND
	;;#ASMSTART
	v_dot2_f32_f16 v18, v24, v32, v18
	;;#ASMEND
	;;#ASMSTART
	v_dot2_f32_f16 v18, v25, v33, v18
	;;#ASMEND
	s_wait_dscnt 0x2
	;;#ASMSTART
	v_dot2_f32_f16 v21, v42, v26, v21
	;;#ASMEND
	;;#ASMSTART
	v_dot2_f32_f16 v21, v43, v27, v21
	;;#ASMEND
	;;#ASMSTART
	v_dot2_f32_f16 v21, v44, v28, v21
	;;#ASMEND
	;;#ASMSTART
	v_dot2_f32_f16 v21, v45, v29, v21
	;;#ASMEND
	;;#ASMSTART
	v_dot2_f32_f16 v17, v42, v30, v17
	;;#ASMEND
	;;#ASMSTART
	v_dot2_f32_f16 v17, v43, v31, v17
	;;#ASMEND
	;; [unrolled: 3-line block ×4, first 2 shown]
	s_wait_dscnt 0x1
	;;#ASMSTART
	v_dot2_f32_f16 v20, v46, v26, v20
	;;#ASMEND
	;;#ASMSTART
	v_dot2_f32_f16 v20, v47, v27, v20
	;;#ASMEND
	;; [unrolled: 3-line block ×8, first 2 shown]
	s_wait_dscnt 0x0
	;;#ASMSTART
	v_dot2_f32_f16 v19, v50, v26, v19
	;;#ASMEND
	;;#ASMSTART
	v_dot2_f32_f16 v19, v51, v27, v19
	;;#ASMEND
	;; [unrolled: 3-line block ×8, first 2 shown]
	ds_load_b128 v[22:25], v41 offset:48
	ds_load_b128 v[26:29], v137 offset:38960
	ds_load_b128 v[30:33], v137 offset:39216
	ds_load_b128 v[42:45], v41 offset:8752
	ds_load_b128 v[46:49], v41 offset:17456
	ds_load_b128 v[50:53], v41 offset:26160
	s_wait_dscnt 0x4
	;;#ASMSTART
	v_dot2_f32_f16 v0, v22, v26, v0
	;;#ASMEND
	;;#ASMSTART
	v_dot2_f32_f16 v0, v23, v27, v0
	;;#ASMEND
	;;#ASMSTART
	v_dot2_f32_f16 v0, v24, v28, v0
	;;#ASMEND
	;;#ASMSTART
	v_dot2_f32_f16 v0, v25, v29, v0
	;;#ASMEND
	s_wait_dscnt 0x3
	;;#ASMSTART
	v_dot2_f32_f16 v18, v22, v30, v18
	;;#ASMEND
	;;#ASMSTART
	v_dot2_f32_f16 v18, v23, v31, v18
	;;#ASMEND
	;;#ASMSTART
	v_dot2_f32_f16 v18, v24, v32, v18
	;;#ASMEND
	;;#ASMSTART
	v_dot2_f32_f16 v18, v25, v33, v18
	;;#ASMEND
	;; [unrolled: 13-line block ×3, first 2 shown]
	;;#ASMSTART
	v_dot2_f32_f16 v17, v42, v30, v17
	;;#ASMEND
	;;#ASMSTART
	v_dot2_f32_f16 v17, v43, v31, v17
	;;#ASMEND
	;; [unrolled: 3-line block ×4, first 2 shown]
	s_wait_dscnt 0x1
	;;#ASMSTART
	v_dot2_f32_f16 v20, v46, v26, v20
	;;#ASMEND
	;;#ASMSTART
	v_dot2_f32_f16 v20, v47, v27, v20
	;;#ASMEND
	;; [unrolled: 3-line block ×8, first 2 shown]
	s_wait_dscnt 0x0
	;;#ASMSTART
	v_dot2_f32_f16 v19, v50, v26, v19
	;;#ASMEND
	;;#ASMSTART
	v_dot2_f32_f16 v19, v51, v27, v19
	;;#ASMEND
	;; [unrolled: 3-line block ×8, first 2 shown]
	ds_load_b128 v[22:25], v41 offset:64
	ds_load_b128 v[26:29], v137 offset:38976
	;; [unrolled: 1-line block ×6, first 2 shown]
	s_wait_dscnt 0x4
	;;#ASMSTART
	v_dot2_f32_f16 v0, v22, v26, v0
	;;#ASMEND
	;;#ASMSTART
	v_dot2_f32_f16 v0, v23, v27, v0
	;;#ASMEND
	;;#ASMSTART
	v_dot2_f32_f16 v0, v24, v28, v0
	;;#ASMEND
	;;#ASMSTART
	v_dot2_f32_f16 v0, v25, v29, v0
	;;#ASMEND
	s_wait_dscnt 0x3
	;;#ASMSTART
	v_dot2_f32_f16 v18, v22, v30, v18
	;;#ASMEND
	;;#ASMSTART
	v_dot2_f32_f16 v18, v23, v31, v18
	;;#ASMEND
	;;#ASMSTART
	v_dot2_f32_f16 v18, v24, v32, v18
	;;#ASMEND
	;;#ASMSTART
	v_dot2_f32_f16 v18, v25, v33, v18
	;;#ASMEND
	;; [unrolled: 13-line block ×3, first 2 shown]
	;;#ASMSTART
	v_dot2_f32_f16 v17, v42, v30, v17
	;;#ASMEND
	;;#ASMSTART
	v_dot2_f32_f16 v17, v43, v31, v17
	;;#ASMEND
	;; [unrolled: 3-line block ×4, first 2 shown]
	s_wait_dscnt 0x1
	;;#ASMSTART
	v_dot2_f32_f16 v20, v46, v26, v20
	;;#ASMEND
	;;#ASMSTART
	v_dot2_f32_f16 v20, v47, v27, v20
	;;#ASMEND
	;;#ASMSTART
	v_dot2_f32_f16 v20, v48, v28, v20
	;;#ASMEND
	;;#ASMSTART
	v_dot2_f32_f16 v20, v49, v29, v20
	;;#ASMEND
	;;#ASMSTART
	v_dot2_f32_f16 v16, v46, v30, v16
	;;#ASMEND
	;;#ASMSTART
	v_dot2_f32_f16 v16, v47, v31, v16
	;;#ASMEND
	;;#ASMSTART
	v_dot2_f32_f16 v16, v48, v32, v16
	;;#ASMEND
	;;#ASMSTART
	v_dot2_f32_f16 v16, v49, v33, v16
	;;#ASMEND
	s_wait_dscnt 0x0
	;;#ASMSTART
	v_dot2_f32_f16 v19, v50, v26, v19
	;;#ASMEND
	;;#ASMSTART
	v_dot2_f32_f16 v19, v51, v27, v19
	;;#ASMEND
	;;#ASMSTART
	v_dot2_f32_f16 v19, v52, v28, v19
	;;#ASMEND
	;;#ASMSTART
	v_dot2_f32_f16 v19, v53, v29, v19
	;;#ASMEND
	;;#ASMSTART
	v_dot2_f32_f16 v15, v50, v30, v15
	;;#ASMEND
	;;#ASMSTART
	v_dot2_f32_f16 v15, v51, v31, v15
	;;#ASMEND
	;;#ASMSTART
	v_dot2_f32_f16 v15, v52, v32, v15
	;;#ASMEND
	;;#ASMSTART
	v_dot2_f32_f16 v15, v53, v33, v15
	;;#ASMEND
	ds_load_b128 v[22:25], v41 offset:80
	ds_load_b128 v[26:29], v137 offset:38992
	;; [unrolled: 1-line block ×6, first 2 shown]
	s_wait_dscnt 0x4
	;;#ASMSTART
	v_dot2_f32_f16 v0, v22, v26, v0
	;;#ASMEND
	;;#ASMSTART
	v_dot2_f32_f16 v0, v23, v27, v0
	;;#ASMEND
	;;#ASMSTART
	v_dot2_f32_f16 v0, v24, v28, v0
	;;#ASMEND
	;;#ASMSTART
	v_dot2_f32_f16 v0, v25, v29, v0
	;;#ASMEND
	s_wait_dscnt 0x3
	;;#ASMSTART
	v_dot2_f32_f16 v18, v22, v30, v18
	;;#ASMEND
	;;#ASMSTART
	v_dot2_f32_f16 v18, v23, v31, v18
	;;#ASMEND
	;;#ASMSTART
	v_dot2_f32_f16 v18, v24, v32, v18
	;;#ASMEND
	;;#ASMSTART
	v_dot2_f32_f16 v18, v25, v33, v18
	;;#ASMEND
	;; [unrolled: 13-line block ×3, first 2 shown]
	;;#ASMSTART
	v_dot2_f32_f16 v17, v42, v30, v17
	;;#ASMEND
	;;#ASMSTART
	v_dot2_f32_f16 v17, v43, v31, v17
	;;#ASMEND
	;; [unrolled: 3-line block ×4, first 2 shown]
	s_wait_dscnt 0x1
	;;#ASMSTART
	v_dot2_f32_f16 v20, v46, v26, v20
	;;#ASMEND
	;;#ASMSTART
	v_dot2_f32_f16 v20, v47, v27, v20
	;;#ASMEND
	;; [unrolled: 3-line block ×8, first 2 shown]
	s_wait_dscnt 0x0
	;;#ASMSTART
	v_dot2_f32_f16 v19, v50, v26, v19
	;;#ASMEND
	;;#ASMSTART
	v_dot2_f32_f16 v19, v51, v27, v19
	;;#ASMEND
	;;#ASMSTART
	v_dot2_f32_f16 v19, v52, v28, v19
	;;#ASMEND
	;;#ASMSTART
	v_dot2_f32_f16 v19, v53, v29, v19
	;;#ASMEND
	;;#ASMSTART
	v_dot2_f32_f16 v15, v50, v30, v15
	;;#ASMEND
	;;#ASMSTART
	v_dot2_f32_f16 v15, v51, v31, v15
	;;#ASMEND
	;;#ASMSTART
	v_dot2_f32_f16 v15, v52, v32, v15
	;;#ASMEND
	;;#ASMSTART
	v_dot2_f32_f16 v15, v53, v33, v15
	;;#ASMEND
	ds_load_b128 v[22:25], v41 offset:96
	ds_load_b128 v[26:29], v137 offset:39008
	ds_load_b128 v[30:33], v137 offset:39264
	ds_load_b128 v[42:45], v41 offset:8800
	ds_load_b128 v[46:49], v41 offset:17504
	ds_load_b128 v[50:53], v41 offset:26208
	s_wait_dscnt 0x4
	;;#ASMSTART
	v_dot2_f32_f16 v0, v22, v26, v0
	;;#ASMEND
	;;#ASMSTART
	v_dot2_f32_f16 v0, v23, v27, v0
	;;#ASMEND
	;;#ASMSTART
	v_dot2_f32_f16 v0, v24, v28, v0
	;;#ASMEND
	;;#ASMSTART
	v_dot2_f32_f16 v0, v25, v29, v0
	;;#ASMEND
	s_wait_dscnt 0x3
	;;#ASMSTART
	v_dot2_f32_f16 v18, v22, v30, v18
	;;#ASMEND
	;;#ASMSTART
	v_dot2_f32_f16 v18, v23, v31, v18
	;;#ASMEND
	;;#ASMSTART
	v_dot2_f32_f16 v18, v24, v32, v18
	;;#ASMEND
	;;#ASMSTART
	v_dot2_f32_f16 v18, v25, v33, v18
	;;#ASMEND
	;; [unrolled: 13-line block ×3, first 2 shown]
	;;#ASMSTART
	v_dot2_f32_f16 v17, v42, v30, v17
	;;#ASMEND
	;;#ASMSTART
	v_dot2_f32_f16 v17, v43, v31, v17
	;;#ASMEND
	;; [unrolled: 3-line block ×4, first 2 shown]
	s_wait_dscnt 0x1
	;;#ASMSTART
	v_dot2_f32_f16 v20, v46, v26, v20
	;;#ASMEND
	;;#ASMSTART
	v_dot2_f32_f16 v20, v47, v27, v20
	;;#ASMEND
	;;#ASMSTART
	v_dot2_f32_f16 v20, v48, v28, v20
	;;#ASMEND
	;;#ASMSTART
	v_dot2_f32_f16 v20, v49, v29, v20
	;;#ASMEND
	;;#ASMSTART
	v_dot2_f32_f16 v16, v46, v30, v16
	;;#ASMEND
	;;#ASMSTART
	v_dot2_f32_f16 v16, v47, v31, v16
	;;#ASMEND
	;;#ASMSTART
	v_dot2_f32_f16 v16, v48, v32, v16
	;;#ASMEND
	;;#ASMSTART
	v_dot2_f32_f16 v16, v49, v33, v16
	;;#ASMEND
	s_wait_dscnt 0x0
	;;#ASMSTART
	v_dot2_f32_f16 v19, v50, v26, v19
	;;#ASMEND
	;;#ASMSTART
	v_dot2_f32_f16 v19, v51, v27, v19
	;;#ASMEND
	;;#ASMSTART
	v_dot2_f32_f16 v19, v52, v28, v19
	;;#ASMEND
	;;#ASMSTART
	v_dot2_f32_f16 v19, v53, v29, v19
	;;#ASMEND
	;;#ASMSTART
	v_dot2_f32_f16 v15, v50, v30, v15
	;;#ASMEND
	;;#ASMSTART
	v_dot2_f32_f16 v15, v51, v31, v15
	;;#ASMEND
	;;#ASMSTART
	v_dot2_f32_f16 v15, v52, v32, v15
	;;#ASMEND
	;;#ASMSTART
	v_dot2_f32_f16 v15, v53, v33, v15
	;;#ASMEND
	ds_load_b128 v[22:25], v41 offset:112
	ds_load_b128 v[26:29], v137 offset:39024
	;; [unrolled: 1-line block ×6, first 2 shown]
	s_wait_dscnt 0x4
	;;#ASMSTART
	v_dot2_f32_f16 v0, v22, v26, v0
	;;#ASMEND
	;;#ASMSTART
	v_dot2_f32_f16 v0, v23, v27, v0
	;;#ASMEND
	;;#ASMSTART
	v_dot2_f32_f16 v0, v24, v28, v0
	;;#ASMEND
	;;#ASMSTART
	v_dot2_f32_f16 v0, v25, v29, v0
	;;#ASMEND
	s_wait_dscnt 0x3
	;;#ASMSTART
	v_dot2_f32_f16 v18, v22, v30, v18
	;;#ASMEND
	;;#ASMSTART
	v_dot2_f32_f16 v18, v23, v31, v18
	;;#ASMEND
	;;#ASMSTART
	v_dot2_f32_f16 v18, v24, v32, v18
	;;#ASMEND
	;;#ASMSTART
	v_dot2_f32_f16 v18, v25, v33, v18
	;;#ASMEND
	;; [unrolled: 13-line block ×3, first 2 shown]
	;;#ASMSTART
	v_dot2_f32_f16 v17, v42, v30, v17
	;;#ASMEND
	;;#ASMSTART
	v_dot2_f32_f16 v17, v43, v31, v17
	;;#ASMEND
	;;#ASMSTART
	v_dot2_f32_f16 v17, v44, v32, v17
	;;#ASMEND
	;;#ASMSTART
	v_dot2_f32_f16 v17, v45, v33, v17
	;;#ASMEND
	s_wait_dscnt 0x1
	;;#ASMSTART
	v_dot2_f32_f16 v20, v46, v26, v20
	;;#ASMEND
	;;#ASMSTART
	v_dot2_f32_f16 v20, v47, v27, v20
	;;#ASMEND
	;; [unrolled: 3-line block ×8, first 2 shown]
	s_wait_dscnt 0x0
	;;#ASMSTART
	v_dot2_f32_f16 v19, v50, v26, v19
	;;#ASMEND
	;;#ASMSTART
	v_dot2_f32_f16 v19, v51, v27, v19
	;;#ASMEND
	;; [unrolled: 3-line block ×8, first 2 shown]
	ds_load_b128 v[22:25], v41 offset:128
	ds_load_b128 v[26:29], v137 offset:39040
	;; [unrolled: 1-line block ×6, first 2 shown]
	s_wait_dscnt 0x4
	;;#ASMSTART
	v_dot2_f32_f16 v0, v22, v26, v0
	;;#ASMEND
	;;#ASMSTART
	v_dot2_f32_f16 v0, v23, v27, v0
	;;#ASMEND
	;;#ASMSTART
	v_dot2_f32_f16 v0, v24, v28, v0
	;;#ASMEND
	;;#ASMSTART
	v_dot2_f32_f16 v0, v25, v29, v0
	;;#ASMEND
	s_wait_dscnt 0x3
	;;#ASMSTART
	v_dot2_f32_f16 v18, v22, v30, v18
	;;#ASMEND
	;;#ASMSTART
	v_dot2_f32_f16 v18, v23, v31, v18
	;;#ASMEND
	;;#ASMSTART
	v_dot2_f32_f16 v18, v24, v32, v18
	;;#ASMEND
	;;#ASMSTART
	v_dot2_f32_f16 v18, v25, v33, v18
	;;#ASMEND
	;; [unrolled: 13-line block ×3, first 2 shown]
	;;#ASMSTART
	v_dot2_f32_f16 v17, v42, v30, v17
	;;#ASMEND
	;;#ASMSTART
	v_dot2_f32_f16 v17, v43, v31, v17
	;;#ASMEND
	;; [unrolled: 3-line block ×4, first 2 shown]
	s_wait_dscnt 0x1
	;;#ASMSTART
	v_dot2_f32_f16 v20, v46, v26, v20
	;;#ASMEND
	;;#ASMSTART
	v_dot2_f32_f16 v20, v47, v27, v20
	;;#ASMEND
	;; [unrolled: 3-line block ×8, first 2 shown]
	s_wait_dscnt 0x0
	;;#ASMSTART
	v_dot2_f32_f16 v19, v50, v26, v19
	;;#ASMEND
	;;#ASMSTART
	v_dot2_f32_f16 v19, v51, v27, v19
	;;#ASMEND
	;; [unrolled: 3-line block ×8, first 2 shown]
	ds_load_b128 v[22:25], v41 offset:144
	ds_load_b128 v[26:29], v137 offset:39056
	;; [unrolled: 1-line block ×6, first 2 shown]
	s_wait_dscnt 0x4
	;;#ASMSTART
	v_dot2_f32_f16 v0, v22, v26, v0
	;;#ASMEND
	;;#ASMSTART
	v_dot2_f32_f16 v0, v23, v27, v0
	;;#ASMEND
	;;#ASMSTART
	v_dot2_f32_f16 v0, v24, v28, v0
	;;#ASMEND
	;;#ASMSTART
	v_dot2_f32_f16 v0, v25, v29, v0
	;;#ASMEND
	s_wait_dscnt 0x3
	;;#ASMSTART
	v_dot2_f32_f16 v18, v22, v30, v18
	;;#ASMEND
	;;#ASMSTART
	v_dot2_f32_f16 v18, v23, v31, v18
	;;#ASMEND
	;;#ASMSTART
	v_dot2_f32_f16 v18, v24, v32, v18
	;;#ASMEND
	;;#ASMSTART
	v_dot2_f32_f16 v18, v25, v33, v18
	;;#ASMEND
	;; [unrolled: 13-line block ×3, first 2 shown]
	;;#ASMSTART
	v_dot2_f32_f16 v17, v42, v30, v17
	;;#ASMEND
	;;#ASMSTART
	v_dot2_f32_f16 v17, v43, v31, v17
	;;#ASMEND
	;; [unrolled: 3-line block ×4, first 2 shown]
	s_wait_dscnt 0x1
	;;#ASMSTART
	v_dot2_f32_f16 v20, v46, v26, v20
	;;#ASMEND
	;;#ASMSTART
	v_dot2_f32_f16 v20, v47, v27, v20
	;;#ASMEND
	;; [unrolled: 3-line block ×8, first 2 shown]
	s_wait_dscnt 0x0
	;;#ASMSTART
	v_dot2_f32_f16 v19, v50, v26, v19
	;;#ASMEND
	;;#ASMSTART
	v_dot2_f32_f16 v19, v51, v27, v19
	;;#ASMEND
	;; [unrolled: 3-line block ×8, first 2 shown]
	ds_load_b128 v[22:25], v41 offset:160
	ds_load_b128 v[26:29], v137 offset:39072
	;; [unrolled: 1-line block ×6, first 2 shown]
	s_wait_dscnt 0x4
	;;#ASMSTART
	v_dot2_f32_f16 v0, v22, v26, v0
	;;#ASMEND
	;;#ASMSTART
	v_dot2_f32_f16 v0, v23, v27, v0
	;;#ASMEND
	;;#ASMSTART
	v_dot2_f32_f16 v0, v24, v28, v0
	;;#ASMEND
	;;#ASMSTART
	v_dot2_f32_f16 v0, v25, v29, v0
	;;#ASMEND
	s_wait_dscnt 0x3
	;;#ASMSTART
	v_dot2_f32_f16 v18, v22, v30, v18
	;;#ASMEND
	;;#ASMSTART
	v_dot2_f32_f16 v18, v23, v31, v18
	;;#ASMEND
	;;#ASMSTART
	v_dot2_f32_f16 v18, v24, v32, v18
	;;#ASMEND
	;;#ASMSTART
	v_dot2_f32_f16 v18, v25, v33, v18
	;;#ASMEND
	;; [unrolled: 13-line block ×3, first 2 shown]
	;;#ASMSTART
	v_dot2_f32_f16 v17, v42, v30, v17
	;;#ASMEND
	;;#ASMSTART
	v_dot2_f32_f16 v17, v43, v31, v17
	;;#ASMEND
	;;#ASMSTART
	v_dot2_f32_f16 v17, v44, v32, v17
	;;#ASMEND
	;;#ASMSTART
	v_dot2_f32_f16 v17, v45, v33, v17
	;;#ASMEND
	s_wait_dscnt 0x1
	;;#ASMSTART
	v_dot2_f32_f16 v20, v46, v26, v20
	;;#ASMEND
	;;#ASMSTART
	v_dot2_f32_f16 v20, v47, v27, v20
	;;#ASMEND
	;; [unrolled: 3-line block ×8, first 2 shown]
	s_wait_dscnt 0x0
	;;#ASMSTART
	v_dot2_f32_f16 v19, v50, v26, v19
	;;#ASMEND
	;;#ASMSTART
	v_dot2_f32_f16 v19, v51, v27, v19
	;;#ASMEND
	;; [unrolled: 3-line block ×8, first 2 shown]
	ds_load_b128 v[22:25], v41 offset:176
	ds_load_b128 v[26:29], v137 offset:39088
	;; [unrolled: 1-line block ×6, first 2 shown]
	s_wait_dscnt 0x4
	;;#ASMSTART
	v_dot2_f32_f16 v0, v22, v26, v0
	;;#ASMEND
	;;#ASMSTART
	v_dot2_f32_f16 v0, v23, v27, v0
	;;#ASMEND
	;;#ASMSTART
	v_dot2_f32_f16 v0, v24, v28, v0
	;;#ASMEND
	;;#ASMSTART
	v_dot2_f32_f16 v0, v25, v29, v0
	;;#ASMEND
	s_wait_dscnt 0x3
	;;#ASMSTART
	v_dot2_f32_f16 v18, v22, v30, v18
	;;#ASMEND
	;;#ASMSTART
	v_dot2_f32_f16 v18, v23, v31, v18
	;;#ASMEND
	;;#ASMSTART
	v_dot2_f32_f16 v18, v24, v32, v18
	;;#ASMEND
	;;#ASMSTART
	v_dot2_f32_f16 v18, v25, v33, v18
	;;#ASMEND
	;; [unrolled: 13-line block ×3, first 2 shown]
	;;#ASMSTART
	v_dot2_f32_f16 v17, v42, v30, v17
	;;#ASMEND
	;;#ASMSTART
	v_dot2_f32_f16 v17, v43, v31, v17
	;;#ASMEND
	;; [unrolled: 3-line block ×4, first 2 shown]
	s_wait_dscnt 0x1
	;;#ASMSTART
	v_dot2_f32_f16 v20, v46, v26, v20
	;;#ASMEND
	;;#ASMSTART
	v_dot2_f32_f16 v20, v47, v27, v20
	;;#ASMEND
	;; [unrolled: 3-line block ×8, first 2 shown]
	s_wait_dscnt 0x0
	;;#ASMSTART
	v_dot2_f32_f16 v19, v50, v26, v19
	;;#ASMEND
	;;#ASMSTART
	v_dot2_f32_f16 v19, v51, v27, v19
	;;#ASMEND
	;;#ASMSTART
	v_dot2_f32_f16 v19, v52, v28, v19
	;;#ASMEND
	;;#ASMSTART
	v_dot2_f32_f16 v19, v53, v29, v19
	;;#ASMEND
	;;#ASMSTART
	v_dot2_f32_f16 v15, v50, v30, v15
	;;#ASMEND
	;;#ASMSTART
	v_dot2_f32_f16 v15, v51, v31, v15
	;;#ASMEND
	;;#ASMSTART
	v_dot2_f32_f16 v15, v52, v32, v15
	;;#ASMEND
	;;#ASMSTART
	v_dot2_f32_f16 v15, v53, v33, v15
	;;#ASMEND
	ds_load_b128 v[22:25], v41 offset:192
	ds_load_b128 v[26:29], v137 offset:39104
	;; [unrolled: 1-line block ×6, first 2 shown]
	s_wait_dscnt 0x4
	;;#ASMSTART
	v_dot2_f32_f16 v0, v22, v26, v0
	;;#ASMEND
	;;#ASMSTART
	v_dot2_f32_f16 v0, v23, v27, v0
	;;#ASMEND
	;;#ASMSTART
	v_dot2_f32_f16 v0, v24, v28, v0
	;;#ASMEND
	;;#ASMSTART
	v_dot2_f32_f16 v0, v25, v29, v0
	;;#ASMEND
	s_wait_dscnt 0x3
	;;#ASMSTART
	v_dot2_f32_f16 v18, v22, v30, v18
	;;#ASMEND
	;;#ASMSTART
	v_dot2_f32_f16 v18, v23, v31, v18
	;;#ASMEND
	;;#ASMSTART
	v_dot2_f32_f16 v18, v24, v32, v18
	;;#ASMEND
	;;#ASMSTART
	v_dot2_f32_f16 v18, v25, v33, v18
	;;#ASMEND
	;; [unrolled: 13-line block ×3, first 2 shown]
	;;#ASMSTART
	v_dot2_f32_f16 v17, v42, v30, v17
	;;#ASMEND
	;;#ASMSTART
	v_dot2_f32_f16 v17, v43, v31, v17
	;;#ASMEND
	;; [unrolled: 3-line block ×4, first 2 shown]
	s_wait_dscnt 0x1
	;;#ASMSTART
	v_dot2_f32_f16 v20, v46, v26, v20
	;;#ASMEND
	;;#ASMSTART
	v_dot2_f32_f16 v20, v47, v27, v20
	;;#ASMEND
	;; [unrolled: 3-line block ×8, first 2 shown]
	s_wait_dscnt 0x0
	;;#ASMSTART
	v_dot2_f32_f16 v19, v50, v26, v19
	;;#ASMEND
	;;#ASMSTART
	v_dot2_f32_f16 v19, v51, v27, v19
	;;#ASMEND
	;; [unrolled: 3-line block ×8, first 2 shown]
	ds_load_b128 v[22:25], v41 offset:208
	ds_load_b128 v[26:29], v137 offset:39120
	;; [unrolled: 1-line block ×6, first 2 shown]
	s_wait_dscnt 0x4
	;;#ASMSTART
	v_dot2_f32_f16 v0, v22, v26, v0
	;;#ASMEND
	;;#ASMSTART
	v_dot2_f32_f16 v0, v23, v27, v0
	;;#ASMEND
	;;#ASMSTART
	v_dot2_f32_f16 v0, v24, v28, v0
	;;#ASMEND
	;;#ASMSTART
	v_dot2_f32_f16 v0, v25, v29, v0
	;;#ASMEND
	s_wait_dscnt 0x3
	;;#ASMSTART
	v_dot2_f32_f16 v18, v22, v30, v18
	;;#ASMEND
	;;#ASMSTART
	v_dot2_f32_f16 v18, v23, v31, v18
	;;#ASMEND
	;;#ASMSTART
	v_dot2_f32_f16 v18, v24, v32, v18
	;;#ASMEND
	;;#ASMSTART
	v_dot2_f32_f16 v18, v25, v33, v18
	;;#ASMEND
	s_wait_dscnt 0x2
	;;#ASMSTART
	v_dot2_f32_f16 v21, v42, v26, v21
	;;#ASMEND
	;;#ASMSTART
	v_dot2_f32_f16 v21, v43, v27, v21
	;;#ASMEND
	;;#ASMSTART
	v_dot2_f32_f16 v21, v44, v28, v21
	;;#ASMEND
	;;#ASMSTART
	v_dot2_f32_f16 v21, v45, v29, v21
	;;#ASMEND
	;;#ASMSTART
	v_dot2_f32_f16 v17, v42, v30, v17
	;;#ASMEND
	;;#ASMSTART
	v_dot2_f32_f16 v17, v43, v31, v17
	;;#ASMEND
	;; [unrolled: 3-line block ×4, first 2 shown]
	s_wait_dscnt 0x1
	;;#ASMSTART
	v_dot2_f32_f16 v20, v46, v26, v20
	;;#ASMEND
	;;#ASMSTART
	v_dot2_f32_f16 v20, v47, v27, v20
	;;#ASMEND
	;; [unrolled: 3-line block ×8, first 2 shown]
	s_wait_dscnt 0x0
	;;#ASMSTART
	v_dot2_f32_f16 v19, v50, v26, v19
	;;#ASMEND
	;;#ASMSTART
	v_dot2_f32_f16 v19, v51, v27, v19
	;;#ASMEND
	;; [unrolled: 3-line block ×8, first 2 shown]
	ds_load_b128 v[22:25], v41 offset:224
	ds_load_b128 v[26:29], v137 offset:39136
	;; [unrolled: 1-line block ×6, first 2 shown]
	s_wait_dscnt 0x4
	;;#ASMSTART
	v_dot2_f32_f16 v0, v22, v26, v0
	;;#ASMEND
	;;#ASMSTART
	v_dot2_f32_f16 v0, v23, v27, v0
	;;#ASMEND
	;;#ASMSTART
	v_dot2_f32_f16 v0, v24, v28, v0
	;;#ASMEND
	;;#ASMSTART
	v_dot2_f32_f16 v0, v25, v29, v0
	;;#ASMEND
	s_wait_dscnt 0x3
	;;#ASMSTART
	v_dot2_f32_f16 v18, v22, v30, v18
	;;#ASMEND
	;;#ASMSTART
	v_dot2_f32_f16 v18, v23, v31, v18
	;;#ASMEND
	;;#ASMSTART
	v_dot2_f32_f16 v18, v24, v32, v18
	;;#ASMEND
	;;#ASMSTART
	v_dot2_f32_f16 v18, v25, v33, v18
	;;#ASMEND
	;; [unrolled: 13-line block ×3, first 2 shown]
	;;#ASMSTART
	v_dot2_f32_f16 v17, v42, v30, v17
	;;#ASMEND
	;;#ASMSTART
	v_dot2_f32_f16 v17, v43, v31, v17
	;;#ASMEND
	;; [unrolled: 3-line block ×4, first 2 shown]
	s_wait_dscnt 0x1
	;;#ASMSTART
	v_dot2_f32_f16 v20, v46, v26, v20
	;;#ASMEND
	;;#ASMSTART
	v_dot2_f32_f16 v20, v47, v27, v20
	;;#ASMEND
	;;#ASMSTART
	v_dot2_f32_f16 v20, v48, v28, v20
	;;#ASMEND
	;;#ASMSTART
	v_dot2_f32_f16 v20, v49, v29, v20
	;;#ASMEND
	;;#ASMSTART
	v_dot2_f32_f16 v16, v46, v30, v16
	;;#ASMEND
	;;#ASMSTART
	v_dot2_f32_f16 v16, v47, v31, v16
	;;#ASMEND
	;;#ASMSTART
	v_dot2_f32_f16 v16, v48, v32, v16
	;;#ASMEND
	;;#ASMSTART
	v_dot2_f32_f16 v16, v49, v33, v16
	;;#ASMEND
	s_wait_dscnt 0x0
	;;#ASMSTART
	v_dot2_f32_f16 v19, v50, v26, v19
	;;#ASMEND
	;;#ASMSTART
	v_dot2_f32_f16 v19, v51, v27, v19
	;;#ASMEND
	;; [unrolled: 3-line block ×8, first 2 shown]
	ds_load_b128 v[22:25], v41 offset:240
	ds_load_b128 v[26:29], v137 offset:39152
	;; [unrolled: 1-line block ×6, first 2 shown]
	s_wait_dscnt 0x4
	;;#ASMSTART
	v_dot2_f32_f16 v0, v22, v26, v0
	;;#ASMEND
	;;#ASMSTART
	v_dot2_f32_f16 v0, v23, v27, v0
	;;#ASMEND
	;;#ASMSTART
	v_dot2_f32_f16 v0, v24, v28, v0
	;;#ASMEND
	;;#ASMSTART
	v_dot2_f32_f16 v0, v25, v29, v0
	;;#ASMEND
	s_wait_dscnt 0x3
	;;#ASMSTART
	v_dot2_f32_f16 v18, v22, v30, v18
	;;#ASMEND
	;;#ASMSTART
	v_dot2_f32_f16 v18, v23, v31, v18
	;;#ASMEND
	;;#ASMSTART
	v_dot2_f32_f16 v18, v24, v32, v18
	;;#ASMEND
	;;#ASMSTART
	v_dot2_f32_f16 v18, v25, v33, v18
	;;#ASMEND
	;; [unrolled: 13-line block ×3, first 2 shown]
	;;#ASMSTART
	v_dot2_f32_f16 v17, v42, v30, v17
	;;#ASMEND
	;;#ASMSTART
	v_dot2_f32_f16 v17, v43, v31, v17
	;;#ASMEND
	;; [unrolled: 3-line block ×4, first 2 shown]
	s_wait_dscnt 0x1
	;;#ASMSTART
	v_dot2_f32_f16 v20, v46, v26, v20
	;;#ASMEND
	;;#ASMSTART
	v_dot2_f32_f16 v20, v47, v27, v20
	;;#ASMEND
	;; [unrolled: 3-line block ×8, first 2 shown]
	s_wait_dscnt 0x0
	;;#ASMSTART
	v_dot2_f32_f16 v19, v50, v26, v19
	;;#ASMEND
	v_cmp_ngt_f32_e64 s10, 0x3f200000, |v0|
	;;#ASMSTART
	v_dot2_f32_f16 v19, v51, v27, v19
	;;#ASMEND
	;;#ASMSTART
	v_dot2_f32_f16 v19, v52, v28, v19
	;;#ASMEND
	;; [unrolled: 3-line block ×7, first 2 shown]
	s_and_saveexec_b32 s11, s10
	s_wait_alu 0xfffe
	s_xor_b32 s10, exec_lo, s11
	s_cbranch_execz .LBB88_67
; %bb.66:
	v_add_f32_e64 v1, |v0|, |v0|
	s_delay_alu instid0(VALU_DEP_1) | instskip(SKIP_1) | instid1(VALU_DEP_2)
	v_mul_f32_e32 v2, 0x3fb8aa3b, v1
	v_cmp_ngt_f32_e32 vcc_lo, 0xc2ce8ed0, v1
	v_rndne_f32_e32 v3, v2
	v_fma_f32 v22, 0x3fb8aa3b, v1, -v2
	s_delay_alu instid0(VALU_DEP_2) | instskip(NEXT) | instid1(VALU_DEP_2)
	v_sub_f32_e32 v2, v2, v3
	v_fmamk_f32 v22, v1, 0x32a5705f, v22
	v_cvt_i32_f32_e32 v3, v3
	s_delay_alu instid0(VALU_DEP_2) | instskip(NEXT) | instid1(VALU_DEP_1)
	v_add_f32_e32 v2, v2, v22
	v_exp_f32_e32 v2, v2
	s_delay_alu instid0(TRANS32_DEP_1) | instskip(SKIP_1) | instid1(VALU_DEP_1)
	v_ldexp_f32 v2, v2, v3
	s_wait_alu 0xfffd
	v_cndmask_b32_e32 v2, 0, v2, vcc_lo
	v_cmp_nlt_f32_e32 vcc_lo, 0x42b17218, v1
	s_wait_alu 0xfffd
	s_delay_alu instid0(VALU_DEP_2) | instskip(NEXT) | instid1(VALU_DEP_1)
	v_cndmask_b32_e32 v1, 0x7f800000, v2, vcc_lo
	v_add_f32_e32 v1, 1.0, v1
	s_delay_alu instid0(VALU_DEP_1) | instskip(NEXT) | instid1(TRANS32_DEP_1)
	v_rcp_f32_e32 v1, v1
	v_fma_f32 v1, v1, -2.0, 1.0
.LBB88_67:
	s_wait_alu 0xfffe
	s_and_not1_saveexec_b32 s10, s10
	s_cbranch_execz .LBB88_69
; %bb.68:
	v_mul_f32_e32 v1, v0, v0
	s_mov_b32 s11, 0xbbbac73d
	s_wait_alu 0xfffe
	s_delay_alu instid0(VALU_DEP_1) | instskip(NEXT) | instid1(VALU_DEP_1)
	v_fmaak_f32 v2, s11, v1, 0x3ca908c9
	v_fmaak_f32 v2, v1, v2, 0xbd5c1c4e
	s_delay_alu instid0(VALU_DEP_1) | instskip(NEXT) | instid1(VALU_DEP_1)
	v_fmaak_f32 v2, v1, v2, 0x3e088382
	v_fmaak_f32 v2, v1, v2, 0xbeaaaa99
	s_delay_alu instid0(VALU_DEP_1) | instskip(NEXT) | instid1(VALU_DEP_1)
	v_mul_f32_e64 v2, |v0|, v2
	v_fma_f32 v1, v1, v2, |v0|
.LBB88_69:
	s_wait_alu 0xfffe
	s_or_b32 exec_lo, exec_lo, s10
	s_delay_alu instid0(VALU_DEP_1)
	v_bfi_b32 v0, 0x7fffffff, v1, v0
	s_cmp_lg_u64 s[36:37], 0
	v_mad_co_u64_u32 v[2:3], null, v40, s14, s[40:41]
	s_cselect_b32 s12, -1, 0
	v_mul_f32_e32 v22, s15, v0
	v_mov_b32_e32 v0, v4
	v_cmp_gt_i32_e64 s10, s19, v135
	s_wait_alu 0xfffe
	v_cndmask_b32_e64 v26, 0, 1, s12
	v_mov_b32_e32 v1, v5
	s_and_saveexec_b32 s11, s10
	s_cbranch_execz .LBB88_74
; %bb.70:
	s_and_not1_b32 vcc_lo, exec_lo, s12
	s_wait_alu 0xfffe
	s_cbranch_vccnz .LBB88_72
; %bb.71:
	v_add_nc_u32_e32 v0, v2, v135
	s_delay_alu instid0(VALU_DEP_1) | instskip(NEXT) | instid1(VALU_DEP_1)
	v_ashrrev_i32_e32 v1, 31, v0
	v_lshlrev_b64_e32 v[0:1], 1, v[0:1]
	s_delay_alu instid0(VALU_DEP_1) | instskip(SKIP_1) | instid1(VALU_DEP_2)
	v_add_co_u32 v0, vcc_lo, s36, v0
	s_wait_alu 0xfffd
	v_add_co_ci_u32_e64 v1, null, s37, v1, vcc_lo
	global_load_u16 v0, v[0:1], off
	s_wait_loadcnt 0x0
	v_cvt_f32_f16_e32 v0, v0
	s_delay_alu instid0(VALU_DEP_1)
	v_mul_f32_e32 v0, v37, v0
	s_branch .LBB88_73
.LBB88_72:
	v_mov_b32_e32 v0, 0
.LBB88_73:
	s_delay_alu instid0(VALU_DEP_1) | instskip(NEXT) | instid1(VALU_DEP_1)
	v_add_f32_e32 v22, v22, v0
	v_dual_max_num_f32 v0, v4, v4 :: v_dual_add_f32 v1, 0x40051340, v22
	s_delay_alu instid0(VALU_DEP_1)
	v_dual_max_num_f32 v0, v0, v1 :: v_dual_mov_b32 v1, v5
.LBB88_74:
	s_wait_alu 0xfffe
	s_or_b32 exec_lo, exec_lo, s11
	v_cmp_ngt_f32_e64 s11, 0x3f200000, |v21|
                                        ; implicit-def: $vgpr3
	s_and_saveexec_b32 s12, s11
	s_wait_alu 0xfffe
	s_xor_b32 s11, exec_lo, s12
	s_cbranch_execz .LBB88_76
; %bb.75:
	v_add_f32_e64 v3, |v21|, |v21|
	s_delay_alu instid0(VALU_DEP_1) | instskip(SKIP_1) | instid1(VALU_DEP_2)
	v_mul_f32_e32 v23, 0x3fb8aa3b, v3
	v_cmp_ngt_f32_e32 vcc_lo, 0xc2ce8ed0, v3
	v_rndne_f32_e32 v24, v23
	v_fma_f32 v25, 0x3fb8aa3b, v3, -v23
	s_delay_alu instid0(VALU_DEP_2) | instskip(NEXT) | instid1(VALU_DEP_2)
	v_sub_f32_e32 v23, v23, v24
	v_fmamk_f32 v25, v3, 0x32a5705f, v25
	v_cvt_i32_f32_e32 v24, v24
	s_delay_alu instid0(VALU_DEP_2) | instskip(NEXT) | instid1(VALU_DEP_1)
	v_add_f32_e32 v23, v23, v25
	v_exp_f32_e32 v23, v23
	s_delay_alu instid0(TRANS32_DEP_1) | instskip(SKIP_1) | instid1(VALU_DEP_1)
	v_ldexp_f32 v23, v23, v24
	s_wait_alu 0xfffd
	v_cndmask_b32_e32 v23, 0, v23, vcc_lo
	v_cmp_nlt_f32_e32 vcc_lo, 0x42b17218, v3
	s_wait_alu 0xfffd
	s_delay_alu instid0(VALU_DEP_2) | instskip(NEXT) | instid1(VALU_DEP_1)
	v_cndmask_b32_e32 v3, 0x7f800000, v23, vcc_lo
	v_add_f32_e32 v3, 1.0, v3
	s_delay_alu instid0(VALU_DEP_1) | instskip(NEXT) | instid1(TRANS32_DEP_1)
	v_rcp_f32_e32 v3, v3
	v_fma_f32 v3, v3, -2.0, 1.0
.LBB88_76:
	s_wait_alu 0xfffe
	s_and_not1_saveexec_b32 s11, s11
	s_cbranch_execz .LBB88_78
; %bb.77:
	v_mul_f32_e32 v3, v21, v21
	s_mov_b32 s12, 0xbbbac73d
	s_wait_alu 0xfffe
	s_delay_alu instid0(VALU_DEP_1) | instskip(NEXT) | instid1(VALU_DEP_1)
	v_fmaak_f32 v23, s12, v3, 0x3ca908c9
	v_fmaak_f32 v23, v3, v23, 0xbd5c1c4e
	s_delay_alu instid0(VALU_DEP_1) | instskip(NEXT) | instid1(VALU_DEP_1)
	v_fmaak_f32 v23, v3, v23, 0x3e088382
	v_fmaak_f32 v23, v3, v23, 0xbeaaaa99
	s_delay_alu instid0(VALU_DEP_1) | instskip(NEXT) | instid1(VALU_DEP_1)
	v_mul_f32_e64 v23, |v21|, v23
	v_fma_f32 v3, v3, v23, |v21|
.LBB88_78:
	s_wait_alu 0xfffe
	s_or_b32 exec_lo, exec_lo, s11
	s_delay_alu instid0(VALU_DEP_1) | instskip(SKIP_1) | instid1(VALU_DEP_2)
	v_bfi_b32 v3, 0x7fffffff, v3, v21
	v_add_nc_u32_e32 v21, 32, v135
	v_mul_f32_e32 v23, s15, v3
	s_delay_alu instid0(VALU_DEP_2)
	v_cmp_gt_i32_e64 s11, s19, v21
	s_and_saveexec_b32 s12, s11
	s_cbranch_execz .LBB88_83
; %bb.79:
	v_cmp_ne_u32_e32 vcc_lo, 1, v26
	s_cbranch_vccnz .LBB88_81
; %bb.80:
	v_ashrrev_i32_e32 v3, 31, v2
	v_add_co_u32 v24, vcc_lo, v2, v135
	s_wait_alu 0xfffd
	s_delay_alu instid0(VALU_DEP_2) | instskip(NEXT) | instid1(VALU_DEP_1)
	v_add_co_ci_u32_e64 v25, null, 0, v3, vcc_lo
	v_lshlrev_b64_e32 v[24:25], 1, v[24:25]
	s_delay_alu instid0(VALU_DEP_1) | instskip(SKIP_1) | instid1(VALU_DEP_2)
	v_add_co_u32 v24, vcc_lo, s36, v24
	s_wait_alu 0xfffd
	v_add_co_ci_u32_e64 v25, null, s37, v25, vcc_lo
	global_load_u16 v3, v[24:25], off offset:64
	s_wait_loadcnt 0x0
	v_cvt_f32_f16_e32 v3, v3
	s_delay_alu instid0(VALU_DEP_1)
	v_mul_f32_e32 v3, v37, v3
	s_branch .LBB88_82
.LBB88_81:
	v_mov_b32_e32 v3, 0
.LBB88_82:
	s_delay_alu instid0(VALU_DEP_1) | instskip(NEXT) | instid1(VALU_DEP_1)
	v_dual_add_f32 v23, v23, v3 :: v_dual_max_num_f32 v0, v0, v0
	v_add_f32_e32 v3, 0x40051340, v23
	s_delay_alu instid0(VALU_DEP_1)
	v_max_num_f32_e32 v0, v0, v3
.LBB88_83:
	s_wait_alu 0xfffe
	s_or_b32 exec_lo, exec_lo, s12
	v_cmp_ngt_f32_e64 s12, 0x3f200000, |v20|
                                        ; implicit-def: $vgpr3
	s_and_saveexec_b32 s13, s12
	s_wait_alu 0xfffe
	s_xor_b32 s12, exec_lo, s13
	s_cbranch_execz .LBB88_85
; %bb.84:
	v_add_f32_e64 v3, |v20|, |v20|
	s_delay_alu instid0(VALU_DEP_1) | instskip(SKIP_1) | instid1(VALU_DEP_2)
	v_mul_f32_e32 v24, 0x3fb8aa3b, v3
	v_cmp_ngt_f32_e32 vcc_lo, 0xc2ce8ed0, v3
	v_rndne_f32_e32 v25, v24
	v_fma_f32 v27, 0x3fb8aa3b, v3, -v24
	s_delay_alu instid0(VALU_DEP_1) | instskip(SKIP_1) | instid1(VALU_DEP_2)
	v_dual_sub_f32 v24, v24, v25 :: v_dual_fmamk_f32 v27, v3, 0x32a5705f, v27
	v_cvt_i32_f32_e32 v25, v25
	v_add_f32_e32 v24, v24, v27
	s_delay_alu instid0(VALU_DEP_1) | instskip(NEXT) | instid1(TRANS32_DEP_1)
	v_exp_f32_e32 v24, v24
	v_ldexp_f32 v24, v24, v25
	s_wait_alu 0xfffd
	s_delay_alu instid0(VALU_DEP_1) | instskip(SKIP_2) | instid1(VALU_DEP_2)
	v_cndmask_b32_e32 v24, 0, v24, vcc_lo
	v_cmp_nlt_f32_e32 vcc_lo, 0x42b17218, v3
	s_wait_alu 0xfffd
	v_cndmask_b32_e32 v3, 0x7f800000, v24, vcc_lo
	s_delay_alu instid0(VALU_DEP_1) | instskip(NEXT) | instid1(VALU_DEP_1)
	v_add_f32_e32 v3, 1.0, v3
	v_rcp_f32_e32 v3, v3
	s_delay_alu instid0(TRANS32_DEP_1)
	v_fma_f32 v3, v3, -2.0, 1.0
.LBB88_85:
	s_wait_alu 0xfffe
	s_and_not1_saveexec_b32 s12, s12
	s_cbranch_execz .LBB88_87
; %bb.86:
	v_mul_f32_e32 v3, v20, v20
	s_mov_b32 s13, 0xbbbac73d
	s_wait_alu 0xfffe
	s_delay_alu instid0(VALU_DEP_1) | instskip(NEXT) | instid1(VALU_DEP_1)
	v_fmaak_f32 v24, s13, v3, 0x3ca908c9
	v_fmaak_f32 v24, v3, v24, 0xbd5c1c4e
	s_delay_alu instid0(VALU_DEP_1) | instskip(NEXT) | instid1(VALU_DEP_1)
	v_fmaak_f32 v24, v3, v24, 0x3e088382
	v_fmaak_f32 v24, v3, v24, 0xbeaaaa99
	s_delay_alu instid0(VALU_DEP_1) | instskip(NEXT) | instid1(VALU_DEP_1)
	v_mul_f32_e64 v24, |v20|, v24
	v_fma_f32 v3, v3, v24, |v20|
.LBB88_87:
	s_wait_alu 0xfffe
	s_or_b32 exec_lo, exec_lo, s12
	s_delay_alu instid0(VALU_DEP_1) | instskip(SKIP_1) | instid1(VALU_DEP_2)
	v_bfi_b32 v3, 0x7fffffff, v3, v20
	v_add_nc_u32_e32 v20, 64, v135
	v_mul_f32_e32 v25, s15, v3
	s_delay_alu instid0(VALU_DEP_2)
	v_cmp_gt_i32_e64 s12, s19, v20
	s_and_saveexec_b32 s13, s12
	s_cbranch_execz .LBB88_92
; %bb.88:
	v_cmp_ne_u32_e32 vcc_lo, 1, v26
	s_cbranch_vccnz .LBB88_90
; %bb.89:
	v_ashrrev_i32_e32 v3, 31, v2
	v_add_co_u32 v27, vcc_lo, v2, v135
	s_wait_alu 0xfffd
	s_delay_alu instid0(VALU_DEP_2) | instskip(NEXT) | instid1(VALU_DEP_1)
	v_add_co_ci_u32_e64 v28, null, 0, v3, vcc_lo
	v_lshlrev_b64_e32 v[27:28], 1, v[27:28]
	s_delay_alu instid0(VALU_DEP_1) | instskip(SKIP_1) | instid1(VALU_DEP_2)
	v_add_co_u32 v27, vcc_lo, s36, v27
	s_wait_alu 0xfffd
	v_add_co_ci_u32_e64 v28, null, s37, v28, vcc_lo
	global_load_u16 v3, v[27:28], off offset:128
	s_wait_loadcnt 0x0
	v_cvt_f32_f16_e32 v3, v3
	s_delay_alu instid0(VALU_DEP_1)
	v_mul_f32_e32 v3, v37, v3
	s_branch .LBB88_91
.LBB88_90:
	v_mov_b32_e32 v3, 0
.LBB88_91:
	s_delay_alu instid0(VALU_DEP_1) | instskip(NEXT) | instid1(VALU_DEP_1)
	v_dual_add_f32 v25, v25, v3 :: v_dual_max_num_f32 v0, v0, v0
	v_add_f32_e32 v3, 0x40051340, v25
	s_delay_alu instid0(VALU_DEP_1)
	v_max_num_f32_e32 v0, v0, v3
.LBB88_92:
	s_wait_alu 0xfffe
	s_or_b32 exec_lo, exec_lo, s13
	v_cmp_ngt_f32_e64 s13, 0x3f200000, |v19|
                                        ; implicit-def: $vgpr3
	s_and_saveexec_b32 s31, s13
	s_delay_alu instid0(SALU_CYCLE_1)
	s_xor_b32 s13, exec_lo, s31
	s_cbranch_execz .LBB88_94
; %bb.93:
	v_add_f32_e64 v3, |v19|, |v19|
	s_delay_alu instid0(VALU_DEP_1) | instskip(SKIP_1) | instid1(VALU_DEP_2)
	v_mul_f32_e32 v24, 0x3fb8aa3b, v3
	v_cmp_ngt_f32_e32 vcc_lo, 0xc2ce8ed0, v3
	v_rndne_f32_e32 v27, v24
	v_fma_f32 v28, 0x3fb8aa3b, v3, -v24
	s_delay_alu instid0(VALU_DEP_2) | instskip(NEXT) | instid1(VALU_DEP_2)
	v_sub_f32_e32 v24, v24, v27
	v_fmamk_f32 v28, v3, 0x32a5705f, v28
	v_cvt_i32_f32_e32 v27, v27
	s_delay_alu instid0(VALU_DEP_2) | instskip(NEXT) | instid1(VALU_DEP_1)
	v_add_f32_e32 v24, v24, v28
	v_exp_f32_e32 v24, v24
	s_delay_alu instid0(TRANS32_DEP_1) | instskip(SKIP_1) | instid1(VALU_DEP_1)
	v_ldexp_f32 v24, v24, v27
	s_wait_alu 0xfffd
	v_cndmask_b32_e32 v24, 0, v24, vcc_lo
	v_cmp_nlt_f32_e32 vcc_lo, 0x42b17218, v3
	s_wait_alu 0xfffd
	s_delay_alu instid0(VALU_DEP_2) | instskip(NEXT) | instid1(VALU_DEP_1)
	v_cndmask_b32_e32 v3, 0x7f800000, v24, vcc_lo
	v_add_f32_e32 v3, 1.0, v3
	s_delay_alu instid0(VALU_DEP_1) | instskip(NEXT) | instid1(TRANS32_DEP_1)
	v_rcp_f32_e32 v3, v3
	v_fma_f32 v3, v3, -2.0, 1.0
.LBB88_94:
	s_wait_alu 0xfffe
	s_and_not1_saveexec_b32 s13, s13
	s_cbranch_execz .LBB88_96
; %bb.95:
	v_mul_f32_e32 v3, v19, v19
	s_mov_b32 s31, 0xbbbac73d
	s_delay_alu instid0(VALU_DEP_1) | instid1(SALU_CYCLE_1)
	v_fmaak_f32 v24, s31, v3, 0x3ca908c9
	s_delay_alu instid0(VALU_DEP_1) | instskip(NEXT) | instid1(VALU_DEP_1)
	v_fmaak_f32 v24, v3, v24, 0xbd5c1c4e
	v_fmaak_f32 v24, v3, v24, 0x3e088382
	s_delay_alu instid0(VALU_DEP_1) | instskip(NEXT) | instid1(VALU_DEP_1)
	v_fmaak_f32 v24, v3, v24, 0xbeaaaa99
	v_mul_f32_e64 v24, |v19|, v24
	s_delay_alu instid0(VALU_DEP_1)
	v_fma_f32 v3, v3, v24, |v19|
.LBB88_96:
	s_wait_alu 0xfffe
	s_or_b32 exec_lo, exec_lo, s13
	s_delay_alu instid0(VALU_DEP_1) | instskip(SKIP_1) | instid1(VALU_DEP_2)
	v_bfi_b32 v3, 0x7fffffff, v3, v19
	v_add_nc_u32_e32 v19, 0x60, v135
	v_mul_f32_e32 v27, s15, v3
	s_delay_alu instid0(VALU_DEP_2)
	v_cmp_gt_i32_e64 s13, s19, v19
	s_and_saveexec_b32 s31, s13
	s_cbranch_execz .LBB88_101
; %bb.97:
	v_cmp_ne_u32_e32 vcc_lo, 1, v26
	s_cbranch_vccnz .LBB88_99
; %bb.98:
	v_ashrrev_i32_e32 v3, 31, v2
	v_add_co_u32 v2, vcc_lo, v2, v135
	s_wait_alu 0xfffd
	s_delay_alu instid0(VALU_DEP_2) | instskip(NEXT) | instid1(VALU_DEP_1)
	v_add_co_ci_u32_e64 v3, null, 0, v3, vcc_lo
	v_lshlrev_b64_e32 v[2:3], 1, v[2:3]
	s_delay_alu instid0(VALU_DEP_1) | instskip(SKIP_1) | instid1(VALU_DEP_2)
	v_add_co_u32 v2, vcc_lo, s36, v2
	s_wait_alu 0xfffd
	v_add_co_ci_u32_e64 v3, null, s37, v3, vcc_lo
	global_load_u16 v2, v[2:3], off offset:192
	s_wait_loadcnt 0x0
	v_cvt_f32_f16_e32 v2, v2
	s_delay_alu instid0(VALU_DEP_1)
	v_mul_f32_e32 v2, v37, v2
	s_branch .LBB88_100
.LBB88_99:
	v_mov_b32_e32 v2, 0
.LBB88_100:
	s_delay_alu instid0(VALU_DEP_1) | instskip(NEXT) | instid1(VALU_DEP_1)
	v_dual_add_f32 v27, v27, v2 :: v_dual_max_num_f32 v0, v0, v0
	v_add_f32_e32 v2, 0x40051340, v27
	s_delay_alu instid0(VALU_DEP_1)
	v_max_num_f32_e32 v0, v0, v2
.LBB88_101:
	s_wait_alu 0xfffe
	s_or_b32 exec_lo, exec_lo, s31
	v_xor_b32_e32 v2, 16, v171
	v_xor_b32_e32 v3, 8, v171
	v_cmp_ngt_f32_e64 s31, 0x3f200000, |v18|
	s_delay_alu instid0(VALU_DEP_3)
	v_cmp_gt_i32_e32 vcc_lo, 32, v2
	s_clause 0x1
	scratch_store_b32 off, v2, off offset:32
	scratch_store_b32 off, v3, off offset:28
	s_wait_alu 0xfffd
	v_cndmask_b32_e32 v2, v171, v2, vcc_lo
	v_cmp_gt_i32_e32 vcc_lo, 32, v3
	s_delay_alu instid0(VALU_DEP_2)
	v_lshlrev_b32_e32 v29, 2, v2
	ds_bpermute_b32 v2, v29, v0
	s_wait_alu 0xfffd
	v_dual_cndmask_b32 v3, v171, v3 :: v_dual_max_num_f32 v0, v0, v0
	s_wait_dscnt 0x0
	v_max_num_f32_e32 v2, v2, v2
	s_delay_alu instid0(VALU_DEP_2) | instskip(SKIP_1) | instid1(VALU_DEP_1)
	v_lshlrev_b32_e32 v30, 2, v3
	v_xor_b32_e32 v3, 4, v171
	v_cmp_gt_i32_e32 vcc_lo, 32, v3
	s_delay_alu instid0(VALU_DEP_4)
	v_max_num_f32_e32 v0, v0, v2
	scratch_store_b32 off, v3, off offset:36 ; 4-byte Folded Spill
	s_wait_alu 0xfffd
	v_cndmask_b32_e32 v3, v171, v3, vcc_lo
	ds_bpermute_b32 v2, v30, v0
	v_lshlrev_b32_e32 v28, 2, v3
	v_xor_b32_e32 v3, 2, v171
	s_delay_alu instid0(VALU_DEP_1) | instskip(SKIP_4) | instid1(VALU_DEP_1)
	v_cmp_gt_i32_e32 vcc_lo, 32, v3
	scratch_store_b32 off, v3, off offset:40 ; 4-byte Folded Spill
	s_wait_dscnt 0x0
	s_wait_alu 0xfffd
	v_dual_cndmask_b32 v3, v171, v3 :: v_dual_max_num_f32 v2, v2, v2
	v_lshlrev_b32_e32 v24, 2, v3
	v_xor_b32_e32 v3, 1, v171
	s_delay_alu instid0(VALU_DEP_1) | instskip(NEXT) | instid1(VALU_DEP_4)
	v_cmp_gt_i32_e32 vcc_lo, 32, v3
	v_max_num_f32_e32 v0, v0, v2
	scratch_store_b32 off, v3, off offset:44 ; 4-byte Folded Spill
	s_wait_alu 0xfffd
	v_cndmask_b32_e32 v3, v171, v3, vcc_lo
	ds_bpermute_b32 v2, v28, v0
	s_wait_dscnt 0x0
	v_max_num_f32_e32 v2, v2, v2
	s_delay_alu instid0(VALU_DEP_1) | instskip(SKIP_3) | instid1(VALU_DEP_1)
	v_max_num_f32_e32 v2, v0, v2
	ds_bpermute_b32 v0, v24, v2
	s_wait_dscnt 0x0
	v_dual_max_num_f32 v31, v0, v0 :: v_dual_lshlrev_b32 v0, 2, v3
	v_max_num_f32_e32 v2, v2, v31
                                        ; implicit-def: $vgpr31
	ds_bpermute_b32 v3, v0, v2
	s_and_saveexec_b32 s35, s31
	s_wait_alu 0xfffe
	s_xor_b32 s31, exec_lo, s35
	s_cbranch_execz .LBB88_103
; %bb.102:
	v_add_f32_e64 v31, |v18|, |v18|
	s_delay_alu instid0(VALU_DEP_1) | instskip(SKIP_1) | instid1(VALU_DEP_2)
	v_mul_f32_e32 v32, 0x3fb8aa3b, v31
	v_cmp_ngt_f32_e32 vcc_lo, 0xc2ce8ed0, v31
	v_rndne_f32_e32 v33, v32
	v_fma_f32 v40, 0x3fb8aa3b, v31, -v32
	s_delay_alu instid0(VALU_DEP_2) | instskip(NEXT) | instid1(VALU_DEP_2)
	v_sub_f32_e32 v32, v32, v33
	v_fmamk_f32 v40, v31, 0x32a5705f, v40
	v_cvt_i32_f32_e32 v33, v33
	s_delay_alu instid0(VALU_DEP_2) | instskip(NEXT) | instid1(VALU_DEP_1)
	v_add_f32_e32 v32, v32, v40
	v_exp_f32_e32 v32, v32
	s_delay_alu instid0(TRANS32_DEP_1) | instskip(SKIP_1) | instid1(VALU_DEP_1)
	v_ldexp_f32 v32, v32, v33
	s_wait_alu 0xfffd
	v_cndmask_b32_e32 v32, 0, v32, vcc_lo
	v_cmp_nlt_f32_e32 vcc_lo, 0x42b17218, v31
	s_wait_alu 0xfffd
	s_delay_alu instid0(VALU_DEP_2) | instskip(NEXT) | instid1(VALU_DEP_1)
	v_cndmask_b32_e32 v31, 0x7f800000, v32, vcc_lo
	v_add_f32_e32 v31, 1.0, v31
	s_delay_alu instid0(VALU_DEP_1) | instskip(NEXT) | instid1(TRANS32_DEP_1)
	v_rcp_f32_e32 v31, v31
	v_fma_f32 v31, v31, -2.0, 1.0
.LBB88_103:
	s_wait_alu 0xfffe
	s_and_not1_saveexec_b32 s31, s31
	s_cbranch_execz .LBB88_105
; %bb.104:
	v_mul_f32_e32 v31, v18, v18
	s_mov_b32 s35, 0xbbbac73d
	s_wait_alu 0xfffe
	s_delay_alu instid0(VALU_DEP_1) | instskip(NEXT) | instid1(VALU_DEP_1)
	v_fmaak_f32 v32, s35, v31, 0x3ca908c9
	v_fmaak_f32 v32, v31, v32, 0xbd5c1c4e
	s_delay_alu instid0(VALU_DEP_1) | instskip(NEXT) | instid1(VALU_DEP_1)
	v_fmaak_f32 v32, v31, v32, 0x3e088382
	v_fmaak_f32 v32, v31, v32, 0xbeaaaa99
	s_delay_alu instid0(VALU_DEP_1) | instskip(NEXT) | instid1(VALU_DEP_1)
	v_mul_f32_e64 v32, |v18|, v32
	v_fma_f32 v31, v31, v32, |v18|
.LBB88_105:
	s_wait_alu 0xfffe
	s_or_b32 exec_lo, exec_lo, s31
	v_mul_hi_u32 v32, s24, v39
	s_wait_dscnt 0x0
	v_max_num_f32_e32 v33, v3, v3
	v_bfi_b32 v18, 0x7fffffff, v31, v18
	s_delay_alu instid0(VALU_DEP_3) | instskip(NEXT) | instid1(VALU_DEP_1)
	v_add_nc_u32_e32 v32, v39, v32
	v_lshrrev_b32_e32 v32, s25, v32
	s_delay_alu instid0(VALU_DEP_1) | instskip(NEXT) | instid1(VALU_DEP_1)
	v_mul_lo_u32 v32, v32, s26
	v_sub_nc_u32_e32 v32, v39, v32
	v_max_num_f32_e32 v39, v2, v2
	s_delay_alu instid0(VALU_DEP_2) | instskip(NEXT) | instid1(VALU_DEP_2)
	v_mad_co_u64_u32 v[2:3], null, v32, s14, s[40:41]
	v_dual_max_num_f32 v148, v39, v33 :: v_dual_mul_f32 v3, s15, v18
	s_and_saveexec_b32 s14, s10
	s_cbranch_execz .LBB88_110
; %bb.106:
	v_cmp_ne_u32_e32 vcc_lo, 1, v26
	s_cbranch_vccnz .LBB88_108
; %bb.107:
	s_delay_alu instid0(VALU_DEP_3) | instskip(NEXT) | instid1(VALU_DEP_1)
	v_add_nc_u32_e32 v31, v2, v135
	v_ashrrev_i32_e32 v32, 31, v31
	s_delay_alu instid0(VALU_DEP_1) | instskip(NEXT) | instid1(VALU_DEP_1)
	v_lshlrev_b64_e32 v[31:32], 1, v[31:32]
	v_add_co_u32 v31, vcc_lo, s36, v31
	s_wait_alu 0xfffd
	s_delay_alu instid0(VALU_DEP_2) | instskip(SKIP_3) | instid1(VALU_DEP_1)
	v_add_co_ci_u32_e64 v32, null, s37, v32, vcc_lo
	global_load_u16 v18, v[31:32], off
	s_wait_loadcnt 0x0
	v_cvt_f32_f16_e32 v18, v18
	v_mul_f32_e32 v18, v37, v18
	s_branch .LBB88_109
.LBB88_108:
	v_mov_b32_e32 v18, 0
.LBB88_109:
	s_delay_alu instid0(VALU_DEP_1) | instskip(NEXT) | instid1(VALU_DEP_1)
	v_add_f32_e32 v3, v3, v18
	v_dual_max_num_f32 v1, v1, v1 :: v_dual_add_f32 v18, 0x40051340, v3
	s_delay_alu instid0(VALU_DEP_1)
	v_max_num_f32_e32 v1, v1, v18
.LBB88_110:
	s_wait_alu 0xfffe
	s_or_b32 exec_lo, exec_lo, s14
	v_cmp_ngt_f32_e64 s10, 0x3f200000, |v17|
                                        ; implicit-def: $vgpr18
	s_and_saveexec_b32 s14, s10
	s_wait_alu 0xfffe
	s_xor_b32 s10, exec_lo, s14
	s_cbranch_execz .LBB88_112
; %bb.111:
	v_add_f32_e64 v18, |v17|, |v17|
	s_delay_alu instid0(VALU_DEP_1) | instskip(SKIP_1) | instid1(VALU_DEP_2)
	v_mul_f32_e32 v31, 0x3fb8aa3b, v18
	v_cmp_ngt_f32_e32 vcc_lo, 0xc2ce8ed0, v18
	v_rndne_f32_e32 v32, v31
	v_fma_f32 v33, 0x3fb8aa3b, v18, -v31
	s_delay_alu instid0(VALU_DEP_2) | instskip(NEXT) | instid1(VALU_DEP_2)
	v_sub_f32_e32 v31, v31, v32
	v_fmamk_f32 v33, v18, 0x32a5705f, v33
	v_cvt_i32_f32_e32 v32, v32
	s_delay_alu instid0(VALU_DEP_2) | instskip(NEXT) | instid1(VALU_DEP_1)
	v_add_f32_e32 v31, v31, v33
	v_exp_f32_e32 v31, v31
	s_delay_alu instid0(TRANS32_DEP_1) | instskip(SKIP_1) | instid1(VALU_DEP_1)
	v_ldexp_f32 v31, v31, v32
	s_wait_alu 0xfffd
	v_cndmask_b32_e32 v31, 0, v31, vcc_lo
	v_cmp_nlt_f32_e32 vcc_lo, 0x42b17218, v18
	s_wait_alu 0xfffd
	s_delay_alu instid0(VALU_DEP_2) | instskip(NEXT) | instid1(VALU_DEP_1)
	v_cndmask_b32_e32 v18, 0x7f800000, v31, vcc_lo
	v_add_f32_e32 v18, 1.0, v18
	s_delay_alu instid0(VALU_DEP_1) | instskip(NEXT) | instid1(TRANS32_DEP_1)
	v_rcp_f32_e32 v18, v18
	v_fma_f32 v18, v18, -2.0, 1.0
.LBB88_112:
	s_wait_alu 0xfffe
	s_and_not1_saveexec_b32 s10, s10
	s_cbranch_execz .LBB88_114
; %bb.113:
	v_mul_f32_e32 v18, v17, v17
	s_mov_b32 s14, 0xbbbac73d
	s_wait_alu 0xfffe
	s_delay_alu instid0(VALU_DEP_1) | instskip(NEXT) | instid1(VALU_DEP_1)
	v_fmaak_f32 v31, s14, v18, 0x3ca908c9
	v_fmaak_f32 v31, v18, v31, 0xbd5c1c4e
	s_delay_alu instid0(VALU_DEP_1) | instskip(NEXT) | instid1(VALU_DEP_1)
	v_fmaak_f32 v31, v18, v31, 0x3e088382
	v_fmaak_f32 v31, v18, v31, 0xbeaaaa99
	s_delay_alu instid0(VALU_DEP_1) | instskip(NEXT) | instid1(VALU_DEP_1)
	v_mul_f32_e64 v31, |v17|, v31
	v_fma_f32 v18, v18, v31, |v17|
.LBB88_114:
	s_wait_alu 0xfffe
	s_or_b32 exec_lo, exec_lo, s10
	s_delay_alu instid0(VALU_DEP_1) | instskip(NEXT) | instid1(VALU_DEP_1)
	v_bfi_b32 v17, 0x7fffffff, v18, v17
	v_mul_f32_e32 v17, s15, v17
	s_and_saveexec_b32 s10, s11
	s_cbranch_execz .LBB88_119
; %bb.115:
	v_cmp_ne_u32_e32 vcc_lo, 1, v26
	s_cbranch_vccnz .LBB88_117
; %bb.116:
	v_ashrrev_i32_e32 v18, 31, v2
	v_add_co_u32 v31, vcc_lo, v2, v135
	s_wait_alu 0xfffd
	s_delay_alu instid0(VALU_DEP_2) | instskip(NEXT) | instid1(VALU_DEP_1)
	v_add_co_ci_u32_e64 v32, null, 0, v18, vcc_lo
	v_lshlrev_b64_e32 v[31:32], 1, v[31:32]
	s_delay_alu instid0(VALU_DEP_1) | instskip(SKIP_1) | instid1(VALU_DEP_2)
	v_add_co_u32 v31, vcc_lo, s36, v31
	s_wait_alu 0xfffd
	v_add_co_ci_u32_e64 v32, null, s37, v32, vcc_lo
	global_load_u16 v18, v[31:32], off offset:64
	s_wait_loadcnt 0x0
	v_cvt_f32_f16_e32 v18, v18
	s_delay_alu instid0(VALU_DEP_1)
	v_mul_f32_e32 v18, v37, v18
	s_branch .LBB88_118
.LBB88_117:
	v_mov_b32_e32 v18, 0
.LBB88_118:
	s_delay_alu instid0(VALU_DEP_1) | instskip(SKIP_1) | instid1(VALU_DEP_2)
	v_add_f32_e32 v17, v17, v18
	v_max_num_f32_e32 v1, v1, v1
	v_add_f32_e32 v18, 0x40051340, v17
	s_delay_alu instid0(VALU_DEP_1)
	v_max_num_f32_e32 v1, v1, v18
.LBB88_119:
	s_wait_alu 0xfffe
	s_or_b32 exec_lo, exec_lo, s10
	v_cmp_ngt_f32_e64 s10, 0x3f200000, |v16|
                                        ; implicit-def: $vgpr18
	s_and_saveexec_b32 s11, s10
	s_wait_alu 0xfffe
	s_xor_b32 s10, exec_lo, s11
	s_cbranch_execz .LBB88_121
; %bb.120:
	v_add_f32_e64 v18, |v16|, |v16|
	s_delay_alu instid0(VALU_DEP_1) | instskip(SKIP_1) | instid1(VALU_DEP_2)
	v_mul_f32_e32 v31, 0x3fb8aa3b, v18
	v_cmp_ngt_f32_e32 vcc_lo, 0xc2ce8ed0, v18
	v_rndne_f32_e32 v32, v31
	v_fma_f32 v33, 0x3fb8aa3b, v18, -v31
	s_delay_alu instid0(VALU_DEP_2) | instskip(NEXT) | instid1(VALU_DEP_2)
	v_sub_f32_e32 v31, v31, v32
	v_fmamk_f32 v33, v18, 0x32a5705f, v33
	v_cvt_i32_f32_e32 v32, v32
	s_delay_alu instid0(VALU_DEP_2) | instskip(NEXT) | instid1(VALU_DEP_1)
	v_add_f32_e32 v31, v31, v33
	v_exp_f32_e32 v31, v31
	s_delay_alu instid0(TRANS32_DEP_1) | instskip(SKIP_1) | instid1(VALU_DEP_1)
	v_ldexp_f32 v31, v31, v32
	s_wait_alu 0xfffd
	v_cndmask_b32_e32 v31, 0, v31, vcc_lo
	v_cmp_nlt_f32_e32 vcc_lo, 0x42b17218, v18
	s_wait_alu 0xfffd
	s_delay_alu instid0(VALU_DEP_2) | instskip(NEXT) | instid1(VALU_DEP_1)
	v_cndmask_b32_e32 v18, 0x7f800000, v31, vcc_lo
	v_add_f32_e32 v18, 1.0, v18
	s_delay_alu instid0(VALU_DEP_1) | instskip(NEXT) | instid1(TRANS32_DEP_1)
	v_rcp_f32_e32 v18, v18
	v_fma_f32 v18, v18, -2.0, 1.0
.LBB88_121:
	s_wait_alu 0xfffe
	s_and_not1_saveexec_b32 s10, s10
	s_cbranch_execz .LBB88_123
; %bb.122:
	v_mul_f32_e32 v18, v16, v16
	s_mov_b32 s11, 0xbbbac73d
	s_wait_alu 0xfffe
	s_delay_alu instid0(VALU_DEP_1) | instskip(NEXT) | instid1(VALU_DEP_1)
	v_fmaak_f32 v31, s11, v18, 0x3ca908c9
	v_fmaak_f32 v31, v18, v31, 0xbd5c1c4e
	s_delay_alu instid0(VALU_DEP_1) | instskip(NEXT) | instid1(VALU_DEP_1)
	v_fmaak_f32 v31, v18, v31, 0x3e088382
	v_fmaak_f32 v31, v18, v31, 0xbeaaaa99
	s_delay_alu instid0(VALU_DEP_1) | instskip(NEXT) | instid1(VALU_DEP_1)
	v_mul_f32_e64 v31, |v16|, v31
	v_fma_f32 v18, v18, v31, |v16|
.LBB88_123:
	s_wait_alu 0xfffe
	s_or_b32 exec_lo, exec_lo, s10
	s_delay_alu instid0(VALU_DEP_1) | instskip(NEXT) | instid1(VALU_DEP_1)
	v_bfi_b32 v16, 0x7fffffff, v18, v16
	v_mul_f32_e32 v16, s15, v16
	s_and_saveexec_b32 s10, s12
	s_cbranch_execz .LBB88_128
; %bb.124:
	v_cmp_ne_u32_e32 vcc_lo, 1, v26
	s_cbranch_vccnz .LBB88_126
; %bb.125:
	v_ashrrev_i32_e32 v18, 31, v2
	v_add_co_u32 v31, vcc_lo, v2, v135
	s_wait_alu 0xfffd
	s_delay_alu instid0(VALU_DEP_2) | instskip(NEXT) | instid1(VALU_DEP_1)
	v_add_co_ci_u32_e64 v32, null, 0, v18, vcc_lo
	v_lshlrev_b64_e32 v[31:32], 1, v[31:32]
	s_delay_alu instid0(VALU_DEP_1) | instskip(SKIP_1) | instid1(VALU_DEP_2)
	v_add_co_u32 v31, vcc_lo, s36, v31
	s_wait_alu 0xfffd
	v_add_co_ci_u32_e64 v32, null, s37, v32, vcc_lo
	global_load_u16 v18, v[31:32], off offset:128
	s_wait_loadcnt 0x0
	v_cvt_f32_f16_e32 v18, v18
	s_delay_alu instid0(VALU_DEP_1)
	v_mul_f32_e32 v18, v37, v18
	s_branch .LBB88_127
.LBB88_126:
	v_mov_b32_e32 v18, 0
.LBB88_127:
	s_delay_alu instid0(VALU_DEP_1) | instskip(NEXT) | instid1(VALU_DEP_1)
	v_dual_add_f32 v16, v16, v18 :: v_dual_max_num_f32 v1, v1, v1
	v_add_f32_e32 v18, 0x40051340, v16
	s_delay_alu instid0(VALU_DEP_1)
	v_max_num_f32_e32 v1, v1, v18
.LBB88_128:
	s_wait_alu 0xfffe
	s_or_b32 exec_lo, exec_lo, s10
	v_cmp_ngt_f32_e64 s10, 0x3f200000, |v15|
                                        ; implicit-def: $vgpr18
	s_and_saveexec_b32 s11, s10
	s_wait_alu 0xfffe
	s_xor_b32 s10, exec_lo, s11
	s_cbranch_execz .LBB88_130
; %bb.129:
	v_add_f32_e64 v18, |v15|, |v15|
	s_delay_alu instid0(VALU_DEP_1) | instskip(SKIP_1) | instid1(VALU_DEP_2)
	v_mul_f32_e32 v31, 0x3fb8aa3b, v18
	v_cmp_ngt_f32_e32 vcc_lo, 0xc2ce8ed0, v18
	v_rndne_f32_e32 v32, v31
	v_fma_f32 v33, 0x3fb8aa3b, v18, -v31
	s_delay_alu instid0(VALU_DEP_2) | instskip(NEXT) | instid1(VALU_DEP_2)
	v_sub_f32_e32 v31, v31, v32
	v_fmamk_f32 v33, v18, 0x32a5705f, v33
	v_cvt_i32_f32_e32 v32, v32
	s_delay_alu instid0(VALU_DEP_2) | instskip(NEXT) | instid1(VALU_DEP_1)
	v_add_f32_e32 v31, v31, v33
	v_exp_f32_e32 v31, v31
	s_delay_alu instid0(TRANS32_DEP_1) | instskip(SKIP_1) | instid1(VALU_DEP_1)
	v_ldexp_f32 v31, v31, v32
	s_wait_alu 0xfffd
	v_cndmask_b32_e32 v31, 0, v31, vcc_lo
	v_cmp_nlt_f32_e32 vcc_lo, 0x42b17218, v18
	s_wait_alu 0xfffd
	s_delay_alu instid0(VALU_DEP_2) | instskip(NEXT) | instid1(VALU_DEP_1)
	v_cndmask_b32_e32 v18, 0x7f800000, v31, vcc_lo
	v_add_f32_e32 v18, 1.0, v18
	s_delay_alu instid0(VALU_DEP_1) | instskip(NEXT) | instid1(TRANS32_DEP_1)
	v_rcp_f32_e32 v18, v18
	v_fma_f32 v18, v18, -2.0, 1.0
.LBB88_130:
	s_wait_alu 0xfffe
	s_and_not1_saveexec_b32 s10, s10
	s_cbranch_execz .LBB88_132
; %bb.131:
	v_mul_f32_e32 v18, v15, v15
	s_mov_b32 s11, 0xbbbac73d
	s_wait_alu 0xfffe
	s_delay_alu instid0(VALU_DEP_1) | instskip(NEXT) | instid1(VALU_DEP_1)
	v_fmaak_f32 v31, s11, v18, 0x3ca908c9
	v_fmaak_f32 v31, v18, v31, 0xbd5c1c4e
	s_delay_alu instid0(VALU_DEP_1) | instskip(NEXT) | instid1(VALU_DEP_1)
	v_fmaak_f32 v31, v18, v31, 0x3e088382
	v_fmaak_f32 v31, v18, v31, 0xbeaaaa99
	s_delay_alu instid0(VALU_DEP_1) | instskip(NEXT) | instid1(VALU_DEP_1)
	v_mul_f32_e64 v31, |v15|, v31
	v_fma_f32 v18, v18, v31, |v15|
.LBB88_132:
	s_wait_alu 0xfffe
	s_or_b32 exec_lo, exec_lo, s10
	s_delay_alu instid0(VALU_DEP_1) | instskip(NEXT) | instid1(VALU_DEP_1)
	v_bfi_b32 v15, 0x7fffffff, v18, v15
	v_mul_f32_e32 v15, s15, v15
	s_and_saveexec_b32 s10, s13
	s_cbranch_execz .LBB88_137
; %bb.133:
	v_cmp_ne_u32_e32 vcc_lo, 1, v26
	s_cbranch_vccnz .LBB88_135
; %bb.134:
	v_ashrrev_i32_e32 v18, 31, v2
	v_add_co_u32 v31, vcc_lo, v2, v135
	s_wait_alu 0xfffd
	s_delay_alu instid0(VALU_DEP_2) | instskip(NEXT) | instid1(VALU_DEP_1)
	v_add_co_ci_u32_e64 v32, null, 0, v18, vcc_lo
	v_lshlrev_b64_e32 v[31:32], 1, v[31:32]
	s_delay_alu instid0(VALU_DEP_1) | instskip(SKIP_1) | instid1(VALU_DEP_2)
	v_add_co_u32 v31, vcc_lo, s36, v31
	s_wait_alu 0xfffd
	v_add_co_ci_u32_e64 v32, null, s37, v32, vcc_lo
	global_load_u16 v2, v[31:32], off offset:192
	s_wait_loadcnt 0x0
	v_cvt_f32_f16_e32 v2, v2
	s_delay_alu instid0(VALU_DEP_1)
	v_mul_f32_e32 v2, v37, v2
	s_branch .LBB88_136
.LBB88_135:
	v_mov_b32_e32 v2, 0
.LBB88_136:
	s_delay_alu instid0(VALU_DEP_1) | instskip(NEXT) | instid1(VALU_DEP_1)
	v_add_f32_e32 v15, v15, v2
	v_dual_max_num_f32 v1, v1, v1 :: v_dual_add_f32 v2, 0x40051340, v15
	s_delay_alu instid0(VALU_DEP_1)
	v_max_num_f32_e32 v1, v1, v2
.LBB88_137:
	s_wait_alu 0xfffe
	s_or_b32 exec_lo, exec_lo, s10
	ds_bpermute_b32 v2, v29, v1
	v_max_num_f32_e32 v1, v1, v1
	s_mov_b32 s12, 0
	s_mov_b64 s[14:15], src_private_base
	s_wait_alu 0xfffe
	s_mov_b32 s14, s12
	s_mov_b32 s13, s12
	s_ashr_i32 s35, s34, 31
	v_lshl_add_u32 v32, v21, 2, v36
	s_wait_alu 0xfffe
	s_mul_u64 s[10:11], s[40:41], s[34:35]
	v_lshl_add_u32 v33, v20, 2, v36
	s_wait_alu 0xfffe
	s_lshl_b64 s[10:11], s[10:11], 2
	v_mov_b32_e32 v37, 0
	s_wait_alu 0xfffe
	s_add_nc_u64 s[24:25], s[38:39], s[10:11]
	v_cmp_gt_u32_e64 s10, s19, v21
	v_cmp_gt_u32_e64 s11, s19, v20
	s_clause 0x2
	scratch_store_b32 off, v170, off offset:24
	scratch_store_b32 off, v168, off offset:20
	;; [unrolled: 1-line block ×3, first 2 shown]
	s_wait_storecnt 0x0
	s_wait_loadcnt_dscnt 0x0
	s_barrier_signal -1
	s_barrier_wait -1
	global_inv scope:SCOPE_SE
	v_max_num_f32_e32 v2, v2, v2
	v_lshl_or_b32 v9, v9, 8, v6
	v_lshl_or_b32 v12, v12, 8, v6
	v_add_nc_u32_e32 v189, 0x5800, v34
	v_add_nc_u32_e32 v159, 0x6000, v34
	v_dual_max_num_f32 v1, v1, v2 :: v_dual_sub_f32 v18, v22, v148
	v_dual_sub_f32 v22, v23, v148 :: v_dual_add_nc_u32 v31, v36, v169
	v_lshl_add_u32 v36, v19, 2, v36
	ds_bpermute_b32 v2, v30, v1
	v_sub_f32_e32 v23, v25, v148
	v_dual_sub_f32 v30, v27, v148 :: v_dual_mov_b32 v27, s14
	v_mul_f32_e32 v40, 0x3fb8aa3b, v22
	s_delay_alu instid0(VALU_DEP_3) | instskip(NEXT) | instid1(VALU_DEP_3)
	v_dual_mov_b32 v26, s13 :: v_dual_mul_f32 v41, 0x3fb8aa3b, v23
	v_mul_f32_e32 v42, 0x3fb8aa3b, v30
	s_delay_alu instid0(VALU_DEP_3)
	v_rndne_f32_e32 v47, v40
	v_mul_f32_e32 v39, 0x3fb8aa3b, v18
	v_fma_f32 v46, 0x3fb8aa3b, v22, -v40
	v_fma_f32 v48, 0x3fb8aa3b, v23, -v41
	v_rndne_f32_e32 v49, v41
	v_sub_f32_e32 v40, v40, v47
	v_fma_f32 v44, 0x3fb8aa3b, v18, -v39
	v_rndne_f32_e32 v45, v39
	v_fma_f32 v50, 0x3fb8aa3b, v30, -v42
	v_dual_fmac_f32 v46, 0x32a5705f, v22 :: v_dual_sub_f32 v41, v41, v49
	s_wait_dscnt 0x0
	v_max_num_f32_e32 v2, v2, v2
	v_rndne_f32_e32 v51, v42
	v_fmac_f32_e32 v44, 0x32a5705f, v18
	s_delay_alu instid0(VALU_DEP_3) | instskip(NEXT) | instid1(VALU_DEP_1)
	v_dual_fmac_f32 v48, 0x32a5705f, v23 :: v_dual_max_num_f32 v1, v1, v2
	v_dual_sub_f32 v42, v42, v51 :: v_dual_add_f32 v41, v41, v48
	ds_bpermute_b32 v2, v28, v1
	v_mul_lo_u32 v28, s34, v7
	v_mov_b32_e32 v25, s12
	v_cmp_gt_u32_e64 s12, s19, v19
	v_lshl_or_b32 v7, v7, 8, v6
	v_exp_f32_e32 v41, v41
	s_delay_alu instid0(VALU_DEP_4)
	v_ashrrev_i32_e32 v29, 31, v28
	s_wait_dscnt 0x0
	v_max_num_f32_e32 v2, v2, v2
	s_clause 0x1
	scratch_store_b32 off, v37, off
	scratch_store_b96 off, v[25:27], off offset:4
	v_max_num_f32_e32 v43, v1, v2
	v_lshlrev_b64_e32 v[1:2], 2, v[28:29]
	v_dual_sub_f32 v29, v39, v45 :: v_dual_fmac_f32 v50, 0x32a5705f, v30
	v_cvt_i32_f32_e32 v39, v45
	ds_bpermute_b32 v24, v24, v43
	v_cvt_i32_f32_e32 v45, v47
	v_add_f32_e32 v29, v29, v44
	s_wait_alu 0xfffe
	v_add_co_u32 v1, vcc_lo, s24, v1
	s_wait_alu 0xfffd
	v_add_co_ci_u32_e64 v2, null, s25, v2, vcc_lo
	v_exp_f32_e32 v29, v29
	s_delay_alu instid0(VALU_DEP_2) | instskip(SKIP_1) | instid1(VALU_DEP_2)
	v_add_co_u32 v1, vcc_lo, v1, v6
	s_wait_alu 0xfffd
	v_add_co_ci_u32_e64 v2, null, 0, v2, vcc_lo
	v_cmp_ngt_f32_e32 vcc_lo, 0xc2ce8ed0, v18
	v_cvt_i32_f32_e32 v47, v49
	s_delay_alu instid0(TRANS32_DEP_1) | instskip(SKIP_2) | instid1(VALU_DEP_1)
	v_ldexp_f32 v29, v29, v39
	s_wait_dscnt 0x0
	s_wait_alu 0xfffd
	v_dual_max_num_f32 v24, v24, v24 :: v_dual_cndmask_b32 v29, 0, v29
	v_cmp_ngt_f32_e32 vcc_lo, 0xc2ce8ed0, v22
	v_add_f32_e32 v40, v40, v46
	s_delay_alu instid0(VALU_DEP_1) | instskip(NEXT) | instid1(TRANS32_DEP_1)
	v_exp_f32_e32 v40, v40
	v_ldexp_f32 v39, v40, v45
	v_ldexp_f32 v40, v41, v47
	s_wait_alu 0xfffd
	s_delay_alu instid0(VALU_DEP_2)
	v_cndmask_b32_e32 v39, 0, v39, vcc_lo
	v_cmp_ngt_f32_e32 vcc_lo, 0xc2ce8ed0, v23
	v_max_num_f32_e32 v24, v43, v24
	v_cvt_i32_f32_e32 v43, v51
	s_wait_alu 0xfffd
	v_cndmask_b32_e32 v40, 0, v40, vcc_lo
	v_cmp_ngt_f32_e32 vcc_lo, 0xc2ce8ed0, v30
	v_add_f32_e32 v42, v42, v50
	s_delay_alu instid0(VALU_DEP_1) | instskip(NEXT) | instid1(TRANS32_DEP_1)
	v_exp_f32_e32 v42, v42
	v_ldexp_f32 v41, v42, v43
	s_wait_alu 0xfffd
	s_delay_alu instid0(VALU_DEP_1)
	v_cndmask_b32_e32 v41, 0, v41, vcc_lo
	v_cmp_nlt_f32_e32 vcc_lo, 0x42b17218, v18
	s_wait_alu 0xfffd
	v_cndmask_b32_e32 v18, 0x7f800000, v29, vcc_lo
	v_cmp_nlt_f32_e32 vcc_lo, 0x42b17218, v22
	s_wait_alu 0xfffd
	v_cndmask_b32_e32 v29, 0x7f800000, v39, vcc_lo
	ds_bpermute_b32 v0, v0, v24
	v_cmp_nlt_f32_e32 vcc_lo, 0x42b17218, v23
	s_wait_alu 0xf1ff
	v_cndmask_b32_e64 v21, 0, v29, s10
	s_wait_dscnt 0x0
	v_max_num_f32_e32 v0, v0, v0
	s_delay_alu instid0(VALU_DEP_1) | instskip(SKIP_1) | instid1(VALU_DEP_2)
	v_max_num_f32_e32 v149, v24, v0
	v_add_nc_u32_e32 v151, 0x5000, v34
	v_dual_sub_f32 v3, v3, v149 :: v_dual_add_nc_u32 v150, 0x6800, v34
	v_sub_f32_e32 v24, v16, v149
	s_wait_alu 0xfffd
	v_dual_cndmask_b32 v0, 0x7f800000, v40 :: v_dual_sub_f32 v17, v17, v149
	v_cmp_nlt_f32_e32 vcc_lo, 0x42b17218, v30
	v_dual_mul_f32 v16, 0x3fb8aa3b, v3 :: v_dual_sub_f32 v15, v15, v149
	v_cmp_ngt_f32_e64 s13, 0xc2ce8ed0, v3
	s_wait_alu 0xfffd
	v_cndmask_b32_e32 v23, 0x7f800000, v41, vcc_lo
	s_delay_alu instid0(VALU_DEP_3) | instskip(SKIP_1) | instid1(VALU_DEP_2)
	v_fma_f32 v39, 0x3fb8aa3b, v3, -v16
	v_cmp_gt_u32_e32 vcc_lo, s19, v135
	v_fmac_f32_e32 v39, 0x32a5705f, v3
	s_wait_alu 0xfffd
	v_dual_mul_f32 v29, 0x3fb8aa3b, v24 :: v_dual_cndmask_b32 v22, 0, v18
	v_rndne_f32_e32 v40, v16
	s_delay_alu instid0(VALU_DEP_2) | instskip(SKIP_2) | instid1(VALU_DEP_3)
	v_rndne_f32_e32 v44, v29
	v_mul_f32_e32 v18, 0x3fb8aa3b, v17
	v_fma_f32 v43, 0x3fb8aa3b, v24, -v29
	v_sub_f32_e32 v29, v29, v44
	s_delay_alu instid0(VALU_DEP_3) | instskip(SKIP_2) | instid1(VALU_DEP_3)
	v_rndne_f32_e32 v42, v18
	v_mul_f32_e32 v30, 0x3fb8aa3b, v15
	v_fma_f32 v41, 0x3fb8aa3b, v17, -v18
	v_dual_sub_f32 v16, v16, v40 :: v_dual_sub_f32 v47, v18, v42
	s_delay_alu instid0(VALU_DEP_3) | instskip(SKIP_1) | instid1(VALU_DEP_4)
	v_fma_f32 v45, 0x3fb8aa3b, v15, -v30
	v_rndne_f32_e32 v46, v30
	v_fmac_f32_e32 v41, 0x32a5705f, v17
	v_fmac_f32_e32 v43, 0x32a5705f, v24
	v_cndmask_b32_e64 v18, 0, v0, s11
	s_delay_alu instid0(VALU_DEP_4) | instskip(SKIP_1) | instid1(VALU_DEP_4)
	v_dual_fmac_f32 v45, 0x32a5705f, v15 :: v_dual_sub_f32 v30, v30, v46
	v_add_f32_e32 v0, v16, v39
	v_dual_add_f32 v20, v47, v41 :: v_dual_add_f32 v29, v29, v43
	v_cndmask_b32_e64 v16, 0, v23, s12
	s_delay_alu instid0(VALU_DEP_4) | instskip(NEXT) | instid1(VALU_DEP_4)
	v_add_f32_e32 v30, v30, v45
	v_exp_f32_e32 v0, v0
	s_delay_alu instid0(VALU_DEP_3)
	v_exp_f32_e32 v19, v20
	v_exp_f32_e32 v20, v29
	v_cvt_i32_f32_e32 v39, v42
	v_exp_f32_e32 v23, v30
	v_cvt_i32_f32_e32 v30, v40
	v_cvt_i32_f32_e32 v40, v44
	v_cvt_i32_f32_e32 v41, v46
	v_cvt_f16_f32_e32 v29, v22
	v_cvt_f16_f32_e32 v42, v21
	v_ldexp_f32 v0, v0, v30
	v_ldexp_f32 v19, v19, v39
	;; [unrolled: 1-line block ×3, first 2 shown]
	s_delay_alu instid0(TRANS32_DEP_1) | instskip(SKIP_4) | instid1(VALU_DEP_1)
	v_ldexp_f32 v23, v23, v41
	s_wait_alu 0xf1ff
	v_cndmask_b32_e64 v0, 0, v0, s13
	v_cmp_ngt_f32_e64 s13, 0xc2ce8ed0, v17
	s_wait_alu 0xf1ff
	v_cndmask_b32_e64 v19, 0, v19, s13
	v_cmp_ngt_f32_e64 s13, 0xc2ce8ed0, v24
	s_wait_alu 0xf1ff
	s_delay_alu instid0(VALU_DEP_1) | instskip(SKIP_2) | instid1(VALU_DEP_1)
	v_cndmask_b32_e64 v20, 0, v20, s13
	v_cmp_ngt_f32_e64 s13, 0xc2ce8ed0, v15
	s_wait_alu 0xf1ff
	v_cndmask_b32_e64 v23, 0, v23, s13
	v_cmp_nlt_f32_e64 s13, 0x42b17218, v3
	s_wait_alu 0xf1ff
	s_delay_alu instid0(VALU_DEP_1) | instskip(SKIP_2) | instid1(VALU_DEP_1)
	v_cndmask_b32_e64 v0, 0x7f800000, v0, s13
	v_cmp_nlt_f32_e64 s13, 0x42b17218, v17
	s_wait_alu 0xf1ff
	v_cndmask_b32_e64 v3, 0x7f800000, v19, s13
	v_cmp_nlt_f32_e64 s13, 0x42b17218, v24
	v_cndmask_b32_e32 v19, 0, v0, vcc_lo
	v_cndmask_b32_e64 v0, 0, v1, s2
	v_cndmask_b32_e64 v1, s15, v2, s2
	s_lshl_b32 s2, s34, 4
	v_cndmask_b32_e64 v17, 0x7f800000, v20, s13
	v_cmp_nlt_f32_e64 s13, 0x42b17218, v15
	v_cndmask_b32_e64 v20, 0, v3, s10
	v_cvt_f16_f32_e32 v24, v19
	v_cvt_f16_f32_e32 v3, v16
	v_cndmask_b32_e64 v17, 0, v17, s11
	s_wait_alu 0xf1ff
	v_cndmask_b32_e64 v15, 0x7f800000, v23, s13
	v_cvt_f16_f32_e32 v30, v20
	v_cvt_f16_f32_e32 v23, v18
	v_pack_b32_f16 v24, v29, v24
	v_cvt_f16_f32_e32 v39, v17
	v_cndmask_b32_e64 v15, 0, v15, s12
	v_pack_b32_f16 v29, v42, v30
	s_delay_alu instid0(VALU_DEP_3) | instskip(NEXT) | instid1(VALU_DEP_3)
	v_pack_b32_f16 v23, v23, v39
	v_cvt_f16_f32_e32 v40, v15
	s_delay_alu instid0(VALU_DEP_1)
	v_pack_b32_f16 v3, v3, v40
	ds_store_b32 v31, v24
	ds_store_b32 v32, v29
	;; [unrolled: 1-line block ×4, first 2 shown]
	flat_load_b128 v[0:3], v[0:1]
	s_wait_alu 0xfffe
	v_add_nc_u32_e32 v23, s2, v28
	s_clause 0x1
	scratch_store_b32 off, v37, off
	scratch_store_b96 off, v[25:27], off offset:4
	v_ashrrev_i32_e32 v24, 31, v23
	s_delay_alu instid0(VALU_DEP_1) | instskip(SKIP_1) | instid1(VALU_DEP_2)
	v_lshlrev_b64_e32 v[28:29], 2, v[23:24]
	v_add_nc_u32_e32 v23, s2, v23
	v_add_co_u32 v24, vcc_lo, s24, v28
	s_wait_alu 0xfffd
	s_delay_alu instid0(VALU_DEP_3) | instskip(NEXT) | instid1(VALU_DEP_2)
	v_add_co_ci_u32_e64 v28, null, s25, v29, vcc_lo
	v_add_co_u32 v24, vcc_lo, v24, v6
	s_wait_alu 0xfffd
	s_delay_alu instid0(VALU_DEP_2) | instskip(NEXT) | instid1(VALU_DEP_2)
	v_add_co_ci_u32_e64 v29, null, 0, v28, vcc_lo
	v_cndmask_b32_e64 v28, 0, v24, s3
	v_ashrrev_i32_e32 v24, 31, v23
	s_delay_alu instid0(VALU_DEP_3)
	v_cndmask_b32_e64 v29, s15, v29, s3
	s_wait_loadcnt_dscnt 0x0
	ds_store_b128 v7, v[0:3]
	flat_load_b128 v[0:3], v[28:29]
	v_lshlrev_b64_e32 v[28:29], 2, v[23:24]
	s_clause 0x1
	scratch_store_b32 off, v37, off
	scratch_store_b96 off, v[25:27], off offset:4
	v_add_nc_u32_e32 v23, s2, v23
	v_add_co_u32 v7, vcc_lo, s24, v28
	s_wait_alu 0xfffd
	v_add_co_ci_u32_e64 v24, null, s25, v29, vcc_lo
	s_delay_alu instid0(VALU_DEP_2) | instskip(SKIP_1) | instid1(VALU_DEP_2)
	v_add_co_u32 v7, vcc_lo, v7, v6
	s_wait_alu 0xfffd
	v_add_co_ci_u32_e64 v24, null, 0, v24, vcc_lo
	s_delay_alu instid0(VALU_DEP_2) | instskip(NEXT) | instid1(VALU_DEP_2)
	v_cndmask_b32_e64 v28, 0, v7, s4
	v_cndmask_b32_e64 v29, s15, v24, s4
	v_ashrrev_i32_e32 v24, 31, v23
	s_wait_loadcnt_dscnt 0x0
	ds_store_b128 v9, v[0:3]
	flat_load_b128 v[0:3], v[28:29]
	v_lshlrev_b64_e32 v[28:29], 2, v[23:24]
	s_clause 0x1
	scratch_store_b32 off, v37, off
	scratch_store_b96 off, v[25:27], off offset:4
	v_add_co_u32 v7, vcc_lo, s24, v28
	s_wait_alu 0xfffd
	v_add_co_ci_u32_e64 v9, null, s25, v29, vcc_lo
	v_lshl_or_b32 v28, v10, 8, v6
	s_delay_alu instid0(VALU_DEP_3) | instskip(SKIP_1) | instid1(VALU_DEP_3)
	v_add_co_u32 v7, vcc_lo, v7, v6
	s_wait_alu 0xfffd
	v_add_co_ci_u32_e64 v24, null, 0, v9, vcc_lo
	s_delay_alu instid0(VALU_DEP_2) | instskip(NEXT) | instid1(VALU_DEP_2)
	v_cndmask_b32_e64 v9, 0, v7, s5
	v_cndmask_b32_e64 v10, s15, v24, s5
	s_wait_loadcnt_dscnt 0x0
	ds_store_b128 v28, v[0:3]
	flat_load_b128 v[0:3], v[9:10]
	v_add_nc_u32_e32 v9, s2, v23
	s_clause 0x1
	scratch_store_b32 off, v37, off
	scratch_store_b96 off, v[25:27], off offset:4
	v_ashrrev_i32_e32 v10, 31, v9
	s_delay_alu instid0(VALU_DEP_1) | instskip(SKIP_1) | instid1(VALU_DEP_2)
	v_lshlrev_b64_e32 v[23:24], 2, v[9:10]
	v_add_nc_u32_e32 v9, s2, v9
	v_add_co_u32 v7, vcc_lo, s24, v23
	s_wait_alu 0xfffd
	s_delay_alu instid0(VALU_DEP_3) | instskip(SKIP_1) | instid1(VALU_DEP_3)
	v_add_co_ci_u32_e64 v10, null, s25, v24, vcc_lo
	v_lshl_or_b32 v24, v11, 8, v6
	v_add_co_u32 v7, vcc_lo, v7, v6
	s_wait_alu 0xfffd
	s_delay_alu instid0(VALU_DEP_3) | instskip(NEXT) | instid1(VALU_DEP_2)
	v_add_co_ci_u32_e64 v23, null, 0, v10, vcc_lo
	v_cndmask_b32_e64 v10, 0, v7, s6
	s_delay_alu instid0(VALU_DEP_2)
	v_cndmask_b32_e64 v11, s15, v23, s6
	s_wait_loadcnt_dscnt 0x0
	ds_store_b128 v24, v[0:3]
	flat_load_b128 v[0:3], v[10:11]
	v_ashrrev_i32_e32 v10, 31, v9
	s_clause 0x1
	scratch_store_b32 off, v37, off
	scratch_store_b96 off, v[25:27], off offset:4
	v_lshlrev_b64_e32 v[10:11], 2, v[9:10]
	v_add_nc_u32_e32 v9, s2, v9
	s_delay_alu instid0(VALU_DEP_2) | instskip(SKIP_1) | instid1(VALU_DEP_3)
	v_add_co_u32 v7, vcc_lo, s24, v10
	s_wait_alu 0xfffd
	v_add_co_ci_u32_e64 v10, null, s25, v11, vcc_lo
	s_delay_alu instid0(VALU_DEP_2) | instskip(SKIP_1) | instid1(VALU_DEP_2)
	v_add_co_u32 v7, vcc_lo, v7, v6
	s_wait_alu 0xfffd
	v_add_co_ci_u32_e64 v11, null, 0, v10, vcc_lo
	s_delay_alu instid0(VALU_DEP_2) | instskip(NEXT) | instid1(VALU_DEP_2)
	v_cndmask_b32_e64 v10, 0, v7, s7
	v_cndmask_b32_e64 v11, s15, v11, s7
	s_wait_loadcnt_dscnt 0x0
	ds_store_b128 v12, v[0:3]
	flat_load_b128 v[0:3], v[10:11]
	v_ashrrev_i32_e32 v10, 31, v9
	v_lshl_or_b32 v12, v13, 8, v6
	s_clause 0x1
	scratch_store_b32 off, v37, off
	scratch_store_b96 off, v[25:27], off offset:4
	v_lshlrev_b64_e32 v[10:11], 2, v[9:10]
	v_add_nc_u32_e32 v9, s2, v9
	s_delay_alu instid0(VALU_DEP_2) | instskip(SKIP_1) | instid1(VALU_DEP_3)
	v_add_co_u32 v7, vcc_lo, s24, v10
	s_wait_alu 0xfffd
	v_add_co_ci_u32_e64 v10, null, s25, v11, vcc_lo
	s_delay_alu instid0(VALU_DEP_2) | instskip(SKIP_1) | instid1(VALU_DEP_2)
	v_add_co_u32 v7, vcc_lo, v7, v6
	s_wait_alu 0xfffd
	v_add_co_ci_u32_e64 v11, null, 0, v10, vcc_lo
	s_delay_alu instid0(VALU_DEP_2) | instskip(NEXT) | instid1(VALU_DEP_2)
	v_cndmask_b32_e64 v10, 0, v7, s8
	v_cndmask_b32_e64 v11, s15, v11, s8
	s_wait_loadcnt_dscnt 0x0
	ds_store_b128 v12, v[0:3]
	flat_load_b128 v[0:3], v[10:11]
	v_ashrrev_i32_e32 v10, 31, v9
	v_lshl_or_b32 v11, v14, 8, v6
	s_clause 0x1
	scratch_store_b32 off, v37, off
	scratch_store_b96 off, v[25:27], off offset:4
	v_sub_f32_e32 v12, v4, v148
	v_lshlrev_b64_e32 v[9:10], 2, v[9:10]
	s_delay_alu instid0(VALU_DEP_2) | instskip(NEXT) | instid1(VALU_DEP_2)
	v_mul_f32_e32 v4, 0x3fb8aa3b, v12
	v_add_co_u32 v7, vcc_lo, s24, v9
	s_wait_alu 0xfffd
	s_delay_alu instid0(VALU_DEP_3) | instskip(NEXT) | instid1(VALU_DEP_2)
	v_add_co_ci_u32_e64 v9, null, s25, v10, vcc_lo
	v_add_co_u32 v7, vcc_lo, v7, v6
	s_wait_alu 0xfffd
	s_delay_alu instid0(VALU_DEP_2) | instskip(SKIP_1) | instid1(VALU_DEP_3)
	v_add_co_ci_u32_e64 v10, null, 0, v9, vcc_lo
	v_cmp_ngt_f32_e32 vcc_lo, 0xc2ce8ed0, v12
	v_cndmask_b32_e64 v9, 0, v7, s9
	v_fma_f32 v7, 0x3fb8aa3b, v12, -v4
	s_delay_alu instid0(VALU_DEP_4) | instskip(NEXT) | instid1(VALU_DEP_2)
	v_cndmask_b32_e64 v10, s15, v10, s9
	v_fmac_f32_e32 v7, 0x32a5705f, v12
	s_wait_loadcnt_dscnt 0x0
	ds_store_b128 v11, v[0:3]
	flat_load_b128 v[0:3], v[9:10]
	v_rndne_f32_e32 v9, v4
	v_sub_f32_e32 v11, v5, v149
	s_delay_alu instid0(VALU_DEP_2) | instskip(SKIP_2) | instid1(VALU_DEP_3)
	v_sub_f32_e32 v4, v4, v9
	v_cvt_i32_f32_e32 v24, v9
	v_dual_add_f32 v19, v19, v20 :: v_dual_add_nc_u32 v152, 0x4800, v34
	v_add_f32_e32 v7, v4, v7
	v_lshl_or_b32 v4, v8, 8, v6
	v_add_nc_u32_e32 v6, 0x1000, v34
	v_mul_f32_e32 v5, 0x3fb8aa3b, v11
	v_add_f32_e32 v17, v17, v19
	s_delay_alu instid0(VALU_DEP_2) | instskip(SKIP_1) | instid1(VALU_DEP_2)
	v_fma_f32 v10, 0x3fb8aa3b, v11, -v5
	v_rndne_f32_e32 v23, v5
	v_fmac_f32_e32 v10, 0x32a5705f, v11
	s_delay_alu instid0(VALU_DEP_2) | instskip(SKIP_1) | instid1(VALU_DEP_2)
	v_sub_f32_e32 v5, v5, v23
	v_cvt_i32_f32_e32 v23, v23
	v_add_f32_e32 v8, v5, v10
	v_add_nc_u32_e32 v10, 0x2800, v34
	v_exp_f32_e32 v14, v7
	v_add_nc_u32_e32 v7, 0x1800, v34
	s_delay_alu instid0(VALU_DEP_3) | instskip(SKIP_1) | instid1(TRANS32_DEP_2)
	v_exp_f32_e32 v13, v8
	v_add_nc_u32_e32 v8, 0x2000, v34
	v_ldexp_f32 v14, v14, v24
	s_delay_alu instid0(TRANS32_DEP_1) | instskip(SKIP_1) | instid1(VALU_DEP_2)
	v_ldexp_f32 v13, v13, v23
	s_wait_alu 0xfffd
	v_cndmask_b32_e32 v14, 0, v14, vcc_lo
	v_cmp_ngt_f32_e32 vcc_lo, 0xc2ce8ed0, v11
	s_wait_alu 0xfffd
	v_dual_cndmask_b32 v13, 0, v13 :: v_dual_add_nc_u32 v90, 0x3800, v34
	v_cmp_nlt_f32_e32 vcc_lo, 0x42b17218, v12
	s_wait_alu 0xfffd
	v_cndmask_b32_e32 v12, 0x7f800000, v14, vcc_lo
	v_add_f32_e32 v14, v22, v21
	v_cmp_nlt_f32_e32 vcc_lo, 0x42b17218, v11
	s_wait_alu 0xfffd
	s_delay_alu instid0(VALU_DEP_2) | instskip(SKIP_1) | instid1(VALU_DEP_2)
	v_dual_add_f32 v14, v18, v14 :: v_dual_cndmask_b32 v11, 0x7f800000, v13
	v_cvt_f16_f32_e32 v13, v12
	v_add_f32_e32 v14, v16, v14
	s_delay_alu instid0(VALU_DEP_3) | instskip(SKIP_1) | instid1(VALU_DEP_3)
	v_cvt_f16_f32_e32 v18, v11
	v_add_nc_u32_e32 v5, 0x800, v34
	v_dual_fmac_f32 v14, v138, v12 :: v_dual_and_b32 v13, 0xffff, v13
	s_delay_alu instid0(VALU_DEP_3) | instskip(SKIP_2) | instid1(VALU_DEP_4)
	v_and_b32_e32 v16, 0xffff, v18
	v_dual_add_f32 v12, v15, v17 :: v_dual_add_nc_u32 v153, 0x4000, v34
	v_add_nc_u32_e32 v18, 0x7000, v34
	v_mul_u32_u24_e32 v91, 0x10001, v13
	s_delay_alu instid0(VALU_DEP_4) | instskip(NEXT) | instid1(VALU_DEP_4)
	v_mul_u32_u24_e32 v104, 0x10001, v16
	v_dual_fmac_f32 v12, v55, v11 :: v_dual_add_nc_u32 v13, 0x7800, v34
	v_dual_mov_b32 v138, v14 :: v_dual_add_nc_u32 v9, 0x3000, v34
	s_clause 0x2
	scratch_store_b32 off, v18, off offset:56
	scratch_store_b32 off, v13, off offset:52
	;; [unrolled: 1-line block ×3, first 2 shown]
	v_pk_mul_f16 v120, v38, v91
	v_pk_mul_f16 v121, v35, v104
	s_wait_loadcnt_dscnt 0x0
	ds_store_b128 v4, v[0:3]
	s_wait_storecnt_dscnt 0x0
	s_barrier_signal -1
	s_barrier_wait -1
	global_inv scope:SCOPE_SE
	ds_load_2addr_b64 v[76:79], v34 offset1:32
	ds_load_2addr_b64 v[72:75], v34 offset0:64 offset1:96
	ds_load_2addr_b64 v[56:59], v34 offset0:128 offset1:160
	ds_load_b128 v[139:142], v137 offset:34816
	ds_load_b128 v[154:157], v137 offset:34832
	ds_load_2addr_b64 v[36:39], v34 offset0:192 offset1:224
	ds_load_2addr_b64 v[48:51], v5 offset1:32
	ds_load_2addr_b64 v[44:47], v5 offset0:64 offset1:96
	ds_load_2addr_b64 v[40:43], v5 offset0:128 offset1:160
	ds_load_b128 v[160:163], v137 offset:34848
	ds_load_b128 v[164:167], v137 offset:34864
	ds_load_2addr_b64 v[52:55], v5 offset0:192 offset1:224
	;; [unrolled: 6-line block ×7, first 2 shown]
	ds_load_2addr_b64 v[4:7], v90 offset1:32
	s_wait_dscnt 0x27
	v_lshrrev_b32_e32 v105, 16, v139
	v_and_b32_e32 v106, 0xffff, v139
	s_wait_dscnt 0x26
	v_lshrrev_b32_e32 v191, 16, v155
	v_and_b32_e32 v208, 0xffff, v155
	v_lshrrev_b32_e32 v210, 16, v156
	v_and_b32_e32 v230, 0xffff, v156
	v_lshrrev_b32_e32 v231, 16, v157
	v_and_b32_e32 v232, 0xffff, v157
	s_wait_dscnt 0x20
	v_lshrrev_b32_e32 v128, 16, v165
	v_and_b32_e32 v254, 0xffff, v165
	v_lshrrev_b32_e32 v129, 16, v166
	v_and_b32_e32 v146, 0xffff, v166
	;; [unrolled: 7-line block ×3, first 2 shown]
	s_wait_dscnt 0x1a
	v_lshrrev_b32_e32 v155, 16, v172
	v_and_b32_e32 v156, 0xffff, v172
	s_wait_dscnt 0x14
	v_lshrrev_b32_e32 v255, 16, v180
	v_and_b32_e32 v171, 0xffff, v180
	v_lshrrev_b32_e32 v180, 16, v183
	v_and_b32_e32 v207, 0xffff, v183
	v_mul_u32_u24_e32 v172, 0x10001, v106
	v_mul_u32_u24_e32 v183, 0x10001, v105
	ds_load_b128 v[165:168], v137 offset:35040
	v_lshrrev_b32_e32 v122, 16, v140
	v_and_b32_e32 v123, 0xffff, v140
	v_pk_mul_f16 v105, v76, v172
	v_pk_mul_f16 v76, v76, v183
	v_and_b32_e32 v132, 0xffff, v141
	v_lshrrev_b32_e32 v131, 16, v141
	s_wait_dscnt 0xf
	v_lshrrev_b32_e32 v247, 16, v199
	v_pk_fma_f16 v89, v89, v91, v105
	v_pk_fma_f16 v76, v88, v104, v76
	v_mul_u32_u24_e32 v88, 0x10001, v123
	v_pk_fma_f16 v91, v77, v172, v120
	v_mul_u32_u24_e32 v120, 0x10001, v122
	v_pk_fma_f16 v77, v77, v183, v121
	v_and_b32_e32 v248, 0xffff, v199
	v_lshrrev_b32_e32 v245, 16, v200
	v_pk_fma_f16 v91, v79, v88, v91
	v_pk_fma_f16 v88, v78, v88, v89
	;; [unrolled: 1-line block ×4, first 2 shown]
	v_mul_u32_u24_e32 v78, 0x10001, v132
	s_wait_dscnt 0x3
	v_lshrrev_b32_e32 v79, 16, v214
	v_and_b32_e32 v246, 0xffff, v200
	v_lshrrev_b32_e32 v242, 16, v201
	v_and_b32_e32 v243, 0xffff, v201
	;; [unrolled: 2-line block ×3, first 2 shown]
	ds_load_b128 v[199:202], v137 offset:35056
	v_pk_fma_f16 v89, v73, v78, v91
	v_pk_fma_f16 v78, v72, v78, v88
	s_wait_dscnt 0x1
	v_lshrrev_b32_e32 v88, 16, v165
	scratch_store_b32 off, v79, off offset:112 ; 4-byte Folded Spill
	v_and_b32_e32 v79, 0xffff, v214
	v_lshrrev_b32_e32 v133, 16, v142
	v_and_b32_e32 v134, 0xffff, v142
	scratch_store_b32 off, v88, off offset:116 ; 4-byte Folded Spill
	v_lshrrev_b32_e32 v107, 16, v185
	scratch_store_b32 off, v79, off offset:120 ; 4-byte Folded Spill
	v_mul_u32_u24_e32 v79, 0x10001, v131
	v_mul_u32_u24_e32 v88, 0x10001, v134
	;; [unrolled: 1-line block ×3, first 2 shown]
	v_lshrrev_b32_e32 v196, 16, v154
	v_and_b32_e32 v209, 0xffff, v154
	v_pk_fma_f16 v72, v72, v79, v76
	v_pk_fma_f16 v73, v73, v79, v77
	v_and_b32_e32 v76, 0xffff, v165
	v_pk_fma_f16 v77, v74, v88, v78
	v_lshrrev_b32_e32 v78, 16, v166
	v_pk_fma_f16 v72, v74, v91, v72
	v_and_b32_e32 v74, 0xffff, v166
	scratch_store_b32 off, v76, off offset:132 ; 4-byte Folded Spill
	v_pk_fma_f16 v76, v75, v88, v89
	v_pk_fma_f16 v73, v75, v91, v73
	v_and_b32_e32 v75, 0xffff, v168
	scratch_store_b32 off, v74, off offset:100 ; 4-byte Folded Spill
	v_lshrrev_b32_e32 v74, 16, v167
	s_clause 0x1
	scratch_store_b32 off, v107, off offset:124
	scratch_store_b32 off, v78, off offset:96
	v_and_b32_e32 v107, 0xffff, v185
	s_clause 0x1
	scratch_store_b32 off, v75, off offset:76
	scratch_store_b32 off, v74, off offset:80
	v_and_b32_e32 v74, 0xffff, v167
	v_mul_u32_u24_e32 v75, 0x10001, v196
	scratch_store_b32 off, v107, off offset:128 ; 4-byte Folded Spill
	v_lshrrev_b32_e32 v107, 16, v186
	v_mul_u32_u24_e32 v78, 0x10001, v208
	scratch_store_b32 off, v74, off offset:92 ; 4-byte Folded Spill
	v_lshrrev_b32_e32 v74, 16, v168
	v_lshrrev_b32_e32 v233, 16, v160
	scratch_store_b32 off, v107, off offset:104 ; 4-byte Folded Spill
	v_and_b32_e32 v107, 0xffff, v186
	v_and_b32_e32 v236, 0xffff, v160
	scratch_store_b32 off, v74, off offset:72 ; 4-byte Folded Spill
	v_mul_u32_u24_e32 v74, 0x10001, v209
	v_mul_u32_u24_e32 v131, 0x10001, v231
	scratch_store_b32 off, v107, off offset:108 ; 4-byte Folded Spill
	v_lshrrev_b32_e32 v107, 16, v187
	v_lshrrev_b32_e32 v237, 16, v161
	v_pk_fma_f16 v76, v57, v74, v76
	v_pk_fma_f16 v74, v56, v74, v77
	v_mul_u32_u24_e32 v77, 0x10001, v191
	scratch_store_b32 off, v107, off offset:84 ; 4-byte Folded Spill
	v_pk_fma_f16 v57, v57, v75, v73
	v_pk_fma_f16 v56, v56, v75, v72
	;; [unrolled: 1-line block ×4, first 2 shown]
	v_mul_u32_u24_e32 v74, 0x10001, v230
	v_pk_fma_f16 v57, v59, v77, v57
	v_pk_fma_f16 v56, v58, v77, v56
	v_mul_u32_u24_e32 v58, 0x10001, v210
	v_mul_u32_u24_e32 v59, 0x10001, v232
	v_pk_fma_f16 v72, v37, v74, v72
	v_pk_fma_f16 v73, v36, v74, v73
	v_and_b32_e32 v238, 0xffff, v161
	v_pk_fma_f16 v37, v37, v58, v57
	v_pk_fma_f16 v36, v36, v58, v56
	;; [unrolled: 1-line block ×4, first 2 shown]
	v_mul_u32_u24_e32 v132, 0x10001, v233
	v_pk_fma_f16 v58, v39, v131, v37
	v_pk_fma_f16 v59, v38, v131, v36
	v_mul_u32_u24_e32 v131, 0x10001, v236
	v_lshrrev_b32_e32 v239, 16, v162
	v_and_b32_e32 v241, 0xffff, v162
	v_mul_u32_u24_e32 v133, 0x10001, v238
	v_mul_u32_u24_e32 v134, 0x10001, v237
	v_pk_fma_f16 v56, v49, v131, v56
	v_pk_fma_f16 v49, v49, v132, v58
	v_pk_fma_f16 v57, v48, v131, v57
	v_pk_fma_f16 v48, v48, v132, v59
	v_lshrrev_b32_e32 v244, 16, v163
	v_and_b32_e32 v190, 0xffff, v163
	v_mul_u32_u24_e32 v191, 0x10001, v241
	v_mul_u32_u24_e32 v58, 0x10001, v239
	v_pk_fma_f16 v56, v51, v133, v56
	v_pk_fma_f16 v49, v51, v134, v49
	v_pk_fma_f16 v51, v50, v133, v57
	v_pk_fma_f16 v48, v50, v134, v48
	;; [unrolled: 8-line block ×3, first 2 shown]
	v_mul_u32_u24_e32 v133, 0x10001, v249
	v_mul_u32_u24_e32 v134, 0x10001, v192
	v_pk_fma_f16 v132, v47, v50, v132
	v_pk_fma_f16 v45, v47, v131, v45
	v_pk_fma_f16 v47, v46, v50, v49
	v_pk_fma_f16 v44, v46, v131, v44
	v_mul_u32_u24_e32 v131, 0x10001, v254
	v_mul_u32_u24_e32 v128, 0x10001, v128
	v_pk_fma_f16 v132, v41, v133, v132
	v_pk_fma_f16 v41, v41, v134, v45
	v_pk_fma_f16 v133, v40, v133, v47
	v_pk_fma_f16 v40, v40, v134, v44
	;; [unrolled: 6-line block ×3, first 2 shown]
	v_and_b32_e32 v107, 0xffff, v187
	v_mul_u32_u24_e32 v133, 0x10001, v197
	v_mul_u32_u24_e32 v130, 0x10001, v130
	v_pk_fma_f16 v132, v53, v134, v132
	v_pk_fma_f16 v53, v53, v129, v146
	;; [unrolled: 1-line block ×4, first 2 shown]
	scratch_store_b32 off, v107, off offset:88 ; 4-byte Folded Spill
	v_lshrrev_b32_e32 v188, 16, v169
	v_and_b32_e32 v147, 0xffff, v169
	v_lshrrev_b32_e32 v140, 16, v175
	v_and_b32_e32 v141, 0xffff, v175
	;; [unrolled: 2-line block ×8, first 2 shown]
	ds_load_2addr_b64 v[104:107], v90 offset0:64 offset1:96
	v_lshrrev_b32_e32 v175, 16, v211
	v_and_b32_e32 v172, 0xffff, v211
	v_lshrrev_b32_e32 v183, 16, v212
	v_and_b32_e32 v184, 0xffff, v212
	v_lshrrev_b32_e32 v203, 16, v213
	v_and_b32_e32 v205, 0xffff, v213
	ds_load_2addr_b64 v[120:123], v90 offset0:128 offset1:160
	ds_load_2addr_b64 v[88:91], v90 offset0:192 offset1:224
	ds_load_2addr_b64 v[76:79], v153 offset1:32
	ds_load_2addr_b64 v[72:75], v153 offset0:64 offset1:96
	ds_load_2addr_b64 v[36:39], v153 offset0:128 offset1:160
	ds_load_b128 v[165:168], v137 offset:35072
	ds_load_b128 v[211:214], v137 offset:35088
	ds_load_2addr_b64 v[56:59], v153 offset0:192 offset1:224
	v_mul_u32_u24_e32 v128, 0x10001, v194
	v_pk_fma_f16 v129, v55, v133, v132
	v_pk_fma_f16 v146, v55, v130, v53
	;; [unrolled: 1-line block ×4, first 2 shown]
	v_mul_u32_u24_e32 v153, 0x10001, v193
	v_lshrrev_b32_e32 v160, 16, v170
	v_and_b32_e32 v161, 0xffff, v170
	v_pk_fma_f16 v129, v65, v128, v129
	v_pk_fma_f16 v128, v64, v128, v53
	v_mul_u32_u24_e32 v147, 0x10001, v147
	v_mul_u32_u24_e32 v188, 0x10001, v188
	v_pk_fma_f16 v64, v64, v153, v130
	v_pk_fma_f16 v65, v65, v153, v146
	v_mul_u32_u24_e32 v157, 0x10001, v157
	v_pk_fma_f16 v129, v67, v147, v129
	v_pk_fma_f16 v128, v66, v147, v128
	;; [unrolled: 1-line block ×3, first 2 shown]
	v_mul_u32_u24_e32 v64, 0x10001, v161
	v_mul_u32_u24_e32 v147, 0x10001, v160
	v_pk_fma_f16 v130, v67, v188, v65
	v_mul_u32_u24_e32 v153, 0x10001, v158
	v_lshrrev_b32_e32 v145, 16, v173
	v_pk_fma_f16 v128, v80, v64, v128
	v_pk_fma_f16 v80, v80, v147, v146
	;; [unrolled: 1-line block ×4, first 2 shown]
	v_and_b32_e32 v154, 0xffff, v173
	v_lshrrev_b32_e32 v143, 16, v174
	v_pk_fma_f16 v146, v82, v157, v80
	s_wait_dscnt 0x2
	v_and_b32_e32 v80, 0xffff, v166
	v_and_b32_e32 v144, 0xffff, v174
	v_lshrrev_b32_e32 v162, 16, v177
	v_and_b32_e32 v139, 0xffff, v177
	v_lshrrev_b32_e32 v164, 16, v178
	;; [unrolled: 2-line block ×11, first 2 shown]
	v_and_b32_e32 v220, 0xffff, v253
	ds_load_2addr_b64 v[48:51], v152 offset1:32
	ds_load_2addr_b64 v[44:47], v152 offset0:64 offset1:96
	ds_load_2addr_b64 v[40:43], v152 offset0:128 offset1:160
	ds_load_b128 v[250:253], v137 offset:35104
	ds_load_b128 v[131:134], v137 offset:35120
	v_pk_fma_f16 v129, v83, v153, v129
	v_pk_fma_f16 v128, v82, v153, v128
	;; [unrolled: 1-line block ×3, first 2 shown]
	scratch_store_b32 off, v80, off offset:60 ; 4-byte Folded Spill
	v_mul_u32_u24_e32 v80, 0x10001, v156
	v_mul_u32_u24_e32 v147, 0x10001, v155
	;; [unrolled: 1-line block ×5, first 2 shown]
	v_pk_fma_f16 v129, v93, v80, v129
	v_pk_fma_f16 v128, v92, v80, v128
	;; [unrolled: 1-line block ×4, first 2 shown]
	s_wait_dscnt 0x6
	v_and_b32_e32 v130, 0xffff, v211
	v_pk_fma_f16 v129, v95, v153, v129
	v_pk_fma_f16 v128, v94, v153, v128
	v_mul_u32_u24_e32 v141, 0x10001, v141
	v_mul_u32_u24_e32 v140, 0x10001, v140
	scratch_store_b32 off, v130, off offset:64 ; 4-byte Folded Spill
	v_pk_fma_f16 v130, v95, v145, v93
	v_pk_fma_f16 v145, v94, v145, v92
	v_lshrrev_b32_e32 v92, 16, v212
	v_mul_u32_u24_e32 v142, 0x10001, v142
	ds_load_2addr_b64 v[52:55], v152 offset0:192 offset1:224
	ds_load_2addr_b64 v[64:67], v151 offset1:32
	ds_load_2addr_b64 v[80:83], v151 offset0:64 offset1:96
	scratch_store_b32 off, v92, off offset:68 ; 4-byte Folded Spill
	v_mul_u32_u24_e32 v92, 0x10001, v144
	v_lshrrev_b32_e32 v210, 16, v201
	v_and_b32_e32 v161, 0xffff, v201
	v_lshrrev_b32_e32 v232, 16, v165
	v_and_b32_e32 v241, 0xffff, v165
	v_pk_fma_f16 v129, v125, v92, v129
	v_pk_fma_f16 v128, v124, v92, v128
	;; [unrolled: 1-line block ×4, first 2 shown]
	v_mul_u32_u24_e32 v130, 0x10001, v136
	v_pk_fma_f16 v129, v127, v141, v129
	v_pk_fma_f16 v128, v126, v141, v128
	;; [unrolled: 1-line block ×4, first 2 shown]
	ds_load_2addr_b64 v[92:95], v151 offset0:128 offset1:160
	v_pk_fma_f16 v126, v109, v142, v129
	v_pk_fma_f16 v127, v108, v142, v128
	v_mul_u32_u24_e32 v128, 0x10001, v139
	v_pk_fma_f16 v109, v109, v130, v125
	v_pk_fma_f16 v108, v108, v130, v124
	v_mul_u32_u24_e32 v130, 0x10001, v163
	ds_load_b128 v[140:143], v137 offset:35136
	ds_load_b128 v[154:157], v137 offset:35152
	v_pk_fma_f16 v124, v111, v128, v126
	v_pk_fma_f16 v125, v110, v128, v127
	v_mul_u32_u24_e32 v129, 0x10001, v162
	v_mul_u32_u24_e32 v136, 0x10001, v164
	v_lshrrev_b32_e32 v238, 16, v168
	v_pk_fma_f16 v124, v117, v130, v124
	v_pk_fma_f16 v125, v116, v130, v125
	v_mul_u32_u24_e32 v130, 0x10001, v169
	v_pk_fma_f16 v128, v111, v129, v109
	v_pk_fma_f16 v129, v110, v129, v108
	v_and_b32_e32 v249, 0xffff, v168
	v_lshrrev_b32_e32 v165, 16, v213
	v_pk_fma_f16 v124, v119, v130, v124
	v_pk_fma_f16 v125, v118, v130, v125
	v_mul_u32_u24_e32 v130, 0x10001, v171
	v_pk_fma_f16 v117, v117, v136, v128
	v_pk_fma_f16 v116, v116, v136, v129
	v_mul_u32_u24_e32 v136, 0x10001, v195
	v_and_b32_e32 v168, 0xffff, v213
	v_pk_fma_f16 v124, v113, v130, v124
	v_pk_fma_f16 v125, v112, v130, v125
	v_mul_u32_u24_e32 v130, 0x10001, v173
	s_wait_dscnt 0x6
	v_lshrrev_b32_e32 v146, 16, v133
	v_and_b32_e32 v201, 0xffff, v133
	s_wait_dscnt 0x1
	v_lshrrev_b32_e32 v133, 16, v140
	v_and_b32_e32 v213, 0xffff, v140
	v_pk_fma_f16 v124, v115, v130, v124
	v_pk_fma_f16 v125, v114, v130, v125
	v_mul_u32_u24_e32 v130, 0x10001, v178
	scratch_load_b32 v140, off, off offset:124 th:TH_LOAD_LU ; 4-byte Folded Reload
	v_mul_u32_u24_e32 v139, 0x10001, v170
	ds_load_2addr_b64 v[108:111], v151 offset0:192 offset1:224
	v_lshrrev_b32_e32 v151, 16, v131
	v_pk_fma_f16 v124, v101, v130, v124
	v_pk_fma_f16 v125, v100, v130, v125
	v_mul_u32_u24_e32 v130, 0x10001, v207
	v_and_b32_e32 v162, 0xffff, v131
	v_pk_fma_f16 v128, v119, v139, v117
	v_pk_fma_f16 v129, v118, v139, v116
	v_mul_u32_u24_e32 v131, 0x10001, v255
	v_pk_fma_f16 v124, v103, v130, v124
	v_pk_fma_f16 v125, v102, v130, v125
	v_lshrrev_b32_e32 v196, 16, v200
	v_and_b32_e32 v231, 0xffff, v200
	v_lshrrev_b32_e32 v190, 16, v132
	v_pk_fma_f16 v124, v97, v136, v124
	v_pk_fma_f16 v125, v96, v136, v125
	scratch_load_b32 v136, off, off offset:128 th:TH_LOAD_LU ; 4-byte Folded Reload
	v_and_b32_e32 v200, 0xffff, v132
	v_mul_u32_u24_e32 v132, 0x10001, v174
	v_pk_fma_f16 v113, v113, v131, v128
	v_pk_fma_f16 v112, v112, v131, v129
	v_mul_u32_u24_e32 v131, 0x10001, v179
	v_lshrrev_b32_e32 v152, 16, v199
	v_and_b32_e32 v209, 0xffff, v199
	v_pk_fma_f16 v128, v115, v132, v113
	v_pk_fma_f16 v129, v114, v132, v112
	ds_load_b128 v[112:115], v137 offset:35168
	v_mul_u32_u24_e32 v132, 0x10001, v180
	v_lshrrev_b32_e32 v236, 16, v202
	v_pk_fma_f16 v101, v101, v131, v128
	v_pk_fma_f16 v100, v100, v131, v129
	v_and_b32_e32 v237, 0xffff, v202
	v_lshrrev_b32_e32 v199, 16, v134
	v_and_b32_e32 v202, 0xffff, v134
	v_pk_fma_f16 v134, v103, v132, v101
	v_pk_fma_f16 v132, v102, v132, v100
	v_mul_u32_u24_e32 v139, 0x10001, v198
	ds_load_b128 v[100:103], v137 offset:35184
	v_lshrrev_b32_e32 v239, 16, v166
	v_lshrrev_b32_e32 v233, 16, v167
	v_and_b32_e32 v244, 0xffff, v167
	v_pk_fma_f16 v96, v96, v139, v132
	v_pk_fma_f16 v97, v97, v139, v134
	v_and_b32_e32 v166, 0xffff, v212
	v_lshrrev_b32_e32 v167, 16, v214
	v_and_b32_e32 v153, 0xffff, v214
	s_wait_dscnt 0x1
	v_lshrrev_b32_e32 v163, 16, v112
	v_and_b32_e32 v164, 0xffff, v112
	v_lshrrev_b32_e32 v169, 16, v113
	v_and_b32_e32 v134, 0xffff, v113
	;; [unrolled: 2-line block ×3, first 2 shown]
	v_lshrrev_b32_e32 v179, 16, v115
	v_lshrrev_b32_e32 v126, 16, v251
	v_and_b32_e32 v191, 0xffff, v251
	v_lshrrev_b32_e32 v147, 16, v253
	v_and_b32_e32 v230, 0xffff, v253
	;; [unrolled: 2-line block ×4, first 2 shown]
	s_wait_dscnt 0x0
	v_lshrrev_b32_e32 v178, 16, v100
	v_and_b32_e32 v173, 0xffff, v100
	v_lshrrev_b32_e32 v174, 16, v101
	v_and_b32_e32 v143, 0xffff, v101
	;; [unrolled: 2-line block ×3, first 2 shown]
	v_mul_u32_u24_e32 v101, 0x10001, v248
	v_mul_u32_u24_e32 v102, 0x10001, v247
	v_lshrrev_b32_e32 v248, 16, v103
	v_lshrrev_b32_e32 v219, 16, v206
	v_and_b32_e32 v221, 0xffff, v206
	v_lshrrev_b32_e32 v254, 16, v211
	v_lshrrev_b32_e32 v211, 16, v154
	v_and_b32_e32 v206, 0xffff, v154
	v_lshrrev_b32_e32 v128, 16, v156
	v_and_b32_e32 v130, 0xffff, v156
	;; [unrolled: 2-line block ×7, first 2 shown]
	v_mul_u32_u24_e32 v171, 0x10001, v223
	v_lshrrev_b32_e32 v229, 16, v204
	v_and_b32_e32 v204, 0xffff, v204
	ds_load_2addr_b64 v[116:119], v189 offset1:32
	v_mul_u32_u24_e32 v172, 0x10001, v172
	v_mul_u32_u24_e32 v161, 0x10001, v161
	v_mul_u32_u24_e32 v210, 0x10001, v210
	v_mul_u32_u24_e32 v166, 0x10001, v166
	v_mul_u32_u24_e32 v168, 0x10001, v168
	v_mul_u32_u24_e32 v165, 0x10001, v165
	v_mul_u32_u24_e32 v153, 0x10001, v153
	v_mul_u32_u24_e32 v167, 0x10001, v167
	v_mul_u32_u24_e32 v145, 0x10001, v145
	v_mul_u32_u24_e32 v160, 0x10001, v160
	v_mul_u32_u24_e32 v191, 0x10001, v191
	v_mul_u32_u24_e32 v126, 0x10001, v126
	v_mul_u32_u24_e32 v208, 0x10001, v208
	v_mul_u32_u24_e32 v127, 0x10001, v127
	v_mul_u32_u24_e32 v230, 0x10001, v230
	v_mul_u32_u24_e32 v147, 0x10001, v147
	v_mul_u32_u24_e32 v162, 0x10001, v162
	v_mul_u32_u24_e32 v151, 0x10001, v151
	v_mul_u32_u24_e32 v200, 0x10001, v200
	v_mul_u32_u24_e32 v190, 0x10001, v190
	v_mul_u32_u24_e32 v201, 0x10001, v201
	v_mul_u32_u24_e32 v146, 0x10001, v146
	v_mul_u32_u24_e32 v202, 0x10001, v202
	v_mul_u32_u24_e32 v199, 0x10001, v199
	v_mul_u32_u24_e32 v213, 0x10001, v213
	v_mul_u32_u24_e32 v133, 0x10001, v133
	v_mul_u32_u24_e32 v214, 0x10001, v214
	v_mul_u32_u24_e32 v212, 0x10001, v212
	v_mul_u32_u24_e32 v206, 0x10001, v206
	v_mul_u32_u24_e32 v211, 0x10001, v211
	v_mul_u32_u24_e32 v129, 0x10001, v129
	v_mul_u32_u24_e32 v207, 0x10001, v207
	v_mul_u32_u24_e32 v130, 0x10001, v130
	v_mul_u32_u24_e32 v128, 0x10001, v128
	v_mul_u32_u24_e32 v131, 0x10001, v131
	v_mul_u32_u24_e32 v180, 0x10001, v180
	v_mul_u32_u24_e32 v164, 0x10001, v164
	v_mul_u32_u24_e32 v163, 0x10001, v163
	v_mul_u32_u24_e32 v134, 0x10001, v134
	v_mul_u32_u24_e32 v169, 0x10001, v169
	v_mul_u32_u24_e32 v139, 0x10001, v139
	v_mul_u32_u24_e32 v132, 0x10001, v132
	v_mul_u32_u24_e32 v179, 0x10001, v179
	v_mul_u32_u24_e32 v173, 0x10001, v173
	v_mul_u32_u24_e32 v178, 0x10001, v178
	v_mul_u32_u24_e32 v143, 0x10001, v143
	v_mul_u32_u24_e32 v174, 0x10001, v174
	v_mul_u32_u24_e32 v144, 0x10001, v144
	v_mul_u32_u24_e32 v141, 0x10001, v141
	scratch_load_b32 v114, off, off offset:104 th:TH_LOAD_LU ; 4-byte Folded Reload
	s_wait_loadcnt 0x2
	v_mul_u32_u24_e32 v140, 0x10001, v140
	s_wait_loadcnt 0x1
	v_mul_u32_u24_e32 v136, 0x10001, v136
	s_delay_alu instid0(VALU_DEP_1)
	v_pk_fma_f16 v112, v99, v136, v124
	v_pk_fma_f16 v124, v98, v136, v125
	v_pk_fma_f16 v136, v98, v140, v96
	scratch_load_b32 v96, off, off offset:108 th:TH_LOAD_LU ; 4-byte Folded Reload
	v_pk_fma_f16 v125, v99, v140, v97
	v_and_b32_e32 v140, 0xffff, v115
	scratch_load_b32 v115, off, off offset:88 th:TH_LOAD_LU ; 4-byte Folded Reload
	v_mul_u32_u24_e32 v140, 0x10001, v140
	s_wait_loadcnt 0x2
	v_mul_u32_u24_e32 v114, 0x10001, v114
	s_wait_loadcnt 0x1
	v_mul_u32_u24_e32 v113, 0x10001, v96
	ds_load_b128 v[96:99], v137 offset:35200
	v_pk_fma_f16 v112, v85, v113, v112
	v_pk_fma_f16 v113, v84, v113, v124
	scratch_load_b32 v124, off, off offset:84 th:TH_LOAD_LU ; 4-byte Folded Reload
	s_wait_loadcnt 0x1
	v_mul_u32_u24_e32 v115, 0x10001, v115
	v_pk_fma_f16 v85, v85, v114, v125
	v_pk_fma_f16 v84, v84, v114, v136
	v_and_b32_e32 v136, 0xffff, v103
	v_mul_u32_u24_e32 v103, 0x10001, v246
	v_pk_fma_f16 v100, v87, v115, v112
	v_pk_fma_f16 v112, v86, v115, v113
	s_delay_alu instid0(VALU_DEP_4) | instskip(NEXT) | instid1(VALU_DEP_3)
	v_mul_u32_u24_e32 v136, 0x10001, v136
	v_pk_fma_f16 v100, v69, v101, v100
	s_delay_alu instid0(VALU_DEP_3) | instskip(SKIP_3) | instid1(VALU_DEP_1)
	v_pk_fma_f16 v101, v68, v101, v112
	v_mul_u32_u24_e32 v112, 0x10001, v245
	s_wait_loadcnt 0x0
	v_mul_u32_u24_e32 v124, 0x10001, v124
	v_pk_fma_f16 v113, v87, v124, v85
	v_pk_fma_f16 v114, v86, v124, v84
	ds_load_b128 v[84:87], v137 offset:35216
	s_wait_dscnt 0x1
	v_lshrrev_b32_e32 v247, 16, v96
	v_and_b32_e32 v245, 0xffff, v96
	v_pk_fma_f16 v69, v69, v102, v113
	v_pk_fma_f16 v68, v68, v102, v114
	;; [unrolled: 1-line block ×4, first 2 shown]
	v_lshrrev_b32_e32 v246, 16, v97
	v_pk_fma_f16 v101, v71, v112, v69
	v_pk_fma_f16 v102, v70, v112, v68
	v_and_b32_e32 v154, 0xffff, v97
	v_lshrrev_b32_e32 v124, 16, v98
	v_and_b32_e32 v156, 0xffff, v98
	v_mul_u32_u24_e32 v97, 0x10001, v243
	v_mul_u32_u24_e32 v98, 0x10001, v242
	v_lshrrev_b32_e32 v243, 16, v99
	v_and_b32_e32 v125, 0xffff, v99
	v_mul_u32_u24_e32 v99, 0x10001, v240
	v_pk_fma_f16 v96, v61, v97, v96
	v_pk_fma_f16 v97, v60, v97, v100
	v_mul_u32_u24_e32 v100, 0x10001, v234
	v_pk_fma_f16 v61, v61, v98, v101
	v_pk_fma_f16 v60, v60, v98, v102
	s_wait_dscnt 0x0
	v_lshrrev_b32_e32 v242, 16, v84
	v_and_b32_e32 v158, 0xffff, v84
	v_pk_fma_f16 v84, v63, v99, v96
	v_pk_fma_f16 v96, v62, v99, v97
	;; [unrolled: 1-line block ×4, first 2 shown]
	v_mul_u32_u24_e32 v62, 0x10001, v235
	v_mul_u32_u24_e32 v63, 0x10001, v224
	v_lshrrev_b32_e32 v142, 16, v85
	v_and_b32_e32 v157, 0xffff, v85
	v_lshrrev_b32_e32 v240, 16, v86
	v_and_b32_e32 v155, 0xffff, v86
	v_mul_u32_u24_e32 v85, 0x10001, v181
	v_pk_fma_f16 v84, v33, v62, v84
	v_pk_fma_f16 v62, v32, v62, v96
	v_mul_u32_u24_e32 v86, 0x10001, v227
	v_pk_fma_f16 v33, v33, v63, v61
	v_pk_fma_f16 v32, v32, v63, v60
	;; [unrolled: 1-line block ×4, first 2 shown]
	v_mul_u32_u24_e32 v62, 0x10001, v225
	v_pk_fma_f16 v33, v35, v86, v33
	v_pk_fma_f16 v32, v34, v86, v32
	v_mul_u32_u24_e32 v34, 0x10001, v216
	v_mul_u32_u24_e32 v35, 0x10001, v222
	v_pk_fma_f16 v60, v29, v62, v60
	v_pk_fma_f16 v61, v28, v62, v61
	v_mul_u32_u24_e32 v62, 0x10001, v215
	v_pk_fma_f16 v29, v29, v34, v33
	v_pk_fma_f16 v28, v28, v34, v32
	;; [unrolled: 1-line block ×4, first 2 shown]
	v_mul_u32_u24_e32 v34, 0x10001, v177
	v_mul_u32_u24_e32 v35, 0x10001, v228
	v_pk_fma_f16 v29, v31, v62, v29
	v_pk_fma_f16 v28, v30, v62, v28
	v_mul_u32_u24_e32 v30, 0x10001, v182
	v_mul_u32_u24_e32 v31, 0x10001, v185
	v_pk_fma_f16 v170, v25, v34, v32
	v_pk_fma_f16 v25, v25, v35, v29
	;; [unrolled: 1-line block ×4, first 2 shown]
	v_lshrrev_b32_e32 v234, 16, v87
	v_and_b32_e32 v235, 0xffff, v87
	ds_load_2addr_b64 v[84:87], v159 offset1:32
	ds_load_2addr_b64 v[96:99], v159 offset0:64 offset1:96
	ds_load_2addr_b64 v[60:63], v159 offset0:128 offset1:160
	;; [unrolled: 1-line block ×3, first 2 shown]
	v_mul_u32_u24_e32 v159, 0x10001, v226
	v_pk_fma_f16 v170, v27, v30, v170
	v_pk_fma_f16 v25, v27, v31, v25
	v_pk_fma_f16 v27, v26, v30, v29
	v_pk_fma_f16 v24, v26, v31, v24
	v_mul_u32_u24_e32 v177, 0x10001, v220
	v_mul_u32_u24_e32 v181, 0x10001, v217
	v_pk_fma_f16 v170, v21, v159, v170
	v_pk_fma_f16 v21, v21, v171, v25
	v_pk_fma_f16 v159, v20, v159, v27
	v_pk_fma_f16 v20, v20, v171, v24
	v_mul_u32_u24_e32 v171, 0x10001, v176
	;; [unrolled: 6-line block ×4, first 2 shown]
	v_pk_fma_f16 v170, v19, v181, v170
	v_pk_fma_f16 v176, v19, v185, v17
	;; [unrolled: 1-line block ×4, first 2 shown]
	v_mul_u32_u24_e32 v177, 0x10001, v218
	ds_load_2addr_b64 v[68:71], v189 offset0:64 offset1:96
	ds_load_2addr_b64 v[100:103], v189 offset0:128 offset1:160
	;; [unrolled: 1-line block ×3, first 2 shown]
	ds_load_2addr_b64 v[28:31], v150 offset1:32
	ds_load_2addr_b64 v[24:27], v150 offset0:64 offset1:96
	ds_load_2addr_b64 v[20:23], v150 offset0:128 offset1:160
	ds_load_b128 v[222:225], v137 offset:35232
	ds_load_b128 v[226:229], v137 offset:35248
	v_pk_fma_f16 v170, v13, v171, v170
	v_pk_fma_f16 v171, v12, v171, v17
	ds_load_2addr_b64 v[16:19], v150 offset0:192 offset1:224
	v_mul_u32_u24_e32 v150, 0x10001, v221
	v_mul_u32_u24_e32 v181, 0x10001, v219
	v_pk_fma_f16 v12, v12, v177, v159
	v_pk_fma_f16 v13, v13, v177, v176
	v_mul_u32_u24_e32 v176, 0x10001, v183
	v_pk_fma_f16 v159, v15, v150, v170
	v_pk_fma_f16 v150, v14, v150, v171
	;; [unrolled: 3-line block ×3, first 2 shown]
	v_pk_fma_f16 v159, v1, v172, v159
	v_pk_fma_f16 v150, v0, v172, v150
	v_mul_u32_u24_e32 v172, 0x10001, v184
	v_pk_fma_f16 v0, v0, v170, v175
	ds_load_b128 v[12:15], v137 offset:35264
	ds_load_b128 v[215:218], v137 offset:35280
	s_clause 0x2
	scratch_load_b32 v183, off, off offset:112 th:TH_LOAD_LU
	scratch_load_b32 v192, off, off offset:100 th:TH_LOAD_LU
	scratch_load_b32 v193, off, off offset:96 th:TH_LOAD_LU
	v_pk_fma_f16 v159, v3, v172, v159
	v_pk_fma_f16 v150, v2, v172, v150
	v_pk_fma_f16 v0, v2, v176, v0
	v_mul_u32_u24_e32 v2, 0x10001, v205
	v_pk_fma_f16 v1, v1, v170, v171
	s_wait_dscnt 0x4
	v_lshrrev_b32_e32 v170, 16, v222
	v_and_b32_e32 v171, 0xffff, v222
	ds_load_b128 v[219:222], v137 offset:35296
	v_pk_fma_f16 v159, v9, v2, v159
	v_pk_fma_f16 v2, v8, v2, v150
	scratch_load_b32 v150, off, off offset:120 th:TH_LOAD_LU ; 4-byte Folded Reload
	v_pk_fma_f16 v1, v3, v176, v1
	v_mul_u32_u24_e32 v3, 0x10001, v203
	v_lshrrev_b32_e32 v176, 16, v224
	v_and_b32_e32 v177, 0xffff, v224
	s_wait_dscnt 0x2
	v_lshrrev_b32_e32 v195, 16, v14
	v_and_b32_e32 v197, 0xffff, v14
	v_pk_fma_f16 v1, v9, v3, v1
	v_pk_fma_f16 v0, v8, v3, v0
	v_lshrrev_b32_e32 v194, 16, v12
	v_lshrrev_b32_e32 v198, 16, v15
	v_and_b32_e32 v203, 0xffff, v15
	v_lshrrev_b32_e32 v181, 16, v225
	v_and_b32_e32 v182, 0xffff, v225
	v_lshrrev_b32_e32 v184, 16, v226
	v_lshrrev_b32_e32 v185, 16, v228
	v_and_b32_e32 v186, 0xffff, v228
	v_mul_u32_u24_e32 v228, 0x10001, v233
	v_lshrrev_b32_e32 v187, 16, v229
	v_and_b32_e32 v188, 0xffff, v229
	v_mul_u32_u24_e32 v229, 0x10001, v249
	v_mul_u32_u24_e32 v233, 0x10001, v254
	;; [unrolled: 1-line block ×9, first 2 shown]
	v_lshrrev_b32_e32 v172, 16, v223
	v_and_b32_e32 v175, 0xffff, v223
	s_wait_dscnt 0x1
	v_lshrrev_b32_e32 v204, 16, v215
	v_and_b32_e32 v205, 0xffff, v215
	v_lshrrev_b32_e32 v215, 16, v216
	v_lshrrev_b32_e32 v223, 16, v217
	v_and_b32_e32 v216, 0xffff, v216
	v_and_b32_e32 v217, 0xffff, v217
	scratch_load_b32 v14, off, off offset:72 th:TH_LOAD_LU ; 4-byte Folded Reload
	s_wait_loadcnt 0x4
	v_mul_u32_u24_e32 v183, 0x10001, v183
	s_wait_loadcnt 0x3
	v_mul_u32_u24_e32 v192, 0x10001, v192
	s_wait_loadcnt 0x2
	v_mul_u32_u24_e32 v193, 0x10001, v193
	v_pk_fma_f16 v8, v11, v183, v1
	v_pk_fma_f16 v9, v10, v183, v0
	s_clause 0x1
	scratch_load_b32 v0, off, off offset:132 th:TH_LOAD_LU
	scratch_load_b32 v1, off, off offset:116 th:TH_LOAD_LU
	v_and_b32_e32 v183, 0xffff, v227
	s_wait_loadcnt 0x3
	v_mul_u32_u24_e32 v150, 0x10001, v150
	s_delay_alu instid0(VALU_DEP_1)
	v_pk_fma_f16 v3, v11, v150, v159
	v_pk_fma_f16 v2, v10, v150, v2
	v_lshrrev_b32_e32 v159, 16, v227
	scratch_load_b32 v227, off, off offset:56 th:TH_LOAD_LU ; 4-byte Folded Reload
	v_and_b32_e32 v150, 0xffff, v226
	s_wait_loadcnt 0x3
	v_mul_u32_u24_e32 v14, 0x10001, v14
	s_wait_loadcnt 0x2
	v_mul_u32_u24_e32 v0, 0x10001, v0
	s_wait_loadcnt 0x1
	v_mul_u32_u24_e32 v10, 0x10001, v1
	s_delay_alu instid0(VALU_DEP_2) | instskip(SKIP_1) | instid1(VALU_DEP_3)
	v_pk_fma_f16 v11, v5, v0, v3
	v_pk_fma_f16 v189, v4, v0, v2
	;; [unrolled: 1-line block ×4, first 2 shown]
	s_delay_alu instid0(VALU_DEP_4) | instskip(NEXT) | instid1(VALU_DEP_4)
	v_pk_fma_f16 v8, v7, v192, v11
	v_pk_fma_f16 v9, v6, v192, v189
	s_delay_alu instid0(VALU_DEP_4) | instskip(NEXT) | instid1(VALU_DEP_4)
	v_pk_fma_f16 v10, v7, v193, v5
	v_pk_fma_f16 v11, v6, v193, v4
	s_clause 0x1
	scratch_load_b32 v4, off, off offset:92 th:TH_LOAD_LU
	scratch_load_b32 v5, off, off offset:80 th:TH_LOAD_LU
	v_lshrrev_b32_e32 v192, 16, v13
	v_and_b32_e32 v193, 0xffff, v13
	scratch_load_b32 v13, off, off offset:76 th:TH_LOAD_LU ; 4-byte Folded Reload
	v_and_b32_e32 v189, 0xffff, v12
	s_wait_loadcnt 0x2
	v_mul_u32_u24_e32 v4, 0x10001, v4
	s_wait_loadcnt 0x1
	v_mul_u32_u24_e32 v12, 0x10001, v5
	;; [unrolled: 2-line block ×3, first 2 shown]
	v_pk_fma_f16 v8, v105, v4, v8
	v_pk_fma_f16 v9, v104, v4, v9
	;; [unrolled: 1-line block ×4, first 2 shown]
	v_mul_u32_u24_e32 v104, 0x10001, v209
	v_pk_fma_f16 v12, v107, v13, v8
	v_pk_fma_f16 v13, v106, v13, v9
	;; [unrolled: 1-line block ×4, first 2 shown]
	v_mul_u32_u24_e32 v105, 0x10001, v152
	v_pk_fma_f16 v12, v121, v104, v12
	v_pk_fma_f16 v13, v120, v104, v13
	v_mul_u32_u24_e32 v104, 0x10001, v231
	v_mul_u32_u24_e32 v106, 0x10001, v196
	v_pk_fma_f16 v15, v121, v105, v15
	v_pk_fma_f16 v14, v120, v105, v14
	ds_load_b128 v[8:11], v137 offset:35312
	v_pk_fma_f16 v105, v123, v104, v12
	v_pk_fma_f16 v104, v122, v104, v13
	;; [unrolled: 1-line block ×4, first 2 shown]
	s_wait_dscnt 0x1
	v_lshrrev_b32_e32 v121, 16, v220
	v_and_b32_e32 v122, 0xffff, v220
	v_pk_fma_f16 v104, v88, v161, v104
	v_lshrrev_b32_e32 v123, 16, v221
	v_pk_fma_f16 v88, v88, v210, v106
	scratch_load_b32 v106, off, off offset:60 th:TH_LOAD_LU ; 4-byte Folded Reload
	v_and_b32_e32 v152, 0xffff, v221
	v_pk_fma_f16 v105, v89, v161, v105
	v_mul_u32_u24_e32 v220, 0x10001, v237
	v_mul_u32_u24_e32 v221, 0x10001, v236
	v_pk_fma_f16 v89, v89, v210, v107
	scratch_load_b32 v236, off, off offset:68 th:TH_LOAD_LU ; 4-byte Folded Reload
	v_lshrrev_b32_e32 v137, 16, v219
	v_pk_fma_f16 v105, v91, v220, v105
	v_pk_fma_f16 v104, v90, v220, v104
	v_pk_fma_f16 v89, v91, v221, v89
	v_mul_u32_u24_e32 v91, 0x10001, v232
	scratch_load_b32 v232, off, off offset:52 th:TH_LOAD_LU ; 4-byte Folded Reload
	v_pk_fma_f16 v88, v90, v221, v88
	v_mul_u32_u24_e32 v90, 0x10001, v241
	ds_load_2addr_b64 v[0:3], v227 offset1:32
	ds_load_2addr_b64 v[4:7], v227 offset0:64 offset1:96
	v_and_b32_e32 v120, 0xffff, v219
	v_lshrrev_b32_e32 v196, 16, v222
	v_pk_fma_f16 v105, v77, v90, v105
	v_pk_fma_f16 v90, v76, v90, v104
	v_mul_u32_u24_e32 v104, 0x10001, v239
	v_pk_fma_f16 v77, v77, v91, v89
	v_pk_fma_f16 v76, v76, v91, v88
	v_and_b32_e32 v219, 0xffff, v222
	ds_load_2addr_b64 v[12:15], v227 offset0:128 offset1:160
	s_wait_dscnt 0x3
	v_lshrrev_b32_e32 v161, 16, v8
	v_and_b32_e32 v210, 0xffff, v8
	v_lshrrev_b32_e32 v220, 16, v9
	v_and_b32_e32 v221, 0xffff, v9
	;; [unrolled: 2-line block ×4, first 2 shown]
	ds_load_2addr_b64 v[8:11], v227 offset0:192 offset1:224
	v_mul_u32_u24_e32 v107, 0x10001, v244
	v_pk_fma_f16 v227, v79, v104, v77
	v_pk_fma_f16 v104, v78, v104, v76
	v_mul_u32_u24_e32 v231, 0x10001, v238
	v_mul_u32_u24_e32 v237, 0x10001, v251
	;; [unrolled: 1-line block ×6, first 2 shown]
	v_lshrrev_b32_e32 v209, 16, v218
	v_and_b32_e32 v218, 0xffff, v218
	s_wait_loadcnt 0x2
	v_mul_u32_u24_e32 v106, 0x10001, v106
	s_delay_alu instid0(VALU_DEP_1) | instskip(SKIP_3) | instid1(VALU_DEP_3)
	v_pk_fma_f16 v105, v79, v106, v105
	v_pk_fma_f16 v106, v78, v106, v90
	s_wait_loadcnt 0x1
	v_mul_u32_u24_e32 v236, 0x10001, v236
	v_pk_fma_f16 v105, v73, v107, v105
	s_delay_alu instid0(VALU_DEP_3)
	v_pk_fma_f16 v106, v72, v107, v106
	v_pk_fma_f16 v73, v73, v228, v227
	v_pk_fma_f16 v72, v72, v228, v104
	s_wait_loadcnt 0x0
	ds_load_2addr_b64 v[88:91], v232 offset1:32
	ds_load_2addr_b64 v[76:79], v232 offset0:64 offset1:96
	v_pk_fma_f16 v227, v75, v229, v105
	v_pk_fma_f16 v228, v74, v229, v106
	ds_load_2addr_b64 v[104:107], v232 offset0:128 offset1:160
	v_pk_fma_f16 v229, v75, v231, v73
	v_pk_fma_f16 v231, v74, v231, v72
	ds_load_2addr_b64 v[72:75], v232 offset0:192 offset1:224
	scratch_load_b32 v232, off, off offset:64 th:TH_LOAD_LU ; 4-byte Folded Reload
	s_wait_loadcnt 0x0
	v_mul_u32_u24_e32 v232, 0x10001, v232
	s_delay_alu instid0(VALU_DEP_1) | instskip(SKIP_3) | instid1(VALU_DEP_4)
	v_pk_fma_f16 v227, v37, v232, v227
	v_pk_fma_f16 v37, v37, v233, v229
	;; [unrolled: 1-line block ×5, first 2 shown]
	s_delay_alu instid0(VALU_DEP_4) | instskip(NEXT) | instid1(VALU_DEP_4)
	v_pk_fma_f16 v37, v39, v236, v37
	v_pk_fma_f16 v39, v38, v166, v228
	s_delay_alu instid0(VALU_DEP_4)
	v_pk_fma_f16 v36, v38, v236, v36
	v_mul_u32_u24_e32 v38, 0x10001, v243
	v_pk_fma_f16 v166, v57, v168, v227
	v_pk_fma_f16 v37, v57, v165, v37
	v_pk_fma_f16 v39, v56, v168, v39
	v_pk_fma_f16 v36, v56, v165, v36
	v_mul_u32_u24_e32 v56, 0x10001, v158
	v_pk_fma_f16 v57, v59, v153, v166
	v_pk_fma_f16 v37, v59, v167, v37
	v_pk_fma_f16 v39, v58, v153, v39
	;; [unrolled: 5-line block ×42, first 2 shown]
	v_pk_fma_f16 v16, v18, v68, v16
	v_mul_u32_u24_e32 v18, 0x10001, v137
	s_wait_dscnt 0x7
	v_pk_fma_f16 v21, v1, v69, v23
	v_pk_fma_f16 v1, v1, v70, v17
	v_pk_fma_f16 v17, v0, v69, v19
	v_pk_fma_f16 v0, v0, v70, v16
	v_mul_u32_u24_e32 v16, 0x10001, v122
	v_pk_fma_f16 v19, v3, v71, v21
	v_pk_fma_f16 v1, v3, v80, v1
	v_pk_fma_f16 v3, v2, v71, v17
	v_pk_fma_f16 v0, v2, v80, v0
	v_mul_u32_u24_e32 v2, 0x10001, v121
	s_wait_dscnt 0x6
	v_pk_fma_f16 v17, v5, v81, v19
	v_pk_fma_f16 v1, v5, v38, v1
	v_pk_fma_f16 v3, v4, v81, v3
	v_pk_fma_f16 v0, v4, v38, v0
	v_mul_u32_u24_e32 v4, 0x10001, v152
	v_pk_fma_f16 v5, v7, v56, v17
	v_pk_fma_f16 v1, v7, v48, v1
	v_pk_fma_f16 v3, v6, v56, v3
	;; [unrolled: 11-line block ×6, first 2 shown]
	v_pk_fma_f16 v0, v78, v12, v0
	scratch_load_b32 v55, off, off offset:48 th:TH_LOAD_LU ; 4-byte Folded Reload
	s_wait_dscnt 0x1
	v_pk_fma_f16 v5, v105, v8, v5
	v_pk_fma_f16 v1, v105, v9, v1
	;; [unrolled: 1-line block ×4, first 2 shown]
	s_wait_storecnt 0x0
	s_wait_loadcnt_dscnt 0x0
	s_barrier_signal -1
	v_pk_fma_f16 v1, v107, v2, v1
	s_barrier_wait -1
	v_pk_fma_f16 v0, v106, v2, v0
	v_mul_u32_u24_e32 v2, 0x10001, v225
	global_inv scope:SCOPE_SE
	v_pk_fma_f16 v1, v73, v6, v1
	scratch_load_b32 v168, off, off offset:20 ; 4-byte Folded Reload
	v_pk_fma_f16 v0, v72, v6, v0
	s_clause 0x1
	scratch_load_b32 v167, off, off offset:16
	scratch_load_b32 v170, off, off offset:24
	v_pk_fma_f16 v5, v107, v10, v5
	v_pk_fma_f16 v35, v75, v2, v1
	v_pk_fma_f16 v3, v106, v10, v3
	v_pk_fma_f16 v88, v74, v2, v0
	s_clause 0x4
	scratch_load_b32 v2, off, off offset:28
	scratch_load_b32 v1, off, off offset:32
	;; [unrolled: 1-line block ×5, first 2 shown]
	v_mul_u32_u24_e32 v4, 0x10001, v224
	v_mul_u32_u24_e32 v7, 0x10001, v226
	v_mov_b32_e32 v8, 32
	s_delay_alu instid0(VALU_DEP_3) | instskip(SKIP_1) | instid1(VALU_DEP_2)
	v_pk_fma_f16 v5, v73, v4, v5
	v_pk_fma_f16 v3, v72, v4, v3
	;; [unrolled: 1-line block ×3, first 2 shown]
	v_mov_b32_e32 v4, v148
	s_delay_alu instid0(VALU_DEP_3)
	v_pk_fma_f16 v89, v74, v7, v3
	v_mov_b32_e32 v5, v149
	v_mbcnt_lo_u32_b32 v7, -1, 0
	s_wait_loadcnt 0x7
	v_or_b32_e32 v166, 1, v168
.LBB88_138:
	s_wait_loadcnt 0x3
	v_cmp_lt_i32_e32 vcc_lo, v1, v8
	s_cmp_eq_u64 s[16:17], 0
	v_lshlrev_b32_e32 v20, 2, v135
	s_cselect_b32 s2, -1, 0
	s_cmp_lg_u32 s18, 0
	s_wait_alu 0xfffd
	v_cndmask_b32_e32 v0, v7, v1, vcc_lo
	v_cmp_lt_i32_e32 vcc_lo, v2, v8
	s_cselect_b32 s3, -1, 0
	s_wait_alu 0xfffe
	s_or_b32 s2, s3, s2
	v_lshlrev_b32_e32 v0, 2, v0
	s_wait_alu 0xfffd
	v_cndmask_b32_e32 v2, v7, v2, vcc_lo
	s_wait_loadcnt 0x2
	v_cmp_lt_i32_e32 vcc_lo, v6, v8
	ds_bpermute_b32 v1, v0, v138
	v_lshlrev_b32_e32 v2, 2, v2
	s_wait_alu 0xfffd
	v_cndmask_b32_e32 v6, v7, v6, vcc_lo
	s_wait_loadcnt 0x1
	v_cmp_lt_i32_e32 vcc_lo, v9, v8
	s_wait_dscnt 0x0
	s_delay_alu instid0(VALU_DEP_2)
	v_dual_add_f32 v1, v138, v1 :: v_dual_lshlrev_b32 v6, 2, v6
	ds_bpermute_b32 v0, v0, v55
	ds_bpermute_b32 v3, v2, v1
	s_wait_dscnt 0x0
	v_dual_add_f32 v1, v1, v3 :: v_dual_add_f32 v0, v55, v0
	ds_bpermute_b32 v2, v2, v0
	s_wait_dscnt 0x0
	v_add_f32_e32 v0, v0, v2
	ds_bpermute_b32 v2, v6, v1
	ds_bpermute_b32 v3, v6, v0
	s_wait_dscnt 0x1
	s_wait_alu 0xfffd
	v_dual_add_f32 v1, v1, v2 :: v_dual_cndmask_b32 v6, v7, v9
	s_wait_loadcnt 0x0
	v_cmp_lt_i32_e32 vcc_lo, v10, v8
	s_wait_dscnt 0x0
	v_add_f32_e32 v0, v0, v3
	v_lshlrev_b32_e32 v6, 2, v6
	ds_bpermute_b32 v2, v6, v1
	ds_bpermute_b32 v3, v6, v0
	s_wait_alu 0xfffd
	v_cndmask_b32_e32 v6, v7, v10, vcc_lo
	s_wait_alu 0xfffe
	s_and_b32 vcc_lo, exec_lo, s2
	s_delay_alu instid0(VALU_DEP_1)
	v_lshlrev_b32_e32 v6, 2, v6
	s_wait_dscnt 0x0
	v_dual_add_f32 v1, v1, v2 :: v_dual_add_f32 v2, v0, v3
	ds_bpermute_b32 v0, v6, v1
	ds_bpermute_b32 v3, v6, v2
	s_wait_dscnt 0x0
	v_dual_add_f32 v0, v1, v0 :: v_dual_add_f32 v1, v2, v3
	s_wait_alu 0xfffe
	s_cbranch_vccnz .LBB88_140
; %bb.139:
	v_dual_mov_b32 v2, 0 :: v_dual_max_num_f32 v3, v4, v4
	s_lshl_b64 s[2:3], s[28:29], 2
	v_max_num_f32_e32 v8, v5, v5
	s_wait_alu 0xfffe
	s_add_nc_u64 s[2:3], s[16:17], s[2:3]
	global_load_b32 v2, v2, s[2:3]
	s_wait_loadcnt 0x0
	v_max_num_f32_e32 v7, v2, v2
	s_delay_alu instid0(VALU_DEP_1) | instskip(SKIP_1) | instid1(VALU_DEP_2)
	v_max_num_f32_e32 v6, v3, v7
	v_max_num_f32_e32 v7, v8, v7
	v_sub_f32_e32 v3, v4, v6
	v_sub_f32_e32 v4, v2, v6
	s_delay_alu instid0(VALU_DEP_3) | instskip(NEXT) | instid1(VALU_DEP_2)
	v_sub_f32_e32 v8, v2, v7
	v_dual_mul_f32 v2, 0x3fb8aa3b, v3 :: v_dual_mul_f32 v9, 0x3fb8aa3b, v4
	s_delay_alu instid0(VALU_DEP_2) | instskip(SKIP_1) | instid1(VALU_DEP_3)
	v_mul_f32_e32 v11, 0x3fb8aa3b, v8
	v_cmp_ngt_f32_e32 vcc_lo, 0xc2ce8ed0, v3
	v_rndne_f32_e32 v13, v2
	v_sub_f32_e32 v5, v5, v7
	v_fma_f32 v14, 0x3fb8aa3b, v4, -v9
	v_rndne_f32_e32 v15, v9
	v_fma_f32 v12, 0x3fb8aa3b, v3, -v2
	v_rndne_f32_e32 v19, v11
	v_sub_f32_e32 v2, v2, v13
	s_delay_alu instid0(VALU_DEP_4)
	v_dual_mul_f32 v10, 0x3fb8aa3b, v5 :: v_dual_sub_f32 v9, v9, v15
	v_fmac_f32_e32 v14, 0x32a5705f, v4
	v_fma_f32 v18, 0x3fb8aa3b, v8, -v11
	v_sub_f32_e32 v11, v11, v19
	v_fmac_f32_e32 v12, 0x32a5705f, v3
	v_fma_f32 v16, 0x3fb8aa3b, v5, -v10
	v_add_f32_e32 v9, v9, v14
	v_rndne_f32_e32 v17, v10
	s_delay_alu instid0(VALU_DEP_4) | instskip(SKIP_1) | instid1(VALU_DEP_4)
	v_add_f32_e32 v2, v2, v12
	v_cvt_i32_f32_e32 v12, v13
	v_exp_f32_e32 v9, v9
	v_cvt_i32_f32_e32 v13, v15
	v_cvt_i32_f32_e32 v15, v19
	v_exp_f32_e32 v2, v2
	v_cvt_i32_f32_e32 v14, v17
	s_delay_alu instid0(TRANS32_DEP_2) | instid1(VALU_DEP_3)
	v_ldexp_f32 v9, v9, v13
	v_fmac_f32_e32 v18, 0x32a5705f, v8
	v_fmac_f32_e32 v16, 0x32a5705f, v5
	s_delay_alu instid0(TRANS32_DEP_1) | instskip(NEXT) | instid1(VALU_DEP_3)
	v_ldexp_f32 v2, v2, v12
	v_add_f32_e32 v11, v11, v18
	s_wait_alu 0xfffd
	s_delay_alu instid0(VALU_DEP_2) | instskip(SKIP_1) | instid1(VALU_DEP_3)
	v_cndmask_b32_e32 v2, 0, v2, vcc_lo
	v_cmp_ngt_f32_e32 vcc_lo, 0xc2ce8ed0, v5
	v_exp_f32_e32 v11, v11
	s_delay_alu instid0(TRANS32_DEP_1) | instskip(SKIP_1) | instid1(VALU_DEP_1)
	v_ldexp_f32 v11, v11, v15
	v_sub_f32_e32 v10, v10, v17
	v_add_f32_e32 v10, v10, v16
	s_delay_alu instid0(VALU_DEP_1) | instskip(NEXT) | instid1(TRANS32_DEP_1)
	v_exp_f32_e32 v10, v10
	v_ldexp_f32 v10, v10, v14
	s_wait_alu 0xfffd
	s_delay_alu instid0(VALU_DEP_1)
	v_cndmask_b32_e32 v10, 0, v10, vcc_lo
	v_cmp_ngt_f32_e32 vcc_lo, 0xc2ce8ed0, v4
	s_wait_alu 0xfffd
	v_cndmask_b32_e32 v9, 0, v9, vcc_lo
	v_cmp_nlt_f32_e32 vcc_lo, 0x42b17218, v3
	s_wait_alu 0xfffd
	v_cndmask_b32_e32 v12, 0x7f800000, v2, vcc_lo
	v_cmp_nlt_f32_e32 vcc_lo, 0x42b17218, v5
	s_wait_alu 0xfffd
	v_cndmask_b32_e32 v5, 0x7f800000, v10, vcc_lo
	v_cmp_ngt_f32_e32 vcc_lo, 0xc2ce8ed0, v8
	v_cvt_f16_f32_e32 v10, v12
	s_wait_alu 0xfffd
	v_cndmask_b32_e32 v3, 0, v11, vcc_lo
	v_cmp_nlt_f32_e32 vcc_lo, 0x42b17218, v4
	v_cvt_f16_f32_e32 v4, v5
	s_wait_alu 0xfffd
	v_cndmask_b32_e32 v2, 0x7f800000, v9, vcc_lo
	v_cmp_nlt_f32_e32 vcc_lo, 0x42b17218, v8
	v_and_b32_e32 v8, 0xffff, v10
	v_and_b32_e32 v4, 0xffff, v4
	s_wait_alu 0xfffd
	v_cndmask_b32_e32 v3, 0x7f800000, v3, vcc_lo
	s_delay_alu instid0(VALU_DEP_2) | instskip(NEXT) | instid1(VALU_DEP_2)
	v_mul_u32_u24_e32 v4, 0x10001, v4
	v_fmac_f32_e32 v3, v1, v5
	v_mul_u32_u24_e32 v5, 0x10001, v8
	s_delay_alu instid0(VALU_DEP_3) | instskip(SKIP_1) | instid1(VALU_DEP_3)
	v_pk_mul_f16 v88, v88, v4
	v_pk_mul_f16 v35, v35, v4
	v_pk_mul_f16 v89, v89, v5
	v_pk_mul_f16 v38, v38, v5
	v_dual_mov_b32 v4, v6 :: v_dual_mov_b32 v5, v7
	v_fmac_f32_e32 v2, v0, v12
	s_delay_alu instid0(VALU_DEP_1)
	v_dual_mov_b32 v0, v2 :: v_dual_mov_b32 v1, v3
	s_mov_b32 s2, exec_lo
	v_cmpx_gt_i32_e64 s26, v170
	s_cbranch_execnz .LBB88_141
	s_branch .LBB88_150
.LBB88_140:
	s_delay_alu instid0(VALU_DEP_1)
	v_dual_mov_b32 v2, v0 :: v_dual_mov_b32 v3, v1
	s_mov_b32 s2, exec_lo
	v_cmpx_gt_i32_e64 s26, v170
	s_cbranch_execz .LBB88_150
.LBB88_141:
	s_load_b32 s1, s[0:1], 0xd4
	v_mov_b32_e32 v8, 1.0
	s_wait_kmcnt 0x0
	s_cmp_lg_u32 s1, 1
	s_cselect_b32 s4, -1, 0
	s_cmp_eq_u32 s1, 1
	s_cselect_b32 s2, -1, 0
	s_wait_alu 0xfffe
	s_and_b32 vcc_lo, exec_lo, s4
	s_wait_alu 0xfffe
	s_cbranch_vccnz .LBB88_143
; %bb.142:
	v_div_scale_f32 v6, null, v2, v2, 1.0
	s_delay_alu instid0(VALU_DEP_1) | instskip(NEXT) | instid1(TRANS32_DEP_1)
	v_rcp_f32_e32 v7, v6
	v_fma_f32 v8, -v6, v7, 1.0
	s_delay_alu instid0(VALU_DEP_1) | instskip(SKIP_1) | instid1(VALU_DEP_1)
	v_fmac_f32_e32 v7, v8, v7
	v_div_scale_f32 v8, vcc_lo, 1.0, v2, 1.0
	v_mul_f32_e32 v9, v8, v7
	s_delay_alu instid0(VALU_DEP_1) | instskip(NEXT) | instid1(VALU_DEP_1)
	v_fma_f32 v10, -v6, v9, v8
	v_fmac_f32_e32 v9, v10, v7
	s_delay_alu instid0(VALU_DEP_1) | instskip(SKIP_1) | instid1(VALU_DEP_1)
	v_fma_f32 v6, -v6, v9, v8
	s_wait_alu 0xfffd
	v_div_fmas_f32 v6, v6, v7, v9
	s_delay_alu instid0(VALU_DEP_1)
	v_div_fixup_f32 v8, v6, v2, 1.0
.LBB88_143:
	s_mul_i32 s3, s30, s26
	v_cvt_f32_f16_e32 v11, v89
	s_wait_alu 0xfffe
	s_add_co_i32 s3, s3, s33
	v_cvt_f32_f16_e32 v12, v38
	s_wait_alu 0xfffe
	v_add_nc_u32_e32 v2, s3, v168
	v_mov_b32_e32 v10, 0
	v_cmp_eq_u32_e32 vcc_lo, 0, v135
	s_delay_alu instid0(VALU_DEP_3) | instskip(SKIP_1) | instid1(VALU_DEP_1)
	v_mad_co_u64_u32 v[6:7], null, v2, s27, s[28:29]
	v_lshrrev_b32_e32 v2, 16, v89
	v_cvt_f32_f16_e32 v2, v2
	s_delay_alu instid0(VALU_DEP_3) | instskip(SKIP_1) | instid1(VALU_DEP_1)
	v_mad_co_u64_u32 v[6:7], null, s1, v6, s[18:19]
	v_lshrrev_b32_e32 v7, 16, v38
	v_cvt_f32_f16_e32 v7, v7
	s_delay_alu instid0(VALU_DEP_3) | instskip(NEXT) | instid1(VALU_DEP_1)
	v_lshl_add_u32 v9, v6, 7, v20
	v_lshlrev_b64_e32 v[13:14], 2, v[9:10]
	v_mul_f32_e32 v9, v8, v11
	v_mul_f32_e32 v11, v8, v12
	;; [unrolled: 1-line block ×4, first 2 shown]
	v_add_co_u32 v7, s0, s20, v13
	s_wait_alu 0xf1ff
	v_add_co_ci_u32_e64 v8, null, s21, v14, s0
	s_and_b32 s0, vcc_lo, s4
	global_store_b128 v[7:8], v[9:12], off
	s_wait_alu 0xfffe
	s_and_saveexec_b32 s4, s0
	s_cbranch_execz .LBB88_145
; %bb.144:
	v_ashrrev_i32_e32 v7, 31, v6
	v_dual_mov_b32 v8, v4 :: v_dual_mov_b32 v9, v0
	s_delay_alu instid0(VALU_DEP_2) | instskip(NEXT) | instid1(VALU_DEP_1)
	v_lshlrev_b64_e32 v[6:7], 3, v[6:7]
	v_add_co_u32 v6, vcc_lo, s22, v6
	s_wait_alu 0xfffd
	s_delay_alu instid0(VALU_DEP_2)
	v_add_co_ci_u32_e64 v7, null, s23, v7, vcc_lo
	global_store_b64 v[6:7], v[8:9], off
.LBB88_145:
	s_wait_alu 0xfffe
	s_or_b32 exec_lo, exec_lo, s4
	v_cmp_gt_i32_e32 vcc_lo, s26, v167
	s_and_b32 exec_lo, exec_lo, vcc_lo
	s_cbranch_execz .LBB88_150
; %bb.146:
	v_mov_b32_e32 v0, 1.0
	s_and_not1_b32 vcc_lo, exec_lo, s2
	s_wait_alu 0xfffe
	s_cbranch_vccnz .LBB88_148
; %bb.147:
	v_div_scale_f32 v0, null, v3, v3, 1.0
	s_delay_alu instid0(VALU_DEP_1) | instskip(NEXT) | instid1(TRANS32_DEP_1)
	v_rcp_f32_e32 v2, v0
	v_fma_f32 v4, -v0, v2, 1.0
	s_delay_alu instid0(VALU_DEP_1) | instskip(SKIP_1) | instid1(VALU_DEP_1)
	v_fmac_f32_e32 v2, v4, v2
	v_div_scale_f32 v4, vcc_lo, 1.0, v3, 1.0
	v_mul_f32_e32 v6, v4, v2
	s_delay_alu instid0(VALU_DEP_1) | instskip(NEXT) | instid1(VALU_DEP_1)
	v_fma_f32 v7, -v0, v6, v4
	v_fmac_f32_e32 v6, v7, v2
	s_delay_alu instid0(VALU_DEP_1) | instskip(SKIP_1) | instid1(VALU_DEP_1)
	v_fma_f32 v0, -v0, v6, v4
	s_wait_alu 0xfffd
	v_div_fmas_f32 v0, v0, v2, v6
	s_delay_alu instid0(VALU_DEP_1)
	v_div_fixup_f32 v0, v0, v3, 1.0
.LBB88_148:
	v_lshrrev_b32_e32 v7, 16, v35
	v_lshrrev_b32_e32 v6, 16, v88
	v_cvt_f32_f16_e32 v8, v88
	v_cvt_f32_f16_e32 v9, v35
	s_delay_alu instid0(VALU_DEP_4)
	v_cvt_f32_f16_e32 v11, v7
	v_add_nc_u32_e32 v2, s3, v166
	v_cvt_f32_f16_e32 v10, v6
	v_mul_f32_e32 v6, v0, v8
	v_mul_f32_e32 v8, v0, v9
	;; [unrolled: 1-line block ×3, first 2 shown]
	v_mad_co_u64_u32 v[2:3], null, v2, s27, s[28:29]
	v_dual_mov_b32 v4, 0 :: v_dual_mul_f32 v7, v0, v10
	s_delay_alu instid0(VALU_DEP_2) | instskip(NEXT) | instid1(VALU_DEP_1)
	v_mad_co_u64_u32 v[2:3], null, s1, v2, s[18:19]
	v_lshl_add_u32 v3, v2, 7, v20
	s_delay_alu instid0(VALU_DEP_1) | instskip(NEXT) | instid1(VALU_DEP_1)
	v_lshlrev_b64_e32 v[3:4], 2, v[3:4]
	v_add_co_u32 v3, vcc_lo, s20, v3
	s_wait_alu 0xfffd
	s_delay_alu instid0(VALU_DEP_2)
	v_add_co_ci_u32_e64 v4, null, s21, v4, vcc_lo
	global_store_b128 v[3:4], v[6:9], off
	s_and_b32 exec_lo, exec_lo, s0
	s_cbranch_execz .LBB88_150
; %bb.149:
	v_ashrrev_i32_e32 v3, 31, v2
	v_mov_b32_e32 v0, v5
	s_delay_alu instid0(VALU_DEP_2) | instskip(NEXT) | instid1(VALU_DEP_1)
	v_lshlrev_b64_e32 v[2:3], 3, v[2:3]
	v_add_co_u32 v2, vcc_lo, s22, v2
	s_wait_alu 0xfffd
	s_delay_alu instid0(VALU_DEP_2)
	v_add_co_ci_u32_e64 v3, null, s23, v3, vcc_lo
	global_store_b64 v[2:3], v[0:1], off
	s_nop 0
	s_sendmsg sendmsg(MSG_DEALLOC_VGPRS)
	s_endpgm
.LBB88_150:
	s_nop 0
	s_sendmsg sendmsg(MSG_DEALLOC_VGPRS)
	s_endpgm
	.section	.rodata,"a",@progbits
	.p2align	6, 0x0
	.amdhsa_kernel _ZL15flash_attn_tileILi128ELi128ELi16ELi1ELb1EEvPKcS1_S1_S1_S1_PKiPfP15HIP_vector_typeIfLj2EEffffjfiS5_IjLj3EEiiiiiiiiiiiliiliiiiil
		.amdhsa_group_segment_fixed_size 43008
		.amdhsa_private_segment_fixed_size 144
		.amdhsa_kernarg_size 464
		.amdhsa_user_sgpr_count 2
		.amdhsa_user_sgpr_dispatch_ptr 0
		.amdhsa_user_sgpr_queue_ptr 0
		.amdhsa_user_sgpr_kernarg_segment_ptr 1
		.amdhsa_user_sgpr_dispatch_id 0
		.amdhsa_user_sgpr_private_segment_size 0
		.amdhsa_wavefront_size32 1
		.amdhsa_uses_dynamic_stack 0
		.amdhsa_enable_private_segment 1
		.amdhsa_system_sgpr_workgroup_id_x 1
		.amdhsa_system_sgpr_workgroup_id_y 1
		.amdhsa_system_sgpr_workgroup_id_z 1
		.amdhsa_system_sgpr_workgroup_info 0
		.amdhsa_system_vgpr_workitem_id 1
		.amdhsa_next_free_vgpr 256
		.amdhsa_next_free_sgpr 48
		.amdhsa_reserve_vcc 1
		.amdhsa_float_round_mode_32 0
		.amdhsa_float_round_mode_16_64 0
		.amdhsa_float_denorm_mode_32 3
		.amdhsa_float_denorm_mode_16_64 3
		.amdhsa_fp16_overflow 0
		.amdhsa_workgroup_processor_mode 1
		.amdhsa_memory_ordered 1
		.amdhsa_forward_progress 1
		.amdhsa_inst_pref_size 255
		.amdhsa_round_robin_scheduling 0
		.amdhsa_exception_fp_ieee_invalid_op 0
		.amdhsa_exception_fp_denorm_src 0
		.amdhsa_exception_fp_ieee_div_zero 0
		.amdhsa_exception_fp_ieee_overflow 0
		.amdhsa_exception_fp_ieee_underflow 0
		.amdhsa_exception_fp_ieee_inexact 0
		.amdhsa_exception_int_div_zero 0
	.end_amdhsa_kernel
	.section	.text._ZL15flash_attn_tileILi128ELi128ELi16ELi1ELb1EEvPKcS1_S1_S1_S1_PKiPfP15HIP_vector_typeIfLj2EEffffjfiS5_IjLj3EEiiiiiiiiiiiliiliiiiil,"axG",@progbits,_ZL15flash_attn_tileILi128ELi128ELi16ELi1ELb1EEvPKcS1_S1_S1_S1_PKiPfP15HIP_vector_typeIfLj2EEffffjfiS5_IjLj3EEiiiiiiiiiiiliiliiiiil,comdat
.Lfunc_end88:
	.size	_ZL15flash_attn_tileILi128ELi128ELi16ELi1ELb1EEvPKcS1_S1_S1_S1_PKiPfP15HIP_vector_typeIfLj2EEffffjfiS5_IjLj3EEiiiiiiiiiiiliiliiiiil, .Lfunc_end88-_ZL15flash_attn_tileILi128ELi128ELi16ELi1ELb1EEvPKcS1_S1_S1_S1_PKiPfP15HIP_vector_typeIfLj2EEffffjfiS5_IjLj3EEiiiiiiiiiiiliiliiiiil
                                        ; -- End function
	.set _ZL15flash_attn_tileILi128ELi128ELi16ELi1ELb1EEvPKcS1_S1_S1_S1_PKiPfP15HIP_vector_typeIfLj2EEffffjfiS5_IjLj3EEiiiiiiiiiiiliiliiiiil.num_vgpr, 256
	.set _ZL15flash_attn_tileILi128ELi128ELi16ELi1ELb1EEvPKcS1_S1_S1_S1_PKiPfP15HIP_vector_typeIfLj2EEffffjfiS5_IjLj3EEiiiiiiiiiiiliiliiiiil.num_agpr, 0
	.set _ZL15flash_attn_tileILi128ELi128ELi16ELi1ELb1EEvPKcS1_S1_S1_S1_PKiPfP15HIP_vector_typeIfLj2EEffffjfiS5_IjLj3EEiiiiiiiiiiiliiliiiiil.numbered_sgpr, 48
	.set _ZL15flash_attn_tileILi128ELi128ELi16ELi1ELb1EEvPKcS1_S1_S1_S1_PKiPfP15HIP_vector_typeIfLj2EEffffjfiS5_IjLj3EEiiiiiiiiiiiliiliiiiil.num_named_barrier, 0
	.set _ZL15flash_attn_tileILi128ELi128ELi16ELi1ELb1EEvPKcS1_S1_S1_S1_PKiPfP15HIP_vector_typeIfLj2EEffffjfiS5_IjLj3EEiiiiiiiiiiiliiliiiiil.private_seg_size, 144
	.set _ZL15flash_attn_tileILi128ELi128ELi16ELi1ELb1EEvPKcS1_S1_S1_S1_PKiPfP15HIP_vector_typeIfLj2EEffffjfiS5_IjLj3EEiiiiiiiiiiiliiliiiiil.uses_vcc, 1
	.set _ZL15flash_attn_tileILi128ELi128ELi16ELi1ELb1EEvPKcS1_S1_S1_S1_PKiPfP15HIP_vector_typeIfLj2EEffffjfiS5_IjLj3EEiiiiiiiiiiiliiliiiiil.uses_flat_scratch, 1
	.set _ZL15flash_attn_tileILi128ELi128ELi16ELi1ELb1EEvPKcS1_S1_S1_S1_PKiPfP15HIP_vector_typeIfLj2EEffffjfiS5_IjLj3EEiiiiiiiiiiiliiliiiiil.has_dyn_sized_stack, 0
	.set _ZL15flash_attn_tileILi128ELi128ELi16ELi1ELb1EEvPKcS1_S1_S1_S1_PKiPfP15HIP_vector_typeIfLj2EEffffjfiS5_IjLj3EEiiiiiiiiiiiliiliiiiil.has_recursion, 0
	.set _ZL15flash_attn_tileILi128ELi128ELi16ELi1ELb1EEvPKcS1_S1_S1_S1_PKiPfP15HIP_vector_typeIfLj2EEffffjfiS5_IjLj3EEiiiiiiiiiiiliiliiiiil.has_indirect_call, 0
	.section	.AMDGPU.csdata,"",@progbits
; Kernel info:
; codeLenInByte = 39772
; TotalNumSgprs: 50
; NumVgprs: 256
; ScratchSize: 144
; MemoryBound: 0
; FloatMode: 240
; IeeeMode: 1
; LDSByteSize: 43008 bytes/workgroup (compile time only)
; SGPRBlocks: 0
; VGPRBlocks: 31
; NumSGPRsForWavesPerEU: 50
; NumVGPRsForWavesPerEU: 256
; Occupancy: 5
; WaveLimiterHint : 1
; COMPUTE_PGM_RSRC2:SCRATCH_EN: 1
; COMPUTE_PGM_RSRC2:USER_SGPR: 2
; COMPUTE_PGM_RSRC2:TRAP_HANDLER: 0
; COMPUTE_PGM_RSRC2:TGID_X_EN: 1
; COMPUTE_PGM_RSRC2:TGID_Y_EN: 1
; COMPUTE_PGM_RSRC2:TGID_Z_EN: 1
; COMPUTE_PGM_RSRC2:TIDIG_COMP_CNT: 1
	.section	.text._ZL15flash_attn_tileILi128ELi128ELi8ELi1ELb1EEvPKcS1_S1_S1_S1_PKiPfP15HIP_vector_typeIfLj2EEffffjfiS5_IjLj3EEiiiiiiiiiiiliiliiiiil,"axG",@progbits,_ZL15flash_attn_tileILi128ELi128ELi8ELi1ELb1EEvPKcS1_S1_S1_S1_PKiPfP15HIP_vector_typeIfLj2EEffffjfiS5_IjLj3EEiiiiiiiiiiiliiliiiiil,comdat
	.globl	_ZL15flash_attn_tileILi128ELi128ELi8ELi1ELb1EEvPKcS1_S1_S1_S1_PKiPfP15HIP_vector_typeIfLj2EEffffjfiS5_IjLj3EEiiiiiiiiiiiliiliiiiil ; -- Begin function _ZL15flash_attn_tileILi128ELi128ELi8ELi1ELb1EEvPKcS1_S1_S1_S1_PKiPfP15HIP_vector_typeIfLj2EEffffjfiS5_IjLj3EEiiiiiiiiiiiliiliiiiil
	.p2align	8
	.type	_ZL15flash_attn_tileILi128ELi128ELi8ELi1ELb1EEvPKcS1_S1_S1_S1_PKiPfP15HIP_vector_typeIfLj2EEffffjfiS5_IjLj3EEiiiiiiiiiiiliiliiiiil,@function
_ZL15flash_attn_tileILi128ELi128ELi8ELi1ELb1EEvPKcS1_S1_S1_S1_PKiPfP15HIP_vector_typeIfLj2EEffffjfiS5_IjLj3EEiiiiiiiiiiiliiliiiiil: ; @_ZL15flash_attn_tileILi128ELi128ELi8ELi1ELb1EEvPKcS1_S1_S1_S1_PKiPfP15HIP_vector_typeIfLj2EEffffjfiS5_IjLj3EEiiiiiiiiiiiliiliiiiil
; %bb.0:
	s_clause 0x1
	s_load_b128 s[20:23], s[0:1], 0x5c
	s_load_b64 s[38:39], s[0:1], 0x80
	s_lshr_b32 s4, ttmp7, 16
	s_load_b64 s[34:35], s[0:1], 0xb8
	s_mov_b64 s[36:37], 0
	s_wait_kmcnt 0x0
	s_cvt_f32_u32 s2, s23
	s_sub_co_i32 s3, 0, s23
	s_delay_alu instid0(SALU_CYCLE_2) | instskip(NEXT) | instid1(TRANS32_DEP_1)
	v_rcp_iflag_f32_e32 v1, s2
	v_readfirstlane_b32 s2, v1
	s_mul_f32 s2, s2, 0x4f7ffffe
	s_wait_alu 0xfffe
	s_delay_alu instid0(SALU_CYCLE_2) | instskip(SKIP_1) | instid1(SALU_CYCLE_2)
	s_cvt_u32_f32 s2, s2
	s_wait_alu 0xfffe
	s_mul_i32 s3, s3, s2
	s_wait_alu 0xfffe
	s_mul_hi_u32 s3, s2, s3
	s_wait_alu 0xfffe
	s_add_co_i32 s2, s2, s3
	s_wait_alu 0xfffe
	s_mul_hi_u32 s2, s4, s2
	s_wait_alu 0xfffe
	s_mul_i32 s3, s2, s23
	s_add_co_i32 s5, s2, 1
	s_wait_alu 0xfffe
	s_sub_co_i32 s3, s4, s3
	s_wait_alu 0xfffe
	s_sub_co_i32 s6, s3, s23
	s_cmp_ge_u32 s3, s23
	s_cselect_b32 s2, s5, s2
	s_cselect_b32 s3, s6, s3
	s_wait_alu 0xfffe
	s_add_co_i32 s5, s2, 1
	s_cmp_ge_u32 s3, s23
	s_cselect_b32 s30, s5, s2
	s_abs_i32 s2, s39
	s_abs_i32 s7, s23
	s_wait_alu 0xfffe
	s_cvt_f32_u32 s3, s2
	s_sub_co_i32 s5, 0, s2
	s_mul_i32 s6, s30, s23
	s_wait_alu 0xfffe
	v_rcp_iflag_f32_e32 v1, s3
	s_sub_co_i32 s28, s4, s6
	s_xor_b32 s4, s23, s39
	s_delay_alu instid0(SALU_CYCLE_1) | instskip(NEXT) | instid1(TRANS32_DEP_1)
	s_ashr_i32 s4, s4, 31
	v_readfirstlane_b32 s3, v1
	s_mul_f32 s3, s3, 0x4f7ffffe
	s_wait_alu 0xfffe
	s_delay_alu instid0(SALU_CYCLE_2) | instskip(SKIP_1) | instid1(SALU_CYCLE_2)
	s_cvt_u32_f32 s3, s3
	s_wait_alu 0xfffe
	s_mul_i32 s5, s5, s3
	s_delay_alu instid0(SALU_CYCLE_1) | instskip(NEXT) | instid1(SALU_CYCLE_1)
	s_mul_hi_u32 s5, s3, s5
	s_add_co_i32 s3, s3, s5
	s_wait_alu 0xfffe
	s_mul_hi_u32 s3, s7, s3
	s_wait_alu 0xfffe
	s_mul_i32 s5, s3, s2
	s_add_co_i32 s6, s3, 1
	s_sub_co_i32 s5, s7, s5
	s_delay_alu instid0(SALU_CYCLE_1)
	s_sub_co_i32 s7, s5, s2
	s_cmp_ge_u32 s5, s2
	s_cselect_b32 s3, s6, s3
	s_cselect_b32 s5, s7, s5
	s_wait_alu 0xfffe
	s_add_co_i32 s6, s3, 1
	s_cmp_ge_u32 s5, s2
	s_cselect_b32 s2, s6, s3
	s_mov_b32 s3, 0
	s_wait_alu 0xfffe
	s_xor_b32 s2, s2, s4
	s_wait_alu 0xfffe
	s_sub_co_i32 s31, s2, s4
	s_load_b512 s[4:19], s[0:1], 0x0
	s_abs_i32 s39, s31
	s_delay_alu instid0(SALU_CYCLE_1) | instskip(SKIP_1) | instid1(SALU_CYCLE_2)
	s_cvt_f32_u32 s2, s39
	s_wait_alu 0xfffe
	v_rcp_iflag_f32_e32 v1, s2
	s_delay_alu instid0(TRANS32_DEP_1) | instskip(SKIP_2) | instid1(SALU_CYCLE_2)
	v_readfirstlane_b32 s2, v1
	s_mul_f32 s2, s2, 0x4f7ffffe
	s_wait_alu 0xfffe
	s_cvt_u32_f32 s24, s2
	s_sub_co_i32 s2, 0, s39
	s_wait_alu 0xfffe
	s_delay_alu instid0(SALU_CYCLE_1)
	s_mul_i32 s2, s2, s24
	s_wait_alu 0xfffe
	s_mul_hi_u32 s25, s24, s2
	s_abs_i32 s2, s28
	s_add_co_i32 s40, s24, s25
	s_wait_kmcnt 0x0
	s_cmp_eq_u64 s[10:11], 0
	s_cbranch_scc1 .LBB89_2
; %bb.1:
	s_abs_i32 s26, s34
	s_delay_alu instid0(SALU_CYCLE_1) | instskip(NEXT) | instid1(SALU_CYCLE_3)
	s_cvt_f32_u32 s24, s26
	v_rcp_iflag_f32_e32 v1, s24
	s_delay_alu instid0(TRANS32_DEP_1) | instskip(SKIP_2) | instid1(SALU_CYCLE_2)
	v_readfirstlane_b32 s24, v1
	s_mul_f32 s24, s24, 0x4f7ffffe
	s_wait_alu 0xfffe
	s_cvt_u32_f32 s27, s24
	s_sub_co_i32 s24, 0, s26
	s_wait_alu 0xfffe
	s_delay_alu instid0(SALU_CYCLE_1) | instskip(SKIP_4) | instid1(SALU_CYCLE_1)
	s_mul_i32 s24, s24, s27
	s_wait_alu 0xfffe
	s_mul_hi_u32 s29, s27, s24
	s_load_b64 s[24:25], s[0:1], 0xc8
	s_add_co_i32 s27, s27, s29
	s_mul_hi_u32 s27, s30, s27
	s_delay_alu instid0(SALU_CYCLE_1) | instskip(NEXT) | instid1(SALU_CYCLE_1)
	s_mul_i32 s27, s27, s26
	s_sub_co_i32 s27, s30, s27
	s_delay_alu instid0(SALU_CYCLE_1) | instskip(SKIP_2) | instid1(SALU_CYCLE_1)
	s_sub_co_i32 s29, s27, s26
	s_cmp_ge_u32 s27, s26
	s_cselect_b32 s27, s29, s27
	s_sub_co_i32 s29, s27, s26
	s_cmp_ge_u32 s27, s26
	s_cselect_b32 s26, s29, s27
	s_delay_alu instid0(SALU_CYCLE_1)
	s_ashr_i32 s27, s26, 31
	s_wait_kmcnt 0x0
	s_mul_u64 s[24:25], s[24:25], s[26:27]
	s_wait_alu 0xfffe
	s_add_nc_u64 s[36:37], s[10:11], s[24:25]
.LBB89_2:
	s_clause 0x1
	s_load_b128 s[24:27], s[0:1], 0x40
	s_load_b64 s[10:11], s[0:1], 0x50
	v_mov_b32_e32 v89, 1.0
	s_mov_b32 s41, s3
	s_wait_kmcnt 0x0
	s_cmp_le_f32 s25, 0
	s_cbranch_scc1 .LBB89_4
; %bb.3:
	v_sub_co_u32 v1, s10, s28, s10
	s_and_b32 s29, s10, exec_lo
	s_cselect_b32 s26, s26, s27
	s_add_co_i32 s27, s28, 1
	v_readfirstlane_b32 s25, v1
	s_lshl_b32 s25, s25, 1
	s_wait_alu 0xfffe
	s_or_b32 s25, s25, 1
	s_and_b32 s10, s10, exec_lo
	s_wait_alu 0xfffe
	s_cselect_b32 s10, s27, s25
	s_cmp_neq_f32 s26, 1.0
	s_wait_alu 0xfffe
	s_cvt_f32_i32 s10, s10
	s_wait_alu 0xfffe
	s_delay_alu instid0(SALU_CYCLE_2)
	s_cselect_b32 s25, s10, 1.0
	s_wait_alu 0xfffe
	s_cmp_neq_f32 s25, 0
	s_cselect_b32 s10, s26, 1.0
	s_wait_alu 0xfffe
	v_frexp_mant_f32_e64 v1, |s10|
	s_delay_alu instid0(VALU_DEP_1) | instskip(SKIP_3) | instid1(SALU_CYCLE_1)
	v_readfirstlane_b32 s26, v1
	v_cvt_f64_f32_e64 v[1:2], |s10|
	s_cmp_lt_f32 s26, 0x3f2aaaab
	s_cselect_b32 s27, -1, 0
	s_and_b32 s29, s27, exec_lo
	s_cselect_b32 s29, 2.0, 1.0
	s_wait_alu 0xfffe
	s_mul_f32 s26, s26, s29
	s_delay_alu instid0(SALU_CYCLE_3) | instskip(SKIP_2) | instid1(SALU_CYCLE_1)
	s_add_f32 s29, s26, 1.0
	s_add_f32 s34, s26, -1.0
	s_wait_alu 0xfffe
	v_s_rcp_f32 s33, s29
	s_add_f32 s44, s29, -1.0
	s_delay_alu instid0(SALU_CYCLE_3) | instskip(NEXT) | instid1(TRANS32_DEP_1)
	s_sub_f32 s26, s26, s44
	s_mul_f32 s42, s34, s33
	s_delay_alu instid0(SALU_CYCLE_3) | instskip(NEXT) | instid1(SALU_CYCLE_3)
	s_mul_f32 s43, s29, s42
	s_xor_b32 s45, s43, 0x80000000
	s_delay_alu instid0(VALU_DEP_1) | instskip(SKIP_1) | instid1(SALU_CYCLE_3)
	v_frexp_exp_i32_f64_e32 v1, v[1:2]
	s_fmac_f32 s45, s42, s29
	s_fmac_f32 s45, s42, s26
	s_delay_alu instid0(SALU_CYCLE_3) | instskip(NEXT) | instid1(SALU_CYCLE_3)
	s_add_f32 s26, s43, s45
	s_sub_f32 s29, s34, s26
	s_sub_f32 s43, s26, s43
	s_wait_alu 0xfffe
	s_delay_alu instid0(SALU_CYCLE_1) | instskip(NEXT) | instid1(SALU_CYCLE_1)
	s_sub_f32 s34, s34, s29
	s_sub_f32 s43, s43, s45
	s_delay_alu instid0(SALU_CYCLE_2) | instskip(NEXT) | instid1(SALU_CYCLE_3)
	s_sub_f32 s26, s34, s26
	s_add_f32 s26, s43, s26
	s_mov_b32 s43, 0x3e76c4e1
	s_delay_alu instid0(SALU_CYCLE_2) | instskip(NEXT) | instid1(SALU_CYCLE_3)
	s_add_f32 s26, s29, s26
	s_mul_f32 s26, s33, s26
	s_delay_alu instid0(SALU_CYCLE_3) | instskip(SKIP_1) | instid1(SALU_CYCLE_2)
	s_add_f32 s29, s42, s26
	s_wait_alu 0xfffe
	s_sub_f32 s33, s29, s42
	s_mul_f32 s34, s29, s29
	s_delay_alu instid0(SALU_CYCLE_2) | instskip(NEXT) | instid1(SALU_CYCLE_2)
	s_sub_f32 s26, s26, s33
	s_xor_b32 s33, s34, 0x80000000
	s_delay_alu instid0(SALU_CYCLE_1) | instskip(NEXT) | instid1(SALU_CYCLE_1)
	s_fmac_f32 s33, s29, s29
	s_add_f32 s42, s26, s26
	s_delay_alu instid0(SALU_CYCLE_3) | instskip(NEXT) | instid1(SALU_CYCLE_3)
	s_fmac_f32 s33, s29, s42
	s_add_f32 s42, s34, s33
	s_delay_alu instid0(SALU_CYCLE_3) | instskip(SKIP_1) | instid1(SALU_CYCLE_2)
	s_fmaak_f32 s43, s42, s43, 0x3e91f4c4
	s_sub_f32 s34, s42, s34
	s_fmaak_f32 s43, s42, s43, 0x3ecccdef
	s_delay_alu instid0(SALU_CYCLE_2) | instskip(SKIP_1) | instid1(SALU_CYCLE_1)
	s_sub_f32 s33, s33, s34
	s_mul_f32 s34, s29, s42
	s_mul_f32 s44, s42, s43
	s_delay_alu instid0(SALU_CYCLE_2) | instskip(NEXT) | instid1(SALU_CYCLE_2)
	s_xor_b32 s46, s34, 0x80000000
	s_xor_b32 s45, s44, 0x80000000
	s_fmac_f32 s46, s42, s29
	s_fmac_f32 s45, s42, s43
	s_delay_alu instid0(SALU_CYCLE_2) | instskip(NEXT) | instid1(SALU_CYCLE_2)
	s_fmac_f32 s46, s42, s26
	s_fmac_f32 s45, s33, s43
	s_delay_alu instid0(SALU_CYCLE_2) | instskip(NEXT) | instid1(SALU_CYCLE_2)
	s_fmac_f32 s46, s33, s29
	s_add_f32 s43, s44, s45
	s_delay_alu instid0(SALU_CYCLE_3) | instskip(SKIP_1) | instid1(SALU_CYCLE_2)
	s_sub_f32 s44, s43, s44
	s_add_f32 s47, s43, 0x3f2aaaaa
	s_sub_f32 s44, s45, s44
	s_delay_alu instid0(SALU_CYCLE_2) | instskip(NEXT) | instid1(SALU_CYCLE_2)
	s_add_f32 s45, s47, 0xbf2aaaaa
	s_add_f32 s42, s44, 0x31739010
	s_delay_alu instid0(SALU_CYCLE_2) | instskip(NEXT) | instid1(SALU_CYCLE_3)
	s_sub_f32 s43, s43, s45
	s_add_f32 s33, s42, s43
	s_add_f32 s42, s34, s46
	s_delay_alu instid0(SALU_CYCLE_2) | instskip(NEXT) | instid1(SALU_CYCLE_2)
	s_add_f32 s43, s47, s33
	s_sub_f32 s34, s42, s34
	s_delay_alu instid0(SALU_CYCLE_2) | instskip(SKIP_1) | instid1(SALU_CYCLE_1)
	s_mul_f32 s44, s42, s43
	s_sub_f32 s45, s47, s43
	s_sub_f32 s34, s46, s34
	s_delay_alu instid0(SALU_CYCLE_1) | instskip(NEXT) | instid1(SALU_CYCLE_1)
	s_xor_b32 s47, s44, 0x80000000
	s_add_f32 s33, s33, s45
	s_fmac_f32 s47, s42, s43
	v_readfirstlane_b32 s45, v1
	v_ldexp_f32 v1, s29, 1
	s_cmp_lg_u32 s27, 0
	s_fmac_f32 s47, s42, s33
	s_sub_co_ci_u32 s27, s45, 0
	s_delay_alu instid0(VALU_DEP_1) | instskip(NEXT) | instid1(SALU_CYCLE_1)
	v_readfirstlane_b32 s29, v1
	s_fmac_f32 s47, s34, s43
	s_cvt_f32_i32 s27, s27
	v_ldexp_f32 v1, s26, 1
	s_delay_alu instid0(SALU_CYCLE_1) | instskip(NEXT) | instid1(SALU_CYCLE_1)
	s_add_f32 s33, s44, s47
	s_mul_f32 s26, s27, 0x3f317218
	s_delay_alu instid0(VALU_DEP_1) | instskip(NEXT) | instid1(SALU_CYCLE_1)
	v_readfirstlane_b32 s43, v1
	s_add_f32 s34, s29, s33
	s_sub_f32 s42, s33, s44
	s_wait_alu 0xfffe
	s_xor_b32 s44, s26, 0x80000000
	s_sub_f32 s29, s34, s29
	s_sub_f32 s42, s47, s42
	s_fmamk_f32 s44, s27, 0x3f317218, s44
	s_wait_alu 0xfffe
	s_sub_f32 s29, s33, s29
	s_add_f32 s33, s43, s42
	s_fmamk_f32 s27, s27, 0xb102e308, s44
	s_wait_alu 0xfffe
	s_delay_alu instid0(SALU_CYCLE_1) | instskip(NEXT) | instid1(SALU_CYCLE_1)
	s_add_f32 s29, s33, s29
	s_add_f32 s33, s26, s27
	s_wait_alu 0xfffe
	s_delay_alu instid0(SALU_CYCLE_1) | instskip(NEXT) | instid1(SALU_CYCLE_1)
	s_add_f32 s42, s34, s29
	s_sub_f32 s26, s33, s26
	s_delay_alu instid0(SALU_CYCLE_2)
	s_add_f32 s43, s33, s42
	s_sub_f32 s34, s42, s34
	s_wait_alu 0xfffe
	s_sub_f32 s26, s27, s26
	s_sub_f32 s44, s43, s33
	;; [unrolled: 1-line block ×3, first 2 shown]
	s_delay_alu instid0(SALU_CYCLE_2) | instskip(SKIP_4) | instid1(SALU_CYCLE_3)
	s_sub_f32 s45, s43, s44
	s_sub_f32 s29, s42, s44
	s_wait_alu 0xfffe
	s_add_f32 s34, s26, s27
	s_sub_f32 s33, s33, s45
	s_add_f32 s29, s29, s33
	s_delay_alu instid0(SALU_CYCLE_1) | instskip(SKIP_1) | instid1(SALU_CYCLE_1)
	s_sub_f32 s33, s34, s26
	s_wait_alu 0xfffe
	s_add_f32 s29, s34, s29
	s_delay_alu instid0(SALU_CYCLE_1) | instskip(SKIP_4) | instid1(SALU_CYCLE_2)
	s_sub_f32 s34, s34, s33
	s_sub_f32 s27, s27, s33
	s_wait_alu 0xfffe
	s_add_f32 s42, s43, s29
	s_sub_f32 s26, s26, s34
	s_sub_f32 s33, s42, s43
	s_wait_alu 0xfffe
	s_delay_alu instid0(SALU_CYCLE_1) | instskip(NEXT) | instid1(SALU_CYCLE_1)
	s_add_f32 s26, s27, s26
	s_sub_f32 s27, s29, s33
	s_wait_alu 0xfffe
	s_delay_alu instid0(SALU_CYCLE_2) | instskip(SKIP_1) | instid1(SALU_CYCLE_2)
	s_add_f32 s26, s26, s27
	s_wait_alu 0xfffe
	s_add_f32 s27, s42, s26
	s_wait_alu 0xfffe
	s_delay_alu instid0(SALU_CYCLE_2) | instskip(SKIP_2) | instid1(SALU_CYCLE_1)
	s_mul_f32 s29, s25, s27
	s_sub_f32 s33, s27, s42
	s_wait_alu 0xfffe
	s_xor_b32 s34, s29, 0x80000000
	s_delay_alu instid0(SALU_CYCLE_1) | instskip(SKIP_2) | instid1(SALU_CYCLE_2)
	s_sub_f32 s26, s26, s33
	s_fmac_f32 s34, s25, s27
	s_wait_alu 0xfffe
	s_fmac_f32 s34, s25, s26
	v_cmp_class_f32_e64 s26, s29, 0x204
	s_delay_alu instid0(SALU_CYCLE_2) | instskip(SKIP_2) | instid1(SALU_CYCLE_1)
	s_add_f32 s27, s29, s34
	s_and_b32 s26, s26, exec_lo
	s_wait_alu 0xfffe
	s_sub_f32 s26, s27, s29
	s_cselect_b32 s27, s29, s27
	s_wait_alu 0xfffe
	s_and_b32 s29, s27, 0x7fffffff
	s_sub_f32 s26, s34, s26
	s_wait_alu 0xfffe
	s_cmp_neq_f32 s29, 0x7f800000
	s_delay_alu instid0(SALU_CYCLE_1)
	s_cselect_b32 s26, s26, 0
	s_cmp_eq_f32 s27, 0x42b17218
	s_cselect_b32 s29, 0x37000000, 0
	s_wait_alu 0xfffe
	s_sub_f32 s27, s27, s29
	s_add_f32 s26, s29, s26
	s_wait_alu 0xfffe
	s_delay_alu instid0(SALU_CYCLE_1) | instskip(NEXT) | instid1(SALU_CYCLE_3)
	s_mul_f32 s33, s27, 0x3fb8aa3b
	s_xor_b32 s34, s33, 0x80000000
	s_rndne_f32 s42, s33
	s_fmamk_f32 s34, s27, 0x3fb8aa3b, s34
	s_cmp_nlt_f32 s27, 0xc2ce8ed0
	s_delay_alu instid0(SALU_CYCLE_1) | instskip(NEXT) | instid1(SALU_CYCLE_1)
	s_sub_f32 s33, s33, s42
	s_fmamk_f32 s34, s27, 0x32a5705f, s34
	s_cselect_b32 vcc_lo, -1, 0
	s_cmp_ngt_f32 s27, 0x42b17218
	s_trunc_f32 s27, s25
	s_add_f32 s33, s33, s34
	s_cvt_i32_f32 s34, s42
	s_delay_alu instid0(SALU_CYCLE_2)
	v_s_exp_f32 s33, s33
	s_wait_alu 0xf1ff
	s_delay_alu instid0(TRANS32_DEP_1) | instid1(SALU_CYCLE_1)
	v_ldexp_f32 v1, s33, s34
	s_mul_f32 s33, s25, 0.5
	s_delay_alu instid0(VALU_DEP_1)
	v_cndmask_b32_e32 v1, 0, v1, vcc_lo
	s_cselect_b32 vcc_lo, -1, 0
	s_wait_alu 0xfffe
	s_cmp_eq_f32 s27, s25
	s_trunc_f32 s34, s33
	v_cndmask_b32_e32 v1, 0x7f800000, v1, vcc_lo
	s_cselect_b32 s42, -1, 0
	s_wait_alu 0xfffe
	s_cmp_neq_f32 s34, s33
	s_delay_alu instid0(VALU_DEP_1)
	v_fma_f32 v2, s26, v1, v1
	v_cmp_class_f32_e64 vcc_lo, v1, 0x204
	s_cselect_b32 s29, -1, 0
	s_wait_alu 0xfffe
	s_and_b32 s26, s42, s29
	s_wait_alu 0xfffd
	v_cndmask_b32_e32 v1, v2, v1, vcc_lo
	s_wait_alu 0xfffe
	s_and_b32 s29, s26, exec_lo
	s_cselect_b32 s29, s10, 1.0
	s_cmp_eq_f32 s27, s25
	v_cmp_class_f32_e64 s27, s10, 0x204
	s_wait_alu 0xfffe
	v_bfi_b32 v1, 0x7fffffff, v1, s29
	s_cselect_b32 vcc_lo, -1, 0
	s_cmp_lt_f32 s10, 0
	s_wait_alu 0xfffe
	s_delay_alu instid0(VALU_DEP_1) | instskip(SKIP_3) | instid1(VALU_DEP_1)
	v_cndmask_b32_e32 v2, 0x7fc00000, v1, vcc_lo
	s_cselect_b32 vcc_lo, -1, 0
	s_cmp_eq_f32 s10, 0
	s_wait_alu 0xfffe
	v_cndmask_b32_e32 v1, v1, v2, vcc_lo
	s_cselect_b32 s29, -1, 0
	s_wait_alu 0xfffe
	s_or_b32 vcc_lo, s29, s27
	s_cmp_lt_f32 s25, 0
	s_cselect_b32 s25, -1, 0
	s_wait_alu 0xfffe
	s_xor_b32 s25, s25, s29
	s_wait_alu 0xfffe
	s_and_b32 s25, s25, exec_lo
	s_cselect_b32 s25, 0, 0x7f800000
	s_and_b32 s26, s26, exec_lo
	s_cselect_b32 s26, s10, 0
	s_cmp_o_f32 s10, s10
	s_wait_alu 0xfffe
	v_mov_b32_e32 v2, s26
	s_delay_alu instid0(VALU_DEP_1) | instskip(NEXT) | instid1(VALU_DEP_1)
	v_bfi_b32 v2, 0x7fffffff, s25, v2
	v_cndmask_b32_e32 v1, v1, v2, vcc_lo
	s_cselect_b32 vcc_lo, -1, 0
	s_wait_alu 0xfffe
	s_delay_alu instid0(VALU_DEP_1)
	v_cndmask_b32_e32 v89, 0x7fc00000, v1, vcc_lo
.LBB89_4:
	v_bfe_u32 v88, v0, 10, 10
	s_lshl_b32 s33, ttmp9, 3
	s_load_b96 s[44:46], s[0:1], 0x70
	v_and_b32_e32 v115, 0x3ff, v0
	s_ashr_i32 s29, s28, 31
	v_lshlrev_b32_e32 v112, 1, v88
	v_lshlrev_b32_e32 v94, 9, v88
	v_mov_b32_e32 v122, 0
	s_delay_alu instid0(VALU_DEP_3) | instskip(SKIP_1) | instid1(VALU_DEP_2)
	v_add_nc_u32_e32 v114, s33, v112
	v_or_b32_e32 v110, 1, v112
	v_mul_hi_u32 v1, v114, s20
	s_delay_alu instid0(VALU_DEP_2) | instskip(NEXT) | instid1(VALU_DEP_1)
	v_add_nc_u32_e32 v111, s33, v110
	v_mul_hi_u32 v2, v111, s20
	s_wait_kmcnt 0x0
	s_mul_i32 s26, s28, s45
	s_delay_alu instid0(VALU_DEP_3)
	v_add_nc_u32_e32 v1, v114, v1
	s_ashr_i32 s45, s44, 31
	s_wait_alu 0xfffe
	s_ashr_i32 s27, s26, 31
	s_lshr_b64 s[42:43], s[44:45], 2
	s_lshr_b32 s10, s45, 2
	v_lshrrev_b32_e32 v1, s21, v1
	v_add_nc_u32_e32 v2, v111, v2
	s_delay_alu instid0(VALU_DEP_2) | instskip(NEXT) | instid1(VALU_DEP_2)
	v_mul_lo_u32 v1, v1, s22
	v_lshrrev_b32_e32 v2, s21, v2
	s_delay_alu instid0(VALU_DEP_1) | instskip(NEXT) | instid1(VALU_DEP_3)
	v_mul_lo_u32 v3, v2, s22
	v_sub_nc_u32_e32 v93, v114, v1
	s_delay_alu instid0(VALU_DEP_1) | instskip(NEXT) | instid1(VALU_DEP_1)
	v_mad_co_u64_u32 v[1:2], null, s42, v93, 0
	v_mov_b32_e32 v0, v2
	s_delay_alu instid0(VALU_DEP_4) | instskip(SKIP_1) | instid1(VALU_DEP_2)
	v_sub_nc_u32_e32 v7, v111, v3
	s_wait_alu 0xfffe
	v_mad_co_u64_u32 v[5:6], null, s10, v93, v[0:1]
	s_delay_alu instid0(VALU_DEP_2)
	v_mad_co_u64_u32 v[3:4], null, s42, v7, 0
	s_mul_i32 s42, s30, s46
	s_wait_alu 0xfffe
	s_ashr_i32 s43, s42, 31
	v_mov_b32_e32 v2, v5
	v_lshlrev_b32_e32 v6, 4, v115
	v_mov_b32_e32 v0, v4
	s_wait_alu 0xfffe
	s_add_nc_u64 s[4:5], s[4:5], s[42:43]
	v_lshlrev_b32_e32 v117, 3, v115
	s_add_nc_u64 s[4:5], s[4:5], s[26:27]
	v_mad_co_u64_u32 v[4:5], null, s10, v7, v[0:1]
	v_lshlrev_b64_e32 v[0:1], 2, v[1:2]
	v_add_co_u32 v6, s4, s4, v6
	s_wait_alu 0xf1ff
	v_add_co_ci_u32_e64 v7, null, s5, 0, s4
	v_add_nc_u32_e32 v8, 0x2400, v117
	v_lshlrev_b64_e32 v[4:5], 2, v[3:4]
	v_add_co_u32 v0, vcc_lo, v6, v0
	s_wait_alu 0xfffd
	v_add_co_ci_u32_e64 v1, null, v7, v1, vcc_lo
	v_add_nc_u32_e32 v9, v8, v94
	s_delay_alu instid0(VALU_DEP_4)
	v_add_co_u32 v4, vcc_lo, v6, v4
	s_wait_alu 0xfffd
	v_add_co_ci_u32_e64 v5, null, v7, v5, vcc_lo
	global_load_b128 v[0:3], v[0:1], off
	s_ashr_i32 s10, s31, 31
	s_mul_u64 s[4:5], s[2:3], s[40:41]
	global_load_b128 v[4:7], v[4:5], off
	s_mov_b32 s31, 0
	s_cmp_eq_u64 s[14:15], 0
	s_wait_loadcnt 0x1
	v_fma_mixlo_f16 v1, s24, v1, 0
	v_fma_mixlo_f16 v0, s24, v0, 0
	;; [unrolled: 1-line block ×3, first 2 shown]
	s_wait_loadcnt 0x0
	v_fma_mixlo_f16 v5, s24, v5, 0
	v_fma_mixlo_f16 v4, s24, v4, 0
	;; [unrolled: 1-line block ×3, first 2 shown]
	v_lshlrev_b32_e32 v1, 16, v1
	v_and_b32_e32 v0, 0xffff, v0
	v_fma_mixlo_f16 v6, s24, v6, 0
	v_fma_mixlo_f16 v7, s24, v7, 0
	v_lshlrev_b32_e32 v5, 16, v5
	v_and_b32_e32 v4, 0xffff, v4
	v_lshlrev_b32_e32 v3, 16, v3
	v_and_b32_e32 v2, 0xffff, v2
	v_or_b32_e32 v0, v1, v0
	v_lshlrev_b32_e32 v7, 16, v7
	v_and_b32_e32 v6, 0xffff, v6
	v_or_b32_e32 v4, v5, v4
	v_or3_b32 v1, v3, v2, 0
	v_or3_b32 v0, 0, 0, v0
	v_lshl_add_u32 v5, v110, 8, v8
	v_or3_b32 v3, v7, v6, 0
	v_or3_b32 v2, 0, 0, v4
	ds_store_b64 v9, v[0:1]
	ds_store_b64 v5, v[2:3]
	s_wait_dscnt 0x0
	s_barrier_signal -1
	s_barrier_wait -1
	global_inv scope:SCOPE_SE
	s_cbranch_scc1 .LBB89_6
; %bb.5:
	s_load_b32 s3, s[0:1], 0xd0
	s_mov_b32 s25, s31
	s_wait_kmcnt 0x0
	s_mul_i32 s3, s3, s30
	s_wait_alu 0xfffe
	s_add_co_i32 s24, s3, ttmp9
	s_wait_alu 0xfffe
	s_lshl_b64 s[24:25], s[24:25], 2
	s_wait_alu 0xfffe
	s_add_nc_u64 s[14:15], s[14:15], s[24:25]
	s_load_b32 s38, s[14:15], 0x0
.LBB89_6:
	s_clause 0x2
	s_load_b64 s[40:41], s[0:1], 0x8c
	s_load_b128 s[24:27], s[0:1], 0x98
	s_load_b64 s[42:43], s[0:1], 0xa8
	s_mul_i32 s3, s5, s39
	s_ashr_i32 s15, s35, 1
	s_wait_alu 0xfffe
	s_sub_co_i32 s14, s2, s3
	s_xor_b32 s10, s29, s10
	s_add_co_i32 s4, s5, 1
	s_sub_co_i32 s34, s14, s39
	v_lshlrev_b32_e32 v113, 2, v115
	v_lshrrev_b32_e32 v97, 3, v115
	v_mul_u32_u24_e32 v95, 0x90, v115
	v_or_b32_e32 v92, 1, v114
	v_lshrrev_b32_e32 v90, 4, v115
	v_mbcnt_lo_u32_b32 v116, -1, 0
	v_and_b32_e32 v96, 28, v113
	v_and_b32_e32 v91, 60, v113
	s_wait_kmcnt 0x0
	s_ashr_i32 s40, s40, 2
	s_ashr_i32 s26, s26, 2
	s_mul_u64 s[2:3], s[24:25], s[30:31]
	s_cmp_ge_u32 s14, s39
	s_wait_alu 0xfffe
	s_add_nc_u64 s[2:3], s[6:7], s[2:3]
	s_cselect_b32 s6, s4, s5
	s_cselect_b32 s4, s34, s14
	s_add_co_i32 s7, s6, 1
	s_wait_alu 0xfffe
	s_cmp_ge_u32 s4, s39
	s_mul_u64 s[24:25], s[42:43], s[30:31]
	s_cselect_b32 s6, s7, s6
	s_wait_alu 0xfffe
	s_add_nc_u64 s[4:5], s[8:9], s[24:25]
	s_xor_b32 s6, s6, s10
	s_and_b32 s14, ttmp7, 0xffff
	s_sub_co_i32 s7, s6, s10
	s_sub_co_i32 s31, s38, 64
	s_mul_i32 s6, s7, s41
	s_mul_i32 s8, s7, s27
	s_lshl_b32 s34, s14, 6
	s_ashr_i32 s7, s6, 31
	s_ashr_i32 s9, s8, 31
	s_add_nc_u64 s[42:43], s[2:3], s[6:7]
	s_wait_alu 0xfffe
	s_cmp_ge_i32 s34, s31
	s_add_nc_u64 s[24:25], s[4:5], s[8:9]
	s_cbranch_scc1 .LBB89_36
; %bb.7:
	v_mul_hi_u32 v2, s20, v92
	v_lshl_add_u32 v1, v88, 2, v97
	v_dual_mov_b32 v120, 0 :: v_dual_lshlrev_b32 v3, 2, v96
	v_dual_mov_b32 v18, 0xfeffffff :: v_dual_add_nc_u32 v5, v90, v112
	s_delay_alu instid0(VALU_DEP_3)
	v_mul_lo_u32 v0, s40, v1
	s_ashr_i32 s41, s40, 31
	v_dual_mov_b32 v121, 0 :: v_dual_add_nc_u32 v4, v92, v2
	v_mad_u32_u24 v98, 0x90, v1, v3
	s_lshl_b32 s2, s40, 4
	s_cmp_lg_u64 s[36:37], 0
	s_delay_alu instid0(VALU_DEP_2)
	v_lshrrev_b32_e32 v1, s21, v4
	v_mul_lo_u32 v4, s26, v5
	s_cselect_b32 s39, -1, 0
	s_lshl_b32 s3, s26, 3
	s_wait_alu 0xfffe
	v_dual_mov_b32 v119, 0 :: v_dual_add_nc_u32 v2, s2, v0
	v_mul_lo_u32 v9, v1, s22
	v_dual_mov_b32 v118, 0 :: v_dual_lshlrev_b32 v11, 2, v91
	s_delay_alu instid0(VALU_DEP_4) | instskip(NEXT) | instid1(VALU_DEP_4)
	v_add_nc_u32_e32 v10, s3, v4
	v_dual_mov_b32 v17, 0xfeffffff :: v_dual_add_nc_u32 v6, s2, v2
	v_ashrrev_i32_e32 v1, 31, v0
	v_ashrrev_i32_e32 v3, 31, v2
	s_delay_alu instid0(VALU_DEP_4) | instskip(NEXT) | instid1(VALU_DEP_4)
	v_add_nc_u32_e32 v12, s3, v10
	v_add_nc_u32_e32 v8, s2, v6
	v_sub_nc_u32_e32 v13, v92, v9
	v_ashrrev_i32_e32 v7, 31, v6
	v_lshl_or_b32 v106, v5, 8, v11
	v_add_nc_u32_e32 v14, s3, v12
	v_ashrrev_i32_e32 v9, 31, v8
	v_mul_lo_u32 v107, v13, s15
	v_ashrrev_i32_e32 v5, 31, v4
	v_ashrrev_i32_e32 v11, 31, v10
	;; [unrolled: 1-line block ×4, first 2 shown]
	v_mul_lo_u32 v105, v93, s15
	v_lshlrev_b64_e32 v[72:73], 2, v[0:1]
	v_lshlrev_b64_e32 v[74:75], 2, v[2:3]
	;; [unrolled: 1-line block ×8, first 2 shown]
	v_dual_mov_b32 v16, 0 :: v_dual_add_nc_u32 v99, 0x900, v98
	v_add_nc_u32_e32 v102, 0x1200, v98
	v_dual_mov_b32 v64, 0 :: v_dual_add_nc_u32 v103, 0x1b00, v98
	v_add_nc_u32_e32 v104, 0x2400, v94
	v_lshl_add_u32 v108, v88, 8, 0x2c00
	v_add_nc_u32_e32 v109, 0x800, v106
	v_add_nc_u32_e32 v124, 0x1000, v106
	;; [unrolled: 1-line block ×3, first 2 shown]
	v_lshlrev_b32_e32 v126, 2, v96
	v_lshlrev_b32_e32 v127, 2, v91
	v_mbcnt_lo_u32_b32 v128, -1, 0
	s_ashr_i32 s27, s26, 31
	s_add_nc_u64 s[44:45], s[0:1], 0xd0
	s_mov_b32 s46, 0xbbbac73d
.LBB89_8:                               ; =>This Inner Loop Header: Depth=1
	s_ashr_i32 s35, s34, 31
	s_wait_alu 0xfffe
	s_mul_u64 s[2:3], s[34:35], s[40:41]
	s_wait_alu 0xfffe
	s_lshl_b64 s[2:3], s[2:3], 2
	s_wait_alu 0xfffe
	s_add_nc_u64 s[2:3], s[42:43], s[2:3]
	s_wait_alu 0xfffe
	v_add_co_u32 v0, vcc_lo, s2, v72
	s_wait_alu 0xfffd
	v_add_co_ci_u32_e64 v1, null, s3, v73, vcc_lo
	v_add_co_u32 v2, vcc_lo, s2, v74
	s_wait_alu 0xfffd
	v_add_co_ci_u32_e64 v3, null, s3, v75, vcc_lo
	;; [unrolled: 3-line block ×8, first 2 shown]
	s_clause 0x3
	global_load_b128 v[8:11], v[0:1], off
	global_load_b128 v[12:15], v[2:3], off
	;; [unrolled: 1-line block ×4, first 2 shown]
	s_wait_loadcnt 0x3
	ds_store_b128 v98, v[8:11]
	s_wait_loadcnt 0x2
	ds_store_b128 v99, v[12:15]
	;; [unrolled: 2-line block ×4, first 2 shown]
	s_wait_dscnt 0x0
	s_barrier_signal -1
	s_barrier_wait -1
	global_inv scope:SCOPE_SE
	ds_load_b128 v[10:13], v95
	ds_load_b128 v[21:24], v104
	ds_load_b128 v[25:28], v104 offset:256
	ds_load_b128 v[29:32], v95 offset:4608
	v_dual_mov_b32 v8, 0 :: v_dual_mov_b32 v19, 0
	s_wait_dscnt 0x2
	;;#ASMSTART
	v_dot2_f32_f16 v8, v10, v21, v8
	;;#ASMEND
	;;#ASMSTART
	v_dot2_f32_f16 v8, v11, v22, v8
	;;#ASMEND
	;; [unrolled: 3-line block ×4, first 2 shown]
	s_wait_dscnt 0x1
	;;#ASMSTART
	v_dot2_f32_f16 v19, v10, v25, v19
	;;#ASMEND
	;;#ASMSTART
	v_dot2_f32_f16 v19, v11, v26, v19
	;;#ASMEND
	v_dual_mov_b32 v9, 0 :: v_dual_mov_b32 v20, 0
	;;#ASMSTART
	v_dot2_f32_f16 v19, v12, v27, v19
	;;#ASMEND
	;;#ASMSTART
	v_dot2_f32_f16 v19, v13, v28, v19
	;;#ASMEND
	s_wait_dscnt 0x0
	;;#ASMSTART
	v_dot2_f32_f16 v9, v29, v21, v9
	;;#ASMEND
	;;#ASMSTART
	v_dot2_f32_f16 v9, v30, v22, v9
	;;#ASMEND
	;;#ASMSTART
	v_dot2_f32_f16 v9, v31, v23, v9
	;;#ASMEND
	;;#ASMSTART
	v_dot2_f32_f16 v9, v32, v24, v9
	;;#ASMEND
	;;#ASMSTART
	v_dot2_f32_f16 v20, v29, v25, v20
	;;#ASMEND
	;;#ASMSTART
	v_dot2_f32_f16 v20, v30, v26, v20
	;;#ASMEND
	;;#ASMSTART
	v_dot2_f32_f16 v20, v31, v27, v20
	;;#ASMEND
	;;#ASMSTART
	v_dot2_f32_f16 v20, v32, v28, v20
	;;#ASMEND
	ds_load_b128 v[10:13], v95 offset:16
	ds_load_b128 v[21:24], v104 offset:16
	ds_load_b128 v[25:28], v104 offset:272
	ds_load_b128 v[29:32], v95 offset:4624
	s_wait_dscnt 0x2
	;;#ASMSTART
	v_dot2_f32_f16 v8, v10, v21, v8
	;;#ASMEND
	;;#ASMSTART
	v_dot2_f32_f16 v8, v11, v22, v8
	;;#ASMEND
	;;#ASMSTART
	v_dot2_f32_f16 v8, v12, v23, v8
	;;#ASMEND
	;;#ASMSTART
	v_dot2_f32_f16 v8, v13, v24, v8
	;;#ASMEND
	s_wait_dscnt 0x1
	;;#ASMSTART
	v_dot2_f32_f16 v19, v10, v25, v19
	;;#ASMEND
	;;#ASMSTART
	v_dot2_f32_f16 v19, v11, v26, v19
	;;#ASMEND
	;;#ASMSTART
	v_dot2_f32_f16 v19, v12, v27, v19
	;;#ASMEND
	;;#ASMSTART
	v_dot2_f32_f16 v19, v13, v28, v19
	;;#ASMEND
	s_wait_dscnt 0x0
	;;#ASMSTART
	v_dot2_f32_f16 v9, v29, v21, v9
	;;#ASMEND
	;;#ASMSTART
	v_dot2_f32_f16 v9, v30, v22, v9
	;;#ASMEND
	;;#ASMSTART
	v_dot2_f32_f16 v9, v31, v23, v9
	;;#ASMEND
	;;#ASMSTART
	v_dot2_f32_f16 v9, v32, v24, v9
	;;#ASMEND
	;;#ASMSTART
	v_dot2_f32_f16 v20, v29, v25, v20
	;;#ASMEND
	;;#ASMSTART
	v_dot2_f32_f16 v20, v30, v26, v20
	;;#ASMEND
	;;#ASMSTART
	v_dot2_f32_f16 v20, v31, v27, v20
	;;#ASMEND
	;;#ASMSTART
	v_dot2_f32_f16 v20, v32, v28, v20
	;;#ASMEND
	ds_load_b128 v[10:13], v95 offset:32
	ds_load_b128 v[21:24], v104 offset:32
	ds_load_b128 v[25:28], v104 offset:288
	ds_load_b128 v[29:32], v95 offset:4640
	s_wait_dscnt 0x2
	;;#ASMSTART
	v_dot2_f32_f16 v8, v10, v21, v8
	;;#ASMEND
	;;#ASMSTART
	v_dot2_f32_f16 v8, v11, v22, v8
	;;#ASMEND
	;;#ASMSTART
	v_dot2_f32_f16 v8, v12, v23, v8
	;;#ASMEND
	;;#ASMSTART
	v_dot2_f32_f16 v8, v13, v24, v8
	;;#ASMEND
	s_wait_dscnt 0x1
	;;#ASMSTART
	v_dot2_f32_f16 v19, v10, v25, v19
	;;#ASMEND
	;;#ASMSTART
	v_dot2_f32_f16 v19, v11, v26, v19
	;;#ASMEND
	;; [unrolled: 55-line block ×7, first 2 shown]
	;;#ASMSTART
	v_dot2_f32_f16 v19, v12, v27, v19
	;;#ASMEND
	;;#ASMSTART
	v_dot2_f32_f16 v19, v13, v28, v19
	;;#ASMEND
	s_wait_dscnt 0x0
	;;#ASMSTART
	v_dot2_f32_f16 v9, v29, v21, v9
	;;#ASMEND
	;;#ASMSTART
	v_dot2_f32_f16 v9, v30, v22, v9
	;;#ASMEND
	;; [unrolled: 3-line block ×8, first 2 shown]
	s_wait_loadcnt 0x0
	s_barrier_signal -1
	s_barrier_wait -1
	global_inv scope:SCOPE_SE
	s_clause 0x3
	global_load_b128 v[10:13], v[0:1], off offset:128
	global_load_b128 v[0:3], v[2:3], off offset:128
	;; [unrolled: 1-line block ×4, first 2 shown]
	s_wait_loadcnt 0x3
	ds_store_b128 v98, v[10:13]
	s_wait_loadcnt 0x2
	ds_store_b128 v99, v[0:3]
	;; [unrolled: 2-line block ×4, first 2 shown]
	s_wait_dscnt 0x0
	s_barrier_signal -1
	s_barrier_wait -1
	global_inv scope:SCOPE_SE
	ds_load_b128 v[0:3], v95
	ds_load_b128 v[4:7], v104 offset:128
	ds_load_b128 v[10:13], v104 offset:384
	ds_load_b128 v[21:24], v95 offset:4608
	s_wait_dscnt 0x2
	;;#ASMSTART
	v_dot2_f32_f16 v8, v0, v4, v8
	;;#ASMEND
	;;#ASMSTART
	v_dot2_f32_f16 v8, v1, v5, v8
	;;#ASMEND
	;;#ASMSTART
	v_dot2_f32_f16 v8, v2, v6, v8
	;;#ASMEND
	;;#ASMSTART
	v_dot2_f32_f16 v8, v3, v7, v8
	;;#ASMEND
	s_wait_dscnt 0x1
	;;#ASMSTART
	v_dot2_f32_f16 v19, v0, v10, v19
	;;#ASMEND
	;;#ASMSTART
	v_dot2_f32_f16 v19, v1, v11, v19
	;;#ASMEND
	;;#ASMSTART
	v_dot2_f32_f16 v19, v2, v12, v19
	;;#ASMEND
	;;#ASMSTART
	v_dot2_f32_f16 v19, v3, v13, v19
	;;#ASMEND
	s_wait_dscnt 0x0
	;;#ASMSTART
	v_dot2_f32_f16 v9, v21, v4, v9
	;;#ASMEND
	;;#ASMSTART
	v_dot2_f32_f16 v9, v22, v5, v9
	;;#ASMEND
	;;#ASMSTART
	v_dot2_f32_f16 v9, v23, v6, v9
	;;#ASMEND
	;;#ASMSTART
	v_dot2_f32_f16 v9, v24, v7, v9
	;;#ASMEND
	;;#ASMSTART
	v_dot2_f32_f16 v20, v21, v10, v20
	;;#ASMEND
	;;#ASMSTART
	v_dot2_f32_f16 v20, v22, v11, v20
	;;#ASMEND
	;;#ASMSTART
	v_dot2_f32_f16 v20, v23, v12, v20
	;;#ASMEND
	;;#ASMSTART
	v_dot2_f32_f16 v20, v24, v13, v20
	;;#ASMEND
	ds_load_b128 v[0:3], v95 offset:16
	ds_load_b128 v[4:7], v104 offset:144
	ds_load_b128 v[10:13], v104 offset:400
	ds_load_b128 v[21:24], v95 offset:4624
	s_wait_dscnt 0x2
	;;#ASMSTART
	v_dot2_f32_f16 v8, v0, v4, v8
	;;#ASMEND
	;;#ASMSTART
	v_dot2_f32_f16 v8, v1, v5, v8
	;;#ASMEND
	;;#ASMSTART
	v_dot2_f32_f16 v8, v2, v6, v8
	;;#ASMEND
	;;#ASMSTART
	v_dot2_f32_f16 v8, v3, v7, v8
	;;#ASMEND
	s_wait_dscnt 0x1
	;;#ASMSTART
	v_dot2_f32_f16 v19, v0, v10, v19
	;;#ASMEND
	;;#ASMSTART
	v_dot2_f32_f16 v19, v1, v11, v19
	;;#ASMEND
	;;#ASMSTART
	v_dot2_f32_f16 v19, v2, v12, v19
	;;#ASMEND
	;;#ASMSTART
	v_dot2_f32_f16 v19, v3, v13, v19
	;;#ASMEND
	s_wait_dscnt 0x0
	;;#ASMSTART
	v_dot2_f32_f16 v9, v21, v4, v9
	;;#ASMEND
	;;#ASMSTART
	v_dot2_f32_f16 v9, v22, v5, v9
	;;#ASMEND
	;;#ASMSTART
	v_dot2_f32_f16 v9, v23, v6, v9
	;;#ASMEND
	;;#ASMSTART
	v_dot2_f32_f16 v9, v24, v7, v9
	;;#ASMEND
	;;#ASMSTART
	v_dot2_f32_f16 v20, v21, v10, v20
	;;#ASMEND
	;;#ASMSTART
	v_dot2_f32_f16 v20, v22, v11, v20
	;;#ASMEND
	;;#ASMSTART
	v_dot2_f32_f16 v20, v23, v12, v20
	;;#ASMEND
	;;#ASMSTART
	v_dot2_f32_f16 v20, v24, v13, v20
	;;#ASMEND
	ds_load_b128 v[0:3], v95 offset:32
	;; [unrolled: 55-line block ×7, first 2 shown]
	ds_load_b128 v[4:7], v104 offset:240
	ds_load_b128 v[10:13], v104 offset:496
	;; [unrolled: 1-line block ×3, first 2 shown]
	s_wait_dscnt 0x2
	;;#ASMSTART
	v_dot2_f32_f16 v8, v0, v4, v8
	;;#ASMEND
	;;#ASMSTART
	v_dot2_f32_f16 v8, v1, v5, v8
	;;#ASMEND
	;; [unrolled: 3-line block ×4, first 2 shown]
	s_wait_dscnt 0x1
	;;#ASMSTART
	v_dot2_f32_f16 v19, v0, v10, v19
	;;#ASMEND
	;;#ASMSTART
	v_dot2_f32_f16 v19, v1, v11, v19
	;;#ASMEND
	;;#ASMSTART
	v_dot2_f32_f16 v19, v2, v12, v19
	;;#ASMEND
	;;#ASMSTART
	v_dot2_f32_f16 v19, v3, v13, v19
	;;#ASMEND
	s_wait_dscnt 0x0
	;;#ASMSTART
	v_dot2_f32_f16 v9, v21, v4, v9
	;;#ASMEND
	v_cmp_ngt_f32_e64 s2, 0x3f200000, |v8|
	;;#ASMSTART
	v_dot2_f32_f16 v9, v22, v5, v9
	;;#ASMEND
	;;#ASMSTART
	v_dot2_f32_f16 v9, v23, v6, v9
	;;#ASMEND
	;; [unrolled: 3-line block ×7, first 2 shown]
                                        ; implicit-def: $vgpr3
	s_and_saveexec_b32 s3, s2
	s_wait_alu 0xfffe
	s_xor_b32 s2, exec_lo, s3
	s_cbranch_execz .LBB89_10
; %bb.9:                                ;   in Loop: Header=BB89_8 Depth=1
	v_add_f32_e64 v0, |v8|, |v8|
	s_delay_alu instid0(VALU_DEP_1) | instskip(SKIP_1) | instid1(VALU_DEP_2)
	v_mul_f32_e32 v1, 0x3fb8aa3b, v0
	v_cmp_ngt_f32_e32 vcc_lo, 0xc2ce8ed0, v0
	v_rndne_f32_e32 v2, v1
	v_fma_f32 v3, 0x3fb8aa3b, v0, -v1
	s_delay_alu instid0(VALU_DEP_2) | instskip(NEXT) | instid1(VALU_DEP_2)
	v_sub_f32_e32 v1, v1, v2
	v_fmac_f32_e32 v3, 0x32a5705f, v0
	v_cvt_i32_f32_e32 v2, v2
	s_delay_alu instid0(VALU_DEP_2) | instskip(NEXT) | instid1(VALU_DEP_1)
	v_add_f32_e32 v1, v1, v3
	v_exp_f32_e32 v1, v1
	s_delay_alu instid0(TRANS32_DEP_1) | instskip(SKIP_1) | instid1(VALU_DEP_1)
	v_ldexp_f32 v1, v1, v2
	s_wait_alu 0xfffd
	v_cndmask_b32_e32 v1, 0, v1, vcc_lo
	v_cmp_nlt_f32_e32 vcc_lo, 0x42b17218, v0
	s_wait_alu 0xfffd
	s_delay_alu instid0(VALU_DEP_2) | instskip(NEXT) | instid1(VALU_DEP_1)
	v_cndmask_b32_e32 v0, 0x7f800000, v1, vcc_lo
	v_add_f32_e32 v0, 1.0, v0
	s_delay_alu instid0(VALU_DEP_1) | instskip(NEXT) | instid1(TRANS32_DEP_1)
	v_rcp_f32_e32 v0, v0
	v_fma_f32 v3, v0, -2.0, 1.0
.LBB89_10:                              ;   in Loop: Header=BB89_8 Depth=1
	s_wait_alu 0xfffe
	s_and_not1_saveexec_b32 s2, s2
	s_cbranch_execz .LBB89_12
; %bb.11:                               ;   in Loop: Header=BB89_8 Depth=1
	v_mul_f32_e32 v0, v8, v8
	s_delay_alu instid0(VALU_DEP_1) | instskip(NEXT) | instid1(VALU_DEP_1)
	v_fmaak_f32 v1, s46, v0, 0x3ca908c9
	v_fmaak_f32 v1, v0, v1, 0xbd5c1c4e
	s_delay_alu instid0(VALU_DEP_1) | instskip(NEXT) | instid1(VALU_DEP_1)
	v_fmaak_f32 v1, v0, v1, 0x3e088382
	v_fmaak_f32 v1, v0, v1, 0xbeaaaa99
	s_delay_alu instid0(VALU_DEP_1) | instskip(NEXT) | instid1(VALU_DEP_1)
	v_mul_f32_e64 v1, |v8|, v1
	v_fma_f32 v3, v0, v1, |v8|
.LBB89_12:                              ;   in Loop: Header=BB89_8 Depth=1
	s_wait_alu 0xfffe
	s_or_b32 exec_lo, exec_lo, s2
	v_add_nc_u32_e32 v2, s34, v115
	s_and_not1_b32 vcc_lo, exec_lo, s39
	s_delay_alu instid0(VALU_DEP_1) | instskip(NEXT) | instid1(VALU_DEP_1)
	v_add_nc_u32_e32 v0, v2, v105
	v_ashrrev_i32_e32 v1, 31, v0
	s_wait_alu 0xfffe
	s_cbranch_vccnz .LBB89_34
; %bb.13:                               ;   in Loop: Header=BB89_8 Depth=1
	s_delay_alu instid0(VALU_DEP_1) | instskip(NEXT) | instid1(VALU_DEP_1)
	v_lshlrev_b64_e32 v[4:5], 1, v[0:1]
	v_add_co_u32 v4, vcc_lo, s36, v4
	s_wait_alu 0xfffd
	s_delay_alu instid0(VALU_DEP_2) | instskip(SKIP_3) | instid1(VALU_DEP_1)
	v_add_co_ci_u32_e64 v5, null, s37, v5, vcc_lo
	global_load_u16 v4, v[4:5], off
	s_wait_loadcnt 0x0
	v_cvt_f32_f16_e32 v4, v4
	v_mul_f32_e32 v26, v89, v4
	v_cmp_ngt_f32_e64 s2, 0x3f200000, |v9|
                                        ; implicit-def: $vgpr4
	s_and_saveexec_b32 s3, s2
	s_wait_alu 0xfffe
	s_xor_b32 s2, exec_lo, s3
	s_cbranch_execz .LBB89_15
.LBB89_14:                              ;   in Loop: Header=BB89_8 Depth=1
	v_add_f32_e64 v4, |v9|, |v9|
	s_delay_alu instid0(VALU_DEP_1) | instskip(SKIP_1) | instid1(VALU_DEP_2)
	v_mul_f32_e32 v5, 0x3fb8aa3b, v4
	v_cmp_ngt_f32_e32 vcc_lo, 0xc2ce8ed0, v4
	v_rndne_f32_e32 v6, v5
	v_fma_f32 v7, 0x3fb8aa3b, v4, -v5
	s_delay_alu instid0(VALU_DEP_2) | instskip(NEXT) | instid1(VALU_DEP_2)
	v_sub_f32_e32 v5, v5, v6
	v_fmac_f32_e32 v7, 0x32a5705f, v4
	v_cvt_i32_f32_e32 v6, v6
	s_delay_alu instid0(VALU_DEP_2) | instskip(NEXT) | instid1(VALU_DEP_1)
	v_add_f32_e32 v5, v5, v7
	v_exp_f32_e32 v5, v5
	s_delay_alu instid0(TRANS32_DEP_1) | instskip(SKIP_1) | instid1(VALU_DEP_1)
	v_ldexp_f32 v5, v5, v6
	s_wait_alu 0xfffd
	v_cndmask_b32_e32 v5, 0, v5, vcc_lo
	v_cmp_nlt_f32_e32 vcc_lo, 0x42b17218, v4
	s_wait_alu 0xfffd
	s_delay_alu instid0(VALU_DEP_2) | instskip(NEXT) | instid1(VALU_DEP_1)
	v_cndmask_b32_e32 v4, 0x7f800000, v5, vcc_lo
	v_add_f32_e32 v4, 1.0, v4
	s_delay_alu instid0(VALU_DEP_1) | instskip(NEXT) | instid1(TRANS32_DEP_1)
	v_rcp_f32_e32 v4, v4
	v_fma_f32 v4, v4, -2.0, 1.0
.LBB89_15:                              ;   in Loop: Header=BB89_8 Depth=1
	s_wait_alu 0xfffe
	s_and_not1_saveexec_b32 s2, s2
	s_cbranch_execz .LBB89_18
; %bb.16:                               ;   in Loop: Header=BB89_8 Depth=1
	v_mul_f32_e32 v4, v9, v9
	s_delay_alu instid0(VALU_DEP_1) | instskip(NEXT) | instid1(VALU_DEP_1)
	v_fmaak_f32 v5, s46, v4, 0x3ca908c9
	v_fmaak_f32 v5, v4, v5, 0xbd5c1c4e
	s_delay_alu instid0(VALU_DEP_1) | instskip(NEXT) | instid1(VALU_DEP_1)
	v_fmaak_f32 v5, v4, v5, 0x3e088382
	v_fmaak_f32 v5, v4, v5, 0xbeaaaa99
	s_delay_alu instid0(VALU_DEP_1) | instskip(NEXT) | instid1(VALU_DEP_1)
	v_mul_f32_e64 v5, |v9|, v5
	v_fma_f32 v4, v4, v5, |v9|
	s_wait_alu 0xfffe
	s_or_b32 exec_lo, exec_lo, s2
	s_delay_alu instid0(SALU_CYCLE_1)
	s_and_not1_b32 vcc_lo, exec_lo, s39
	s_wait_alu 0xfffe
	s_cbranch_vccz .LBB89_19
.LBB89_17:                              ;   in Loop: Header=BB89_8 Depth=1
	v_mov_b32_e32 v24, 0
	s_branch .LBB89_20
.LBB89_18:                              ;   in Loop: Header=BB89_8 Depth=1
	s_wait_alu 0xfffe
	s_or_b32 exec_lo, exec_lo, s2
	s_delay_alu instid0(SALU_CYCLE_1)
	s_and_not1_b32 vcc_lo, exec_lo, s39
	s_wait_alu 0xfffe
	s_cbranch_vccnz .LBB89_17
.LBB89_19:                              ;   in Loop: Header=BB89_8 Depth=1
	v_lshlrev_b64_e32 v[0:1], 1, v[0:1]
	s_delay_alu instid0(VALU_DEP_1) | instskip(SKIP_1) | instid1(VALU_DEP_2)
	v_add_co_u32 v0, vcc_lo, s36, v0
	s_wait_alu 0xfffd
	v_add_co_ci_u32_e64 v1, null, s37, v1, vcc_lo
	global_load_u16 v0, v[0:1], off offset:64
	s_wait_loadcnt 0x0
	v_cvt_f32_f16_e32 v0, v0
	s_delay_alu instid0(VALU_DEP_1)
	v_mul_f32_e32 v24, v89, v0
.LBB89_20:                              ;   in Loop: Header=BB89_8 Depth=1
	v_bfi_b32 v0, 0x7fffffff, v3, v8
	v_bfi_b32 v1, 0x7fffffff, v4, v9
	v_xor_b32_e32 v3, 16, v128
	v_cmp_ngt_f32_e64 s2, 0x3f200000, |v19|
                                        ; implicit-def: $vgpr32
	s_delay_alu instid0(VALU_DEP_4) | instskip(NEXT) | instid1(VALU_DEP_4)
	v_fmac_f32_e32 v26, s11, v0
	v_fmac_f32_e32 v24, s11, v1
	s_delay_alu instid0(VALU_DEP_4) | instskip(SKIP_1) | instid1(VALU_DEP_3)
	v_cmp_gt_i32_e32 vcc_lo, 32, v3
	s_wait_alu 0xfffd
	v_dual_add_f32 v1, 0x40051340, v26 :: v_dual_cndmask_b32 v0, v128, v3
	s_delay_alu instid0(VALU_DEP_3) | instskip(NEXT) | instid1(VALU_DEP_2)
	v_add_f32_e32 v3, 0x40051340, v24
	v_lshlrev_b32_e32 v27, 2, v0
	s_delay_alu instid0(VALU_DEP_2)
	v_max3_num_f32 v0, v18, v1, v3
	v_xor_b32_e32 v3, 8, v128
	ds_bpermute_b32 v1, v27, v0
	v_cmp_gt_i32_e32 vcc_lo, 32, v3
	s_wait_alu 0xfffd
	v_cndmask_b32_e32 v3, v128, v3, vcc_lo
	s_delay_alu instid0(VALU_DEP_1) | instskip(SKIP_1) | instid1(VALU_DEP_1)
	v_lshlrev_b32_e32 v28, 2, v3
	v_xor_b32_e32 v3, 4, v128
	v_cmp_gt_i32_e32 vcc_lo, 32, v3
	s_wait_dscnt 0x0
	v_max_num_f32_e32 v1, v1, v1
	s_wait_alu 0xfffd
	v_cndmask_b32_e32 v3, v128, v3, vcc_lo
	s_delay_alu instid0(VALU_DEP_1)
	v_dual_max_num_f32 v0, v0, v1 :: v_dual_lshlrev_b32 v29, 2, v3
	v_xor_b32_e32 v3, 2, v128
	ds_bpermute_b32 v1, v28, v0
	v_cmp_gt_i32_e32 vcc_lo, 32, v3
	s_wait_alu 0xfffd
	v_cndmask_b32_e32 v3, v128, v3, vcc_lo
	s_delay_alu instid0(VALU_DEP_1) | instskip(SKIP_1) | instid1(VALU_DEP_1)
	v_lshlrev_b32_e32 v25, 2, v3
	v_xor_b32_e32 v3, 1, v128
	v_cmp_gt_i32_e32 vcc_lo, 32, v3
	s_wait_alu 0xfffd
	v_cndmask_b32_e32 v3, v128, v3, vcc_lo
	s_wait_dscnt 0x0
	s_delay_alu instid0(VALU_DEP_1) | instskip(NEXT) | instid1(VALU_DEP_1)
	v_dual_max_num_f32 v1, v1, v1 :: v_dual_lshlrev_b32 v22, 2, v3
	v_max_num_f32_e32 v0, v0, v1
	ds_bpermute_b32 v1, v29, v0
	s_wait_dscnt 0x0
	v_max_num_f32_e32 v1, v1, v1
	s_delay_alu instid0(VALU_DEP_1) | instskip(SKIP_3) | instid1(VALU_DEP_1)
	v_max_num_f32_e32 v0, v0, v1
	ds_bpermute_b32 v1, v25, v0
	s_wait_dscnt 0x0
	v_max_num_f32_e32 v1, v1, v1
	v_max_num_f32_e32 v30, v0, v1
	ds_bpermute_b32 v31, v22, v30
	s_and_saveexec_b32 s3, s2
	s_wait_alu 0xfffe
	s_xor_b32 s2, exec_lo, s3
	s_cbranch_execz .LBB89_22
; %bb.21:                               ;   in Loop: Header=BB89_8 Depth=1
	v_add_f32_e64 v0, |v19|, |v19|
	s_delay_alu instid0(VALU_DEP_1) | instskip(SKIP_1) | instid1(VALU_DEP_2)
	v_mul_f32_e32 v1, 0x3fb8aa3b, v0
	v_cmp_ngt_f32_e32 vcc_lo, 0xc2ce8ed0, v0
	v_rndne_f32_e32 v3, v1
	v_fma_f32 v4, 0x3fb8aa3b, v0, -v1
	s_delay_alu instid0(VALU_DEP_1) | instskip(SKIP_1) | instid1(VALU_DEP_2)
	v_dual_sub_f32 v1, v1, v3 :: v_dual_fmac_f32 v4, 0x32a5705f, v0
	v_cvt_i32_f32_e32 v3, v3
	v_add_f32_e32 v1, v1, v4
	s_delay_alu instid0(VALU_DEP_1) | instskip(NEXT) | instid1(TRANS32_DEP_1)
	v_exp_f32_e32 v1, v1
	v_ldexp_f32 v1, v1, v3
	s_wait_alu 0xfffd
	s_delay_alu instid0(VALU_DEP_1) | instskip(SKIP_2) | instid1(VALU_DEP_2)
	v_cndmask_b32_e32 v1, 0, v1, vcc_lo
	v_cmp_nlt_f32_e32 vcc_lo, 0x42b17218, v0
	s_wait_alu 0xfffd
	v_cndmask_b32_e32 v0, 0x7f800000, v1, vcc_lo
	s_delay_alu instid0(VALU_DEP_1) | instskip(NEXT) | instid1(VALU_DEP_1)
	v_add_f32_e32 v0, 1.0, v0
	v_rcp_f32_e32 v0, v0
	s_delay_alu instid0(TRANS32_DEP_1)
	v_fma_f32 v32, v0, -2.0, 1.0
.LBB89_22:                              ;   in Loop: Header=BB89_8 Depth=1
	s_wait_alu 0xfffe
	s_and_not1_saveexec_b32 s2, s2
	s_cbranch_execz .LBB89_24
; %bb.23:                               ;   in Loop: Header=BB89_8 Depth=1
	v_mul_f32_e32 v0, v19, v19
	s_delay_alu instid0(VALU_DEP_1) | instskip(NEXT) | instid1(VALU_DEP_1)
	v_fmaak_f32 v1, s46, v0, 0x3ca908c9
	v_fmaak_f32 v1, v0, v1, 0xbd5c1c4e
	s_delay_alu instid0(VALU_DEP_1) | instskip(NEXT) | instid1(VALU_DEP_1)
	v_fmaak_f32 v1, v0, v1, 0x3e088382
	v_fmaak_f32 v1, v0, v1, 0xbeaaaa99
	s_delay_alu instid0(VALU_DEP_1) | instskip(NEXT) | instid1(VALU_DEP_1)
	v_mul_f32_e64 v1, |v19|, v1
	v_fma_f32 v32, v0, v1, |v19|
.LBB89_24:                              ;   in Loop: Header=BB89_8 Depth=1
	s_wait_alu 0xfffe
	s_or_b32 exec_lo, exec_lo, s2
	v_add_nc_u32_e32 v0, v2, v107
	s_and_not1_b32 vcc_lo, exec_lo, s39
	s_delay_alu instid0(VALU_DEP_1)
	v_ashrrev_i32_e32 v1, 31, v0
	s_wait_alu 0xfffe
	s_cbranch_vccnz .LBB89_35
; %bb.25:                               ;   in Loop: Header=BB89_8 Depth=1
	s_delay_alu instid0(VALU_DEP_1) | instskip(NEXT) | instid1(VALU_DEP_1)
	v_lshlrev_b64_e32 v[2:3], 1, v[0:1]
	v_add_co_u32 v2, vcc_lo, s36, v2
	s_wait_alu 0xfffd
	s_delay_alu instid0(VALU_DEP_2) | instskip(SKIP_3) | instid1(VALU_DEP_1)
	v_add_co_ci_u32_e64 v3, null, s37, v3, vcc_lo
	global_load_u16 v2, v[2:3], off
	s_wait_loadcnt 0x0
	v_cvt_f32_f16_e32 v2, v2
	v_mul_f32_e32 v21, v89, v2
	v_cmp_ngt_f32_e64 s2, 0x3f200000, |v20|
                                        ; implicit-def: $vgpr33
	s_and_saveexec_b32 s3, s2
	s_wait_alu 0xfffe
	s_xor_b32 s2, exec_lo, s3
	s_cbranch_execz .LBB89_27
.LBB89_26:                              ;   in Loop: Header=BB89_8 Depth=1
	v_add_f32_e64 v2, |v20|, |v20|
	s_delay_alu instid0(VALU_DEP_1) | instskip(SKIP_1) | instid1(VALU_DEP_2)
	v_mul_f32_e32 v3, 0x3fb8aa3b, v2
	v_cmp_ngt_f32_e32 vcc_lo, 0xc2ce8ed0, v2
	v_rndne_f32_e32 v4, v3
	v_fma_f32 v5, 0x3fb8aa3b, v2, -v3
	s_delay_alu instid0(VALU_DEP_2) | instskip(NEXT) | instid1(VALU_DEP_2)
	v_sub_f32_e32 v3, v3, v4
	v_fmac_f32_e32 v5, 0x32a5705f, v2
	v_cvt_i32_f32_e32 v4, v4
	s_delay_alu instid0(VALU_DEP_2) | instskip(NEXT) | instid1(VALU_DEP_1)
	v_add_f32_e32 v3, v3, v5
	v_exp_f32_e32 v3, v3
	s_delay_alu instid0(TRANS32_DEP_1) | instskip(SKIP_1) | instid1(VALU_DEP_1)
	v_ldexp_f32 v3, v3, v4
	s_wait_alu 0xfffd
	v_cndmask_b32_e32 v3, 0, v3, vcc_lo
	v_cmp_nlt_f32_e32 vcc_lo, 0x42b17218, v2
	s_wait_alu 0xfffd
	s_delay_alu instid0(VALU_DEP_2) | instskip(NEXT) | instid1(VALU_DEP_1)
	v_cndmask_b32_e32 v2, 0x7f800000, v3, vcc_lo
	v_add_f32_e32 v2, 1.0, v2
	s_delay_alu instid0(VALU_DEP_1) | instskip(NEXT) | instid1(TRANS32_DEP_1)
	v_rcp_f32_e32 v2, v2
	v_fma_f32 v33, v2, -2.0, 1.0
.LBB89_27:                              ;   in Loop: Header=BB89_8 Depth=1
	s_wait_alu 0xfffe
	s_and_not1_saveexec_b32 s2, s2
	s_cbranch_execz .LBB89_30
; %bb.28:                               ;   in Loop: Header=BB89_8 Depth=1
	v_mul_f32_e32 v2, v20, v20
	s_delay_alu instid0(VALU_DEP_1) | instskip(NEXT) | instid1(VALU_DEP_1)
	v_fmaak_f32 v3, s46, v2, 0x3ca908c9
	v_fmaak_f32 v3, v2, v3, 0xbd5c1c4e
	s_delay_alu instid0(VALU_DEP_1) | instskip(NEXT) | instid1(VALU_DEP_1)
	v_fmaak_f32 v3, v2, v3, 0x3e088382
	v_fmaak_f32 v3, v2, v3, 0xbeaaaa99
	s_delay_alu instid0(VALU_DEP_1) | instskip(NEXT) | instid1(VALU_DEP_1)
	v_mul_f32_e64 v3, |v20|, v3
	v_fma_f32 v33, v2, v3, |v20|
	s_wait_alu 0xfffe
	s_or_b32 exec_lo, exec_lo, s2
	s_delay_alu instid0(SALU_CYCLE_1)
	s_and_not1_b32 vcc_lo, exec_lo, s39
	s_wait_alu 0xfffe
	s_cbranch_vccz .LBB89_31
.LBB89_29:                              ;   in Loop: Header=BB89_8 Depth=1
	v_mov_b32_e32 v23, 0
	s_branch .LBB89_32
.LBB89_30:                              ;   in Loop: Header=BB89_8 Depth=1
	s_wait_alu 0xfffe
	s_or_b32 exec_lo, exec_lo, s2
	s_delay_alu instid0(SALU_CYCLE_1)
	s_and_not1_b32 vcc_lo, exec_lo, s39
	s_wait_alu 0xfffe
	s_cbranch_vccnz .LBB89_29
.LBB89_31:                              ;   in Loop: Header=BB89_8 Depth=1
	v_lshlrev_b64_e32 v[0:1], 1, v[0:1]
	s_delay_alu instid0(VALU_DEP_1) | instskip(SKIP_1) | instid1(VALU_DEP_2)
	v_add_co_u32 v0, vcc_lo, s36, v0
	s_wait_alu 0xfffd
	v_add_co_ci_u32_e64 v1, null, s37, v1, vcc_lo
	global_load_u16 v0, v[0:1], off offset:64
	s_wait_loadcnt 0x0
	v_cvt_f32_f16_e32 v0, v0
	s_delay_alu instid0(VALU_DEP_1)
	v_mul_f32_e32 v23, v89, v0
.LBB89_32:                              ;   in Loop: Header=BB89_8 Depth=1
	s_mul_u64 s[2:3], s[34:35], s[26:27]
	s_wait_loadcnt_dscnt 0x0
	s_wait_alu 0xfffe
	s_lshl_b64 s[2:3], s[2:3], 2
	s_barrier_signal -1
	s_wait_alu 0xfffe
	s_add_nc_u64 s[4:5], s[24:25], s[2:3]
	s_barrier_wait -1
	s_wait_alu 0xfffe
	v_add_co_u32 v0, vcc_lo, s4, v80
	v_add_co_u32 v2, s2, s4, v82
	s_wait_alu 0xfffd
	v_add_co_ci_u32_e64 v1, null, s5, v81, vcc_lo
	s_wait_alu 0xf1ff
	v_add_co_ci_u32_e64 v3, null, s5, v83, s2
	v_add_co_u32 v0, vcc_lo, v0, v127
	s_wait_alu 0xfffd
	v_add_co_ci_u32_e64 v1, null, 0, v1, vcc_lo
	v_add_co_u32 v4, vcc_lo, v2, v127
	s_wait_alu 0xfffd
	v_add_co_ci_u32_e64 v5, null, 0, v3, vcc_lo
	;; [unrolled: 3-line block ×6, first 2 shown]
	global_inv scope:SCOPE_SE
	s_clause 0x3
	global_load_b128 v[0:3], v[0:1], off
	global_load_b128 v[4:7], v[4:5], off
	;; [unrolled: 1-line block ×4, first 2 shown]
	v_bfi_b32 v19, 0x7fffffff, v32, v19
	v_bfi_b32 v20, 0x7fffffff, v33, v20
	s_or_b32 s2, s34, 32
	v_add_nc_u32_e32 v66, 0x800, v117
	s_wait_alu 0xfffe
	s_ashr_i32 s3, s2, 31
	v_fmac_f32_e32 v21, s11, v19
	v_fmac_f32_e32 v23, s11, v20
	s_wait_alu 0xfffe
	s_mul_u64 s[2:3], s[2:3], s[26:27]
	s_wait_alu 0xfffe
	s_lshl_b64 s[2:3], s[2:3], 2
	v_dual_add_f32 v19, 0x40051340, v21 :: v_dual_add_f32 v20, 0x40051340, v23
	s_wait_alu 0xfffe
	s_add_nc_u64 s[4:5], s[24:25], s[2:3]
	s_delay_alu instid0(VALU_DEP_1) | instskip(SKIP_3) | instid1(VALU_DEP_1)
	v_max3_num_f32 v19, v17, v19, v20
	ds_bpermute_b32 v20, v27, v19
	s_wait_dscnt 0x0
	v_max_num_f32_e32 v20, v20, v20
	v_max_num_f32_e32 v19, v19, v20
	ds_bpermute_b32 v20, v28, v19
	s_wait_dscnt 0x0
	v_max_num_f32_e32 v20, v20, v20
	s_delay_alu instid0(VALU_DEP_1) | instskip(SKIP_3) | instid1(VALU_DEP_1)
	v_max_num_f32_e32 v27, v19, v20
	v_max_num_f32_e32 v20, v31, v31
	ds_bpermute_b32 v28, v29, v27
	v_max_num_f32_e32 v29, v30, v30
	v_dual_max_num_f32 v100, v29, v20 :: v_dual_add_nc_u32 v19, v108, v113
	v_add_nc_u32_e32 v65, 0x1000, v117
	v_add_nc_u32_e32 v129, 0x1800, v117
	s_wait_alu 0xfffe
	v_add_co_u32 v29, s3, s4, v84
	v_sub_f32_e32 v24, v24, v100
	v_sub_f32_e32 v18, v18, v100
	;; [unrolled: 1-line block ×3, first 2 shown]
	s_delay_alu instid0(VALU_DEP_4) | instskip(NEXT) | instid1(VALU_DEP_3)
	v_add_co_u32 v58, s9, v29, v127
	v_dual_mul_f32 v36, 0x3fb8aa3b, v24 :: v_dual_mul_f32 v37, 0x3fb8aa3b, v18
	v_cmp_ngt_f32_e64 s6, 0xc2ce8ed0, v24
	s_delay_alu instid0(VALU_DEP_4)
	v_mul_f32_e32 v35, 0x3fb8aa3b, v20
	s_wait_dscnt 0x0
	v_max_num_f32_e32 v26, v28, v28
	v_add_co_u32 v28, vcc_lo, s4, v80
	v_rndne_f32_e32 v29, v36
	s_wait_alu 0xfffd
	v_add_co_ci_u32_e64 v31, null, s5, v81, vcc_lo
	s_delay_alu instid0(VALU_DEP_3)
	v_add_co_u32 v60, s7, v28, v127
	v_fma_f32 v28, 0x3fb8aa3b, v24, -v36
	v_cmp_nlt_f32_e32 vcc_lo, 0x42b17218, v24
	s_wait_alu 0xf1ff
	v_add_co_ci_u32_e64 v61, null, 0, v31, s7
	v_rndne_f32_e32 v31, v37
	v_fmac_f32_e32 v28, 0x32a5705f, v24
	v_sub_f32_e32 v24, v36, v29
	v_max_num_f32_e32 v26, v27, v26
	v_add_co_u32 v27, s2, s4, v82
	v_add_co_u32 v30, s4, s4, v86
	ds_bpermute_b32 v25, v25, v26
	s_wait_alu 0xf1ff
	v_add_co_ci_u32_e64 v32, null, s5, v83, s2
	v_add_co_u32 v56, s10, v30, v127
	v_fma_f32 v30, 0x3fb8aa3b, v18, -v37
	v_add_co_ci_u32_e64 v34, null, s5, v87, s4
	v_cmp_ngt_f32_e64 s4, 0xc2ce8ed0, v18
	v_cmp_nlt_f32_e64 s2, 0x42b17218, v18
	v_add_co_u32 v62, s8, v27, v127
	v_rndne_f32_e32 v27, v35
	v_add_co_ci_u32_e64 v33, null, s5, v85, s3
	v_cmp_ngt_f32_e64 s5, 0xc2ce8ed0, v20
	v_cmp_nlt_f32_e64 s3, 0x42b17218, v20
	s_wait_alu 0xf1ff
	v_add_co_ci_u32_e64 v63, null, 0, v32, s8
	v_add_co_ci_u32_e64 v59, null, 0, v33, s9
	s_wait_dscnt 0x0
	v_max_num_f32_e32 v25, v25, v25
	v_add_co_ci_u32_e64 v57, null, 0, v34, s10
	s_delay_alu instid0(VALU_DEP_2) | instskip(SKIP_4) | instid1(VALU_DEP_1)
	v_max_num_f32_e32 v25, v26, v25
	v_fma_f32 v26, 0x3fb8aa3b, v20, -v35
	ds_bpermute_b32 v22, v22, v25
	s_wait_dscnt 0x0
	v_max_num_f32_e32 v22, v22, v22
	v_dual_fmac_f32 v26, 0x32a5705f, v20 :: v_dual_max_num_f32 v101, v25, v22
	v_fmac_f32_e32 v30, 0x32a5705f, v18
	v_cvt_i32_f32_e32 v25, v31
	v_sub_f32_e32 v20, v35, v27
	v_cvt_i32_f32_e32 v22, v29
	v_sub_f32_e32 v17, v17, v101
	v_dual_sub_f32 v18, v37, v31 :: v_dual_sub_f32 v23, v23, v101
	v_dual_sub_f32 v21, v21, v101 :: v_dual_add_f32 v24, v24, v28
	s_delay_alu instid0(VALU_DEP_2) | instskip(NEXT) | instid1(VALU_DEP_2)
	v_add_f32_e32 v18, v18, v30
	v_exp_f32_e32 v24, v24
	s_delay_alu instid0(VALU_DEP_1) | instskip(NEXT) | instid1(TRANS32_DEP_2)
	v_exp_f32_e32 v18, v18
	v_ldexp_f32 v22, v24, v22
	s_delay_alu instid0(TRANS32_DEP_1) | instskip(SKIP_1) | instid1(VALU_DEP_3)
	v_ldexp_f32 v18, v18, v25
	v_mul_f32_e32 v25, 0x3fb8aa3b, v17
	v_cndmask_b32_e64 v22, 0, v22, s6
	s_delay_alu instid0(VALU_DEP_3) | instskip(NEXT) | instid1(VALU_DEP_3)
	v_cndmask_b32_e64 v18, 0, v18, s4
	v_rndne_f32_e32 v29, v25
	v_add_f32_e32 v20, v20, v26
	v_fma_f32 v28, 0x3fb8aa3b, v17, -v25
	v_cvt_i32_f32_e32 v26, v27
	s_wait_alu 0xfffd
	v_dual_cndmask_b32 v22, 0x7f800000, v22 :: v_dual_sub_f32 v25, v25, v29
	v_exp_f32_e32 v20, v20
	v_cndmask_b32_e64 v18, 0x7f800000, v18, s2
	v_cmp_ngt_f32_e32 vcc_lo, 0xc2ce8ed0, v21
	v_cmp_ngt_f32_e64 s2, 0xc2ce8ed0, v17
	v_cmp_nlt_f32_e64 s4, 0x42b17218, v17
	s_delay_alu instid0(TRANS32_DEP_1) | instskip(NEXT) | instid1(VALU_DEP_1)
	v_ldexp_f32 v20, v20, v26
	v_cndmask_b32_e64 v20, 0, v20, s5
	v_cmp_nlt_f32_e64 s5, 0x42b17218, v23
	s_delay_alu instid0(VALU_DEP_2) | instskip(SKIP_2) | instid1(VALU_DEP_3)
	v_cndmask_b32_e64 v20, 0x7f800000, v20, s3
	v_mul_f32_e32 v24, 0x3fb8aa3b, v21
	v_cmp_ngt_f32_e64 s3, 0xc2ce8ed0, v23
	v_add_f32_e32 v123, v20, v22
	s_delay_alu instid0(VALU_DEP_3) | instskip(SKIP_1) | instid1(VALU_DEP_3)
	v_fma_f32 v27, 0x3fb8aa3b, v21, -v24
	v_rndne_f32_e32 v30, v24
	v_dual_fmac_f32 v28, 0x32a5705f, v17 :: v_dual_fmac_f32 v123, v16, v18
	s_delay_alu instid0(VALU_DEP_2) | instskip(NEXT) | instid1(VALU_DEP_2)
	v_dual_fmac_f32 v27, 0x32a5705f, v21 :: v_dual_sub_f32 v24, v24, v30
	v_add_f32_e32 v25, v25, v28
	v_cvt_i32_f32_e32 v28, v30
	s_delay_alu instid0(VALU_DEP_3) | instskip(NEXT) | instid1(VALU_DEP_3)
	v_add_f32_e32 v24, v24, v27
	v_exp_f32_e32 v25, v25
	v_cvt_i32_f32_e32 v27, v29
	s_delay_alu instid0(VALU_DEP_2)
	v_exp_f32_e32 v24, v24
	s_delay_alu instid0(TRANS32_DEP_2) | instid1(VALU_DEP_1)
	v_ldexp_f32 v25, v25, v27
	s_delay_alu instid0(TRANS32_DEP_1) | instskip(SKIP_2) | instid1(VALU_DEP_3)
	v_ldexp_f32 v17, v24, v28
	v_mul_f32_e32 v26, 0x3fb8aa3b, v23
	s_wait_alu 0xf1ff
	v_cndmask_b32_e64 v25, 0, v25, s2
	v_cmp_nlt_f32_e64 s2, 0x42b17218, v21
	s_wait_alu 0xfffd
	v_cndmask_b32_e32 v17, 0, v17, vcc_lo
	v_fma_f32 v31, 0x3fb8aa3b, v23, -v26
	v_rndne_f32_e32 v32, v26
	v_cndmask_b32_e64 v67, 0x7f800000, v25, s4
	s_wait_alu 0xf1ff
	v_cndmask_b32_e64 v17, 0x7f800000, v17, s2
	s_delay_alu instid0(VALU_DEP_3) | instskip(SKIP_4) | instid1(VALU_DEP_2)
	v_dual_fmac_f32 v31, 0x32a5705f, v23 :: v_dual_sub_f32 v26, v26, v32
	v_cvt_i32_f32_e32 v29, v32
	v_cvt_f16_f32_e32 v23, v20
	v_cvt_f16_f32_e32 v25, v67
	;; [unrolled: 1-line block ×3, first 2 shown]
	v_dual_add_f32 v26, v26, v31 :: v_dual_and_b32 v25, 0xffff, v25
	s_delay_alu instid0(VALU_DEP_2) | instskip(NEXT) | instid1(VALU_DEP_2)
	v_pack_b32_f16 v20, v23, v27
	v_exp_f32_e32 v26, v26
	s_delay_alu instid0(VALU_DEP_2) | instskip(NEXT) | instid1(VALU_DEP_1)
	v_mul_u32_u24_e32 v159, 0x10001, v25
	v_pk_mul_f16 v120, v120, v159
	s_delay_alu instid0(TRANS32_DEP_1) | instskip(SKIP_1) | instid1(VALU_DEP_2)
	v_ldexp_f32 v24, v26, v29
	v_cvt_f16_f32_e32 v26, v22
	v_cndmask_b32_e64 v21, 0, v24, s3
	v_cvt_f16_f32_e32 v24, v18
	s_delay_alu instid0(VALU_DEP_2) | instskip(NEXT) | instid1(VALU_DEP_2)
	v_cndmask_b32_e64 v21, 0x7f800000, v21, s5
	v_and_b32_e32 v24, 0xffff, v24
	s_delay_alu instid0(VALU_DEP_2) | instskip(NEXT) | instid1(VALU_DEP_2)
	v_cvt_f16_f32_e32 v28, v21
	v_mul_u32_u24_e32 v158, 0x10001, v24
	v_add_f32_e32 v122, v17, v21
	s_delay_alu instid0(VALU_DEP_3) | instskip(NEXT) | instid1(VALU_DEP_3)
	v_pack_b32_f16 v22, v26, v28
	v_pk_mul_f16 v121, v121, v158
	ds_store_2addr_b32 v19, v20, v22 offset1:32
	s_wait_loadcnt 0x3
	ds_store_b128 v106, v[0:3]
	s_wait_loadcnt 0x2
	ds_store_b128 v109, v[4:7]
	;; [unrolled: 2-line block ×4, first 2 shown]
	s_wait_dscnt 0x0
	s_barrier_signal -1
	s_barrier_wait -1
	global_inv scope:SCOPE_SE
	ds_load_b128 v[52:55], v108
	ds_load_2addr_b64 v[68:71], v117 offset1:32
	ds_load_b128 v[130:133], v108 offset:16
	ds_load_b128 v[134:137], v108 offset:32
	;; [unrolled: 1-line block ×3, first 2 shown]
	ds_load_2addr_b64 v[142:145], v117 offset0:64 offset1:96
	ds_load_2addr_b64 v[48:51], v117 offset0:128 offset1:160
	;; [unrolled: 1-line block ×3, first 2 shown]
	ds_load_2addr_b64 v[40:43], v66 offset1:32
	ds_load_2addr_b64 v[36:39], v66 offset0:64 offset1:96
	ds_load_2addr_b64 v[32:35], v66 offset0:128 offset1:160
	;; [unrolled: 1-line block ×3, first 2 shown]
	ds_load_2addr_b64 v[20:23], v65 offset1:32
	ds_load_2addr_b64 v[12:15], v65 offset0:64 offset1:96
	ds_load_2addr_b64 v[8:11], v65 offset0:128 offset1:160
	ds_load_b128 v[146:149], v108 offset:64
	ds_load_b128 v[150:153], v108 offset:80
	ds_load_2addr_b64 v[4:7], v65 offset0:192 offset1:224
	ds_load_2addr_b64 v[0:3], v129 offset1:32
	ds_load_2addr_b64 v[24:27], v129 offset0:64 offset1:96
	ds_load_2addr_b64 v[16:19], v129 offset0:128 offset1:160
	ds_load_b128 v[154:157], v108 offset:96
	s_wait_dscnt 0x15
	v_lshrrev_b32_e32 v160, 16, v52
	v_and_b32_e32 v52, 0xffff, v52
	v_lshrrev_b32_e32 v161, 16, v53
	v_and_b32_e32 v162, 0xffff, v53
	s_wait_dscnt 0x13
	v_lshrrev_b32_e32 v167, 16, v130
	v_mul_u32_u24_e32 v160, 0x10001, v160
	v_mul_u32_u24_e32 v189, 0x10001, v52
	v_and_b32_e32 v168, 0xffff, v130
	v_lshrrev_b32_e32 v169, 16, v131
	v_and_b32_e32 v170, 0xffff, v131
	v_lshrrev_b32_e32 v171, 16, v132
	;; [unrolled: 2-line block ×3, first 2 shown]
	v_and_b32_e32 v174, 0xffff, v133
	v_pk_mul_f16 v52, v68, v189
	v_pk_mul_f16 v53, v68, v160
	ds_load_b128 v[130:133], v108 offset:112
	v_lshrrev_b32_e32 v163, 16, v54
	v_and_b32_e32 v164, 0xffff, v54
	v_pk_fma_f16 v68, v119, v158, v52
	v_pk_fma_f16 v118, v118, v159, v53
	v_mul_u32_u24_e32 v119, 0x10001, v162
	v_pk_fma_f16 v121, v69, v189, v121
	v_mul_u32_u24_e32 v159, 0x10001, v161
	v_pk_fma_f16 v69, v69, v160, v120
	v_lshrrev_b32_e32 v165, 16, v55
	v_and_b32_e32 v166, 0xffff, v55
	v_pk_fma_f16 v121, v71, v119, v121
	v_pk_fma_f16 v119, v70, v119, v68
	;; [unrolled: 1-line block ×4, first 2 shown]
	v_mul_u32_u24_e32 v162, 0x10001, v164
	v_mul_u32_u24_e32 v163, 0x10001, v163
	;; [unrolled: 1-line block ×4, first 2 shown]
	ds_load_2addr_b64 v[52:55], v129 offset0:192 offset1:224
	s_wait_dscnt 0x12
	v_pk_fma_f16 v121, v143, v162, v121
	v_pk_fma_f16 v119, v142, v162, v119
	;; [unrolled: 1-line block ×4, first 2 shown]
	s_wait_loadcnt_dscnt 0x0
	s_barrier_signal -1
	s_barrier_wait -1
	global_inv scope:SCOPE_SE
	s_clause 0x1
	global_load_b128 v[68:71], v[60:61], off
	global_load_b128 v[60:63], v[62:63], off
	v_lshrrev_b32_e32 v162, 16, v130
	v_and_b32_e32 v142, 0xffff, v130
	v_pk_fma_f16 v121, v145, v164, v121
	v_pk_fma_f16 v119, v144, v164, v119
	v_lshrrev_b32_e32 v160, 16, v131
	v_pk_fma_f16 v143, v145, v165, v143
	v_pk_fma_f16 v118, v144, v165, v118
	v_and_b32_e32 v144, 0xffff, v131
	v_lshrrev_b32_e32 v145, 16, v132
	v_and_b32_e32 v163, 0xffff, v132
	v_lshrrev_b32_e32 v164, 16, v133
	v_and_b32_e32 v165, 0xffff, v133
	s_clause 0x1
	global_load_b128 v[130:133], v[58:59], off
	global_load_b128 v[56:59], v[56:57], off
	v_mul_u32_u24_e32 v166, 0x10001, v168
	v_mul_u32_u24_e32 v167, 0x10001, v167
	;; [unrolled: 1-line block ×5, first 2 shown]
	v_pk_fma_f16 v121, v49, v166, v121
	v_pk_fma_f16 v49, v49, v167, v143
	;; [unrolled: 1-line block ×4, first 2 shown]
	v_mul_u32_u24_e32 v171, 0x10001, v171
	v_pk_fma_f16 v121, v51, v168, v121
	v_pk_fma_f16 v49, v51, v169, v49
	v_pk_fma_f16 v51, v50, v168, v119
	v_pk_fma_f16 v48, v50, v169, v48
	v_lshrrev_b32_e32 v175, 16, v134
	v_and_b32_e32 v134, 0xffff, v134
	v_mul_u32_u24_e32 v172, 0x10001, v174
	v_mul_u32_u24_e32 v173, 0x10001, v173
	v_pk_fma_f16 v119, v45, v170, v121
	v_pk_fma_f16 v45, v45, v171, v49
	v_pk_fma_f16 v49, v44, v170, v51
	v_pk_fma_f16 v44, v44, v171, v48
	v_lshrrev_b32_e32 v176, 16, v135
	v_and_b32_e32 v135, 0xffff, v135
	v_mul_u32_u24_e32 v134, 0x10001, v134
	;; [unrolled: 8-line block ×11, first 2 shown]
	v_mul_u32_u24_e32 v183, 0x10001, v184
	v_pk_fma_f16 v33, v21, v146, v35
	v_pk_fma_f16 v21, v21, v182, v29
	;; [unrolled: 1-line block ×4, first 2 shown]
	v_lshrrev_b32_e32 v186, 16, v149
	v_dual_fmac_f32 v122, v64, v67 :: v_dual_and_b32 v149, 0xffff, v149
	v_mul_u32_u24_e32 v148, 0x10001, v148
	v_mul_u32_u24_e32 v184, 0x10001, v185
	v_pk_fma_f16 v31, v23, v147, v33
	v_pk_fma_f16 v21, v23, v183, v21
	v_pk_fma_f16 v23, v22, v147, v29
	v_pk_fma_f16 v20, v22, v183, v20
	v_lshrrev_b32_e32 v187, 16, v150
	v_and_b32_e32 v150, 0xffff, v150
	v_mul_u32_u24_e32 v118, 0x10001, v149
	v_mul_u32_u24_e32 v50, 0x10001, v186
	v_pk_fma_f16 v29, v13, v148, v31
	v_pk_fma_f16 v13, v13, v184, v21
	v_pk_fma_f16 v21, v12, v148, v23
	v_pk_fma_f16 v12, v12, v184, v20
	v_lshrrev_b32_e32 v188, 16, v151
	v_and_b32_e32 v151, 0xffff, v151
	v_mul_u32_u24_e32 v48, 0x10001, v150
	v_mul_u32_u24_e32 v46, 0x10001, v187
	v_pk_fma_f16 v23, v15, v118, v29
	v_pk_fma_f16 v13, v15, v50, v13
	v_pk_fma_f16 v15, v14, v118, v21
	v_pk_fma_f16 v12, v14, v50, v12
	v_lshrrev_b32_e32 v190, 16, v152
	v_and_b32_e32 v152, 0xffff, v152
	v_mul_u32_u24_e32 v44, 0x10001, v151
	v_mul_u32_u24_e32 v42, 0x10001, v188
	v_pk_fma_f16 v21, v9, v48, v23
	v_pk_fma_f16 v9, v9, v46, v13
	v_pk_fma_f16 v13, v8, v48, v15
	v_pk_fma_f16 v8, v8, v46, v12
	v_lshrrev_b32_e32 v191, 16, v153
	v_and_b32_e32 v153, 0xffff, v153
	v_mul_u32_u24_e32 v40, 0x10001, v152
	v_mul_u32_u24_e32 v38, 0x10001, v190
	v_pk_fma_f16 v15, v11, v44, v21
	v_pk_fma_f16 v9, v11, v42, v9
	v_pk_fma_f16 v11, v10, v44, v13
	v_pk_fma_f16 v8, v10, v42, v8
	v_lshrrev_b32_e32 v158, 16, v154
	v_and_b32_e32 v120, 0xffff, v154
	v_mul_u32_u24_e32 v36, 0x10001, v153
	v_mul_u32_u24_e32 v34, 0x10001, v191
	v_pk_fma_f16 v13, v5, v40, v15
	v_pk_fma_f16 v5, v5, v38, v9
	v_pk_fma_f16 v9, v4, v40, v11
	v_pk_fma_f16 v4, v4, v38, v8
	v_lshrrev_b32_e32 v154, 16, v155
	v_and_b32_e32 v155, 0xffff, v155
	v_mul_u32_u24_e32 v32, 0x10001, v120
	v_mul_u32_u24_e32 v30, 0x10001, v158
	v_pk_fma_f16 v11, v7, v36, v13
	v_pk_fma_f16 v5, v7, v34, v5
	v_pk_fma_f16 v7, v6, v36, v9
	v_pk_fma_f16 v4, v6, v34, v4
	v_lshrrev_b32_e32 v159, 16, v156
	v_and_b32_e32 v156, 0xffff, v156
	v_mul_u32_u24_e32 v28, 0x10001, v155
	v_mul_u32_u24_e32 v22, 0x10001, v154
	v_pk_fma_f16 v9, v1, v32, v11
	v_pk_fma_f16 v1, v1, v30, v5
	v_pk_fma_f16 v5, v0, v32, v7
	v_pk_fma_f16 v0, v0, v30, v4
	v_lshrrev_b32_e32 v161, 16, v157
	v_and_b32_e32 v157, 0xffff, v157
	v_mul_u32_u24_e32 v20, 0x10001, v156
	v_mul_u32_u24_e32 v14, 0x10001, v159
	v_pk_fma_f16 v7, v3, v28, v9
	v_pk_fma_f16 v1, v3, v22, v1
	v_pk_fma_f16 v3, v2, v28, v5
	v_pk_fma_f16 v0, v2, v22, v0
	v_mul_u32_u24_e32 v12, 0x10001, v157
	v_mul_u32_u24_e32 v10, 0x10001, v161
	v_pk_fma_f16 v5, v25, v20, v7
	v_pk_fma_f16 v1, v25, v14, v1
	v_pk_fma_f16 v3, v24, v20, v3
	v_pk_fma_f16 v0, v24, v14, v0
	;; [unrolled: 6-line block ×6, first 2 shown]
	s_wait_loadcnt 0x3
	ds_store_b128 v106, v[68:71]
	s_wait_loadcnt 0x2
	ds_store_b128 v109, v[60:63]
	;; [unrolled: 2-line block ×4, first 2 shown]
	v_pk_fma_f16 v118, v55, v6, v4
	v_pk_fma_f16 v119, v55, v2, v1
	v_pk_fma_f16 v120, v54, v6, v3
	v_pk_fma_f16 v121, v54, v2, v0
	s_wait_dscnt 0x0
	s_barrier_signal -1
	s_barrier_wait -1
	global_inv scope:SCOPE_SE
	ds_load_2addr_b64 v[0:3], v117 offset1:32
	ds_load_b128 v[60:63], v108 offset:128
	ds_load_b128 v[52:55], v108 offset:144
	;; [unrolled: 1-line block ×4, first 2 shown]
	ds_load_2addr_b64 v[4:7], v117 offset0:64 offset1:96
	ds_load_2addr_b64 v[8:11], v117 offset0:128 offset1:160
	;; [unrolled: 1-line block ×3, first 2 shown]
	ds_load_2addr_b64 v[16:19], v66 offset1:32
	ds_load_2addr_b64 v[20:23], v66 offset0:64 offset1:96
	ds_load_2addr_b64 v[24:27], v66 offset0:128 offset1:160
	;; [unrolled: 1-line block ×3, first 2 shown]
	ds_load_2addr_b64 v[32:35], v65 offset1:32
	ds_load_2addr_b64 v[36:39], v65 offset0:64 offset1:96
	ds_load_2addr_b64 v[44:47], v65 offset0:128 offset1:160
	ds_load_b128 v[130:133], v108 offset:192
	ds_load_b128 v[134:137], v108 offset:208
	ds_load_2addr_b64 v[56:59], v65 offset0:192 offset1:224
	ds_load_2addr_b64 v[64:67], v129 offset1:32
	ds_load_b128 v[138:141], v108 offset:224
	ds_load_2addr_b64 v[68:71], v129 offset0:64 offset1:96
	ds_load_2addr_b64 v[142:145], v129 offset0:128 offset1:160
	ds_load_b128 v[146:149], v108 offset:240
	ds_load_2addr_b64 v[150:153], v129 offset0:192 offset1:224
	s_wait_dscnt 0x16
	v_lshrrev_b32_e32 v129, 16, v60
	v_and_b32_e32 v60, 0xffff, v60
	v_lshrrev_b32_e32 v154, 16, v61
	v_and_b32_e32 v61, 0xffff, v61
	v_lshrrev_b32_e32 v155, 16, v62
	v_mul_u32_u24_e32 v129, 0x10001, v129
	v_mul_u32_u24_e32 v60, 0x10001, v60
	v_and_b32_e32 v62, 0xffff, v62
	v_mul_u32_u24_e32 v61, 0x10001, v61
	v_mul_u32_u24_e32 v154, 0x10001, v154
	v_lshrrev_b32_e32 v156, 16, v63
	v_pk_fma_f16 v120, v0, v60, v120
	v_pk_fma_f16 v0, v0, v129, v121
	;; [unrolled: 1-line block ×4, first 2 shown]
	v_and_b32_e32 v63, 0xffff, v63
	v_mul_u32_u24_e32 v62, 0x10001, v62
	v_mul_u32_u24_e32 v155, 0x10001, v155
	v_pk_fma_f16 v119, v2, v61, v120
	v_pk_fma_f16 v0, v2, v154, v0
	;; [unrolled: 1-line block ×4, first 2 shown]
	s_wait_dscnt 0x15
	v_lshrrev_b32_e32 v157, 16, v52
	v_and_b32_e32 v52, 0xffff, v52
	v_mul_u32_u24_e32 v63, 0x10001, v63
	v_mul_u32_u24_e32 v156, 0x10001, v156
	s_wait_dscnt 0x12
	v_pk_fma_f16 v60, v4, v62, v119
	v_pk_fma_f16 v0, v4, v155, v0
	v_pk_fma_f16 v2, v5, v62, v2
	v_pk_fma_f16 v1, v5, v155, v1
	v_lshrrev_b32_e32 v158, 16, v53
	v_and_b32_e32 v53, 0xffff, v53
	v_mul_u32_u24_e32 v52, 0x10001, v52
	v_mul_u32_u24_e32 v157, 0x10001, v157
	v_pk_fma_f16 v5, v6, v63, v60
	v_pk_fma_f16 v0, v6, v156, v0
	v_pk_fma_f16 v2, v7, v63, v2
	v_pk_fma_f16 v1, v7, v156, v1
	v_lshrrev_b32_e32 v159, 16, v54
	v_and_b32_e32 v54, 0xffff, v54
	v_mul_u32_u24_e32 v53, 0x10001, v53
	v_mul_u32_u24_e32 v158, 0x10001, v158
	s_wait_dscnt 0x11
	v_pk_fma_f16 v5, v8, v52, v5
	v_pk_fma_f16 v0, v8, v157, v0
	v_pk_fma_f16 v2, v9, v52, v2
	v_pk_fma_f16 v1, v9, v157, v1
	v_lshrrev_b32_e32 v160, 16, v55
	v_and_b32_e32 v55, 0xffff, v55
	v_mul_u32_u24_e32 v54, 0x10001, v54
	v_mul_u32_u24_e32 v159, 0x10001, v159
	v_pk_fma_f16 v5, v10, v53, v5
	v_pk_fma_f16 v0, v10, v158, v0
	v_pk_fma_f16 v2, v11, v53, v2
	v_pk_fma_f16 v1, v11, v158, v1
	;; [unrolled: 17-line block ×6, first 2 shown]
	s_wait_dscnt 0x8
	v_lshrrev_b32_e32 v169, 16, v130
	v_and_b32_e32 v130, 0xffff, v130
	v_mul_u32_u24_e32 v43, 0x10001, v43
	v_mul_u32_u24_e32 v168, 0x10001, v168
	v_pk_fma_f16 v5, v28, v42, v5
	v_pk_fma_f16 v0, v28, v167, v0
	v_pk_fma_f16 v2, v29, v42, v2
	v_pk_fma_f16 v1, v29, v167, v1
	v_lshrrev_b32_e32 v170, 16, v131
	v_and_b32_e32 v131, 0xffff, v131
	v_mul_u32_u24_e32 v130, 0x10001, v130
	v_mul_u32_u24_e32 v169, 0x10001, v169
	v_pk_fma_f16 v5, v30, v43, v5
	v_pk_fma_f16 v0, v30, v168, v0
	v_pk_fma_f16 v2, v31, v43, v2
	v_pk_fma_f16 v1, v31, v168, v1
	v_lshrrev_b32_e32 v171, 16, v132
	v_and_b32_e32 v132, 0xffff, v132
	v_mul_u32_u24_e32 v118, 0x10001, v131
	v_mul_u32_u24_e32 v3, 0x10001, v170
	v_pk_fma_f16 v5, v32, v130, v5
	v_pk_fma_f16 v0, v32, v169, v0
	v_pk_fma_f16 v2, v33, v130, v2
	v_pk_fma_f16 v1, v33, v169, v1
	v_lshrrev_b32_e32 v172, 16, v133
	v_and_b32_e32 v133, 0xffff, v133
	v_mul_u32_u24_e32 v4, 0x10001, v132
	v_mul_u32_u24_e32 v6, 0x10001, v171
	v_pk_fma_f16 v5, v34, v118, v5
	v_pk_fma_f16 v0, v34, v3, v0
	v_pk_fma_f16 v2, v35, v118, v2
	v_pk_fma_f16 v1, v35, v3, v1
	s_wait_dscnt 0x7
	v_lshrrev_b32_e32 v173, 16, v134
	v_and_b32_e32 v134, 0xffff, v134
	v_mul_u32_u24_e32 v7, 0x10001, v133
	v_mul_u32_u24_e32 v8, 0x10001, v172
	v_pk_fma_f16 v5, v36, v4, v5
	v_pk_fma_f16 v0, v36, v6, v0
	v_pk_fma_f16 v2, v37, v4, v2
	v_pk_fma_f16 v1, v37, v6, v1
	v_lshrrev_b32_e32 v174, 16, v135
	v_and_b32_e32 v135, 0xffff, v135
	v_mul_u32_u24_e32 v9, 0x10001, v134
	v_mul_u32_u24_e32 v10, 0x10001, v173
	v_pk_fma_f16 v5, v38, v7, v5
	v_pk_fma_f16 v0, v38, v8, v0
	v_pk_fma_f16 v2, v39, v7, v2
	v_pk_fma_f16 v1, v39, v8, v1
	v_lshrrev_b32_e32 v175, 16, v136
	v_and_b32_e32 v136, 0xffff, v136
	v_mul_u32_u24_e32 v11, 0x10001, v135
	v_mul_u32_u24_e32 v12, 0x10001, v174
	v_pk_fma_f16 v5, v44, v9, v5
	v_pk_fma_f16 v0, v44, v10, v0
	v_pk_fma_f16 v2, v45, v9, v2
	v_pk_fma_f16 v1, v45, v10, v1
	v_lshrrev_b32_e32 v176, 16, v137
	v_and_b32_e32 v137, 0xffff, v137
	v_mul_u32_u24_e32 v13, 0x10001, v136
	v_mul_u32_u24_e32 v14, 0x10001, v175
	v_pk_fma_f16 v5, v46, v11, v5
	v_pk_fma_f16 v0, v46, v12, v0
	v_pk_fma_f16 v2, v47, v11, v2
	v_pk_fma_f16 v1, v47, v12, v1
	;; [unrolled: 33-line block ×3, first 2 shown]
	s_wait_dscnt 0x1
	v_lshrrev_b32_e32 v181, 16, v146
	v_and_b32_e32 v146, 0xffff, v146
	v_mul_u32_u24_e32 v7, 0x10001, v141
	v_mul_u32_u24_e32 v8, 0x10001, v180
	v_pk_fma_f16 v5, v68, v4, v5
	v_pk_fma_f16 v0, v68, v6, v0
	;; [unrolled: 1-line block ×4, first 2 shown]
	s_wait_loadcnt_dscnt 0x0
	s_barrier_signal -1
	s_barrier_wait -1
	global_inv scope:SCOPE_SE
	s_load_b32 s2, s[44:45], 0x4
	v_lshrrev_b32_e32 v182, 16, v147
	v_and_b32_e32 v147, 0xffff, v147
	v_mul_u32_u24_e32 v9, 0x10001, v146
	v_mul_u32_u24_e32 v10, 0x10001, v181
	v_pk_fma_f16 v5, v70, v7, v5
	v_pk_fma_f16 v0, v70, v8, v0
	v_pk_fma_f16 v2, v71, v7, v2
	v_pk_fma_f16 v1, v71, v8, v1
	v_lshrrev_b32_e32 v183, 16, v148
	v_and_b32_e32 v148, 0xffff, v148
	v_mul_u32_u24_e32 v11, 0x10001, v147
	v_mul_u32_u24_e32 v3, 0x10001, v182
	v_pk_fma_f16 v5, v142, v9, v5
	v_pk_fma_f16 v0, v142, v10, v0
	v_pk_fma_f16 v2, v143, v9, v2
	v_pk_fma_f16 v1, v143, v10, v1
	;; [unrolled: 8-line block ×3, first 2 shown]
	v_mul_u32_u24_e32 v7, 0x10001, v149
	v_mul_u32_u24_e32 v3, 0x10001, v184
	v_pk_fma_f16 v5, v150, v4, v5
	v_pk_fma_f16 v0, v150, v6, v0
	;; [unrolled: 1-line block ×4, first 2 shown]
	s_wait_kmcnt 0x0
	s_lshl_b32 s2, s2, 6
	v_pk_fma_f16 v119, v152, v7, v5
	v_pk_fma_f16 v118, v152, v3, v0
	;; [unrolled: 1-line block ×4, first 2 shown]
	s_wait_alu 0xfffe
	s_add_co_i32 s34, s2, s34
	s_wait_alu 0xfffe
	s_cmp_lt_i32 s34, s31
	s_cbranch_scc0 .LBB89_37
; %bb.33:                               ;   in Loop: Header=BB89_8 Depth=1
	v_dual_mov_b32 v18, v100 :: v_dual_mov_b32 v17, v101
	v_mov_b32_e32 v16, v123
	v_mov_b32_e32 v64, v122
	s_branch .LBB89_8
.LBB89_34:                              ;   in Loop: Header=BB89_8 Depth=1
	v_mov_b32_e32 v26, 0
	v_cmp_ngt_f32_e64 s2, 0x3f200000, |v9|
                                        ; implicit-def: $vgpr4
	s_and_saveexec_b32 s3, s2
	s_wait_alu 0xfffe
	s_xor_b32 s2, exec_lo, s3
	s_cbranch_execz .LBB89_15
	s_branch .LBB89_14
.LBB89_35:                              ;   in Loop: Header=BB89_8 Depth=1
	v_mov_b32_e32 v21, 0
	v_cmp_ngt_f32_e64 s2, 0x3f200000, |v20|
                                        ; implicit-def: $vgpr33
	s_and_saveexec_b32 s3, s2
	s_wait_alu 0xfffe
	s_xor_b32 s2, exec_lo, s3
	s_cbranch_execz .LBB89_27
	s_branch .LBB89_26
.LBB89_36:
	v_dual_mov_b32 v100, 0xfeffffff :: v_dual_mov_b32 v119, 0
	v_dual_mov_b32 v123, 0 :: v_dual_mov_b32 v118, 0
	;; [unrolled: 1-line block ×3, first 2 shown]
	s_delay_alu instid0(VALU_DEP_3)
	v_mov_b32_e32 v101, v100
.LBB89_37:
	s_cmp_gt_i32 s38, s34
	s_cbranch_scc1 .LBB89_40
; %bb.38:
	v_mbcnt_lo_u32_b32 v0, -1, 0
	v_mov_b32_e32 v127, 32
	s_delay_alu instid0(VALU_DEP_2)
	v_xor_b32_e32 v125, 16, v0
	v_xor_b32_e32 v124, 8, v0
	;; [unrolled: 1-line block ×5, first 2 shown]
	s_cbranch_execz .LBB89_41
; %bb.39:
	v_mov_b32_e32 v116, v0
	s_branch .LBB89_78
.LBB89_40:
                                        ; implicit-def: $vgpr0
                                        ; implicit-def: $vgpr127
                                        ; implicit-def: $vgpr125
                                        ; implicit-def: $vgpr124
                                        ; implicit-def: $vgpr126
                                        ; implicit-def: $vgpr128
                                        ; implicit-def: $vgpr129
.LBB89_41:
	v_lshl_add_u32 v18, v88, 2, v97
	s_ashr_i32 s35, s34, 31
	s_ashr_i32 s41, s40, 31
	s_sub_co_i32 s8, s38, s34
	s_wait_alu 0xfffe
	s_mul_u64 s[2:3], s[34:35], s[40:41]
	v_mul_lo_u32 v8, s40, v18
	s_wait_alu 0xfffe
	s_lshl_b64 s[2:3], s[2:3], 2
	s_mov_b32 s4, 0
	s_wait_alu 0xfffe
	s_add_nc_u64 s[38:39], s[42:43], s[2:3]
	s_mov_b64 s[6:7], src_private_base
	s_mov_b32 s5, s4
	s_mov_b32 s6, s4
	v_lshlrev_b32_e32 v19, 2, v96
	v_ashrrev_i32_e32 v9, 31, v8
	v_mov_b32_e32 v7, 0
	v_cmp_gt_i32_e64 s3, s8, v18
	s_delay_alu instid0(VALU_DEP_3) | instskip(NEXT) | instid1(VALU_DEP_1)
	v_lshlrev_b64_e32 v[0:1], 2, v[8:9]
	v_add_co_u32 v0, vcc_lo, s38, v0
	s_wait_alu 0xfffd
	s_delay_alu instid0(VALU_DEP_2) | instskip(NEXT) | instid1(VALU_DEP_2)
	v_add_co_ci_u32_e64 v1, null, s39, v1, vcc_lo
	v_add_co_u32 v13, vcc_lo, v0, v19
	s_wait_alu 0xfffd
	s_delay_alu instid0(VALU_DEP_2)
	v_add_co_ci_u32_e64 v14, null, 0, v1, vcc_lo
	s_wait_alu 0xfffe
	v_dual_mov_b32 v0, s4 :: v_dual_mov_b32 v1, s5
	v_mov_b32_e32 v2, s6
	s_lshl_b32 s4, s40, 4
	v_cndmask_b32_e64 v4, s7, v14, s3
	s_wait_alu 0xfffe
	v_add_nc_u32_e32 v11, s4, v8
	v_cndmask_b32_e64 v3, 0, v13, s3
	v_add_co_u32 v13, s5, 0x80, v13
	s_wait_alu 0xf1ff
	v_add_co_ci_u32_e64 v14, null, 0, v14, s5
	v_ashrrev_i32_e32 v12, 31, v11
	s_delay_alu instid0(VALU_DEP_3) | instskip(NEXT) | instid1(VALU_DEP_3)
	v_cndmask_b32_e64 v13, 0, v13, s3
	v_cndmask_b32_e64 v14, s7, v14, s3
	s_delay_alu instid0(VALU_DEP_3)
	v_lshlrev_b64_e32 v[8:9], 2, v[11:12]
	v_add_nc_u32_e32 v12, 16, v18
	s_clause 0x1
	scratch_store_b32 off, v7, off
	scratch_store_b96 off, v[0:2], off offset:4
	flat_load_b128 v[3:6], v[3:4]
	s_clause 0x1
	scratch_store_b32 off, v7, off
	scratch_store_b96 off, v[0:2], off offset:4
	v_add_co_u32 v8, vcc_lo, s38, v8
	s_wait_alu 0xfffd
	v_add_co_ci_u32_e64 v10, null, s39, v9, vcc_lo
	s_delay_alu instid0(VALU_DEP_2) | instskip(SKIP_1) | instid1(VALU_DEP_2)
	v_add_co_u32 v9, vcc_lo, v8, v19
	s_wait_alu 0xfffd
	v_add_co_ci_u32_e64 v10, null, 0, v10, vcc_lo
	v_cmp_gt_i32_e32 vcc_lo, s8, v12
	v_mad_u32_u24 v8, 0x90, v18, v19
	s_wait_alu 0xfffd
	s_delay_alu instid0(VALU_DEP_3) | instskip(SKIP_4) | instid1(VALU_DEP_2)
	v_cndmask_b32_e32 v16, s7, v10, vcc_lo
	v_cndmask_b32_e32 v15, 0, v9, vcc_lo
	v_add_co_u32 v9, s3, 0x80, v9
	s_wait_alu 0xf1ff
	v_add_co_ci_u32_e64 v10, null, 0, v10, s3
	v_cndmask_b32_e32 v9, 0, v9, vcc_lo
	s_delay_alu instid0(VALU_DEP_2)
	v_cndmask_b32_e32 v10, s7, v10, vcc_lo
	s_wait_loadcnt_dscnt 0x0
	ds_store_b128 v8, v[3:6]
	flat_load_b128 v[3:6], v[15:16]
	v_add_nc_u32_e32 v15, s4, v11
	s_clause 0x1
	scratch_store_b32 off, v7, off
	scratch_store_b96 off, v[0:2], off offset:4
	v_ashrrev_i32_e32 v16, 31, v15
	s_delay_alu instid0(VALU_DEP_1) | instskip(SKIP_2) | instid1(VALU_DEP_3)
	v_lshlrev_b64_e32 v[11:12], 2, v[15:16]
	v_add_nc_u32_e32 v16, 32, v18
	v_add_nc_u32_e32 v15, s4, v15
	v_add_co_u32 v11, s2, s38, v11
	s_wait_alu 0xf1ff
	s_delay_alu instid0(VALU_DEP_4) | instskip(NEXT) | instid1(VALU_DEP_2)
	v_add_co_ci_u32_e64 v12, null, s39, v12, s2
	v_add_co_u32 v11, s2, v11, v19
	s_wait_alu 0xf1ff
	s_delay_alu instid0(VALU_DEP_2) | instskip(SKIP_2) | instid1(VALU_DEP_1)
	v_add_co_ci_u32_e64 v12, null, 0, v12, s2
	v_cmp_gt_i32_e64 s2, s8, v16
	s_wait_alu 0xf1ff
	v_cndmask_b32_e64 v17, s7, v12, s2
	v_cndmask_b32_e64 v16, 0, v11, s2
	s_wait_loadcnt_dscnt 0x0
	ds_store_b128 v8, v[3:6] offset:2304
	flat_load_b128 v[3:6], v[16:17]
	v_ashrrev_i32_e32 v16, 31, v15
	v_add_nc_u32_e32 v17, 48, v18
	s_clause 0x1
	scratch_store_b32 off, v7, off
	scratch_store_b96 off, v[0:2], off offset:4
	v_lshlrev_b64_e32 v[15:16], 2, v[15:16]
	s_delay_alu instid0(VALU_DEP_1) | instskip(SKIP_1) | instid1(VALU_DEP_2)
	v_add_co_u32 v15, s4, s38, v15
	s_wait_alu 0xf1ff
	v_add_co_ci_u32_e64 v16, null, s39, v16, s4
	s_delay_alu instid0(VALU_DEP_2) | instskip(SKIP_1) | instid1(VALU_DEP_2)
	v_add_co_u32 v15, s4, v15, v19
	s_wait_alu 0xf1ff
	v_add_co_ci_u32_e64 v16, null, 0, v16, s4
	v_cmp_gt_i32_e64 s4, s8, v17
	s_wait_alu 0xf1ff
	s_delay_alu instid0(VALU_DEP_1)
	v_cndmask_b32_e64 v18, s7, v16, s4
	v_cndmask_b32_e64 v17, 0, v15, s4
	s_wait_loadcnt_dscnt 0x0
	ds_store_b128 v8, v[3:6] offset:4608
	flat_load_b128 v[3:6], v[17:18]
	s_wait_loadcnt_dscnt 0x0
	ds_store_b128 v8, v[3:6] offset:6912
	s_wait_storecnt_dscnt 0x0
	s_barrier_signal -1
	s_barrier_wait -1
	global_inv scope:SCOPE_SE
	ds_load_b128 v[17:20], v95
	ds_load_b128 v[21:24], v94 offset:9216
	ds_load_b128 v[25:28], v94 offset:9472
	;; [unrolled: 1-line block ×3, first 2 shown]
	v_mov_b32_e32 v3, 0
	v_dual_mov_b32 v5, 0 :: v_dual_mov_b32 v6, 0
	v_mov_b32_e32 v4, 0
	s_wait_dscnt 0x2
	;;#ASMSTART
	v_dot2_f32_f16 v3, v17, v21, v3
	;;#ASMEND
	;;#ASMSTART
	v_dot2_f32_f16 v3, v18, v22, v3
	;;#ASMEND
	;;#ASMSTART
	v_dot2_f32_f16 v3, v19, v23, v3
	;;#ASMEND
	;;#ASMSTART
	v_dot2_f32_f16 v3, v20, v24, v3
	;;#ASMEND
	s_wait_dscnt 0x1
	;;#ASMSTART
	v_dot2_f32_f16 v5, v17, v25, v5
	;;#ASMEND
	;;#ASMSTART
	v_dot2_f32_f16 v5, v18, v26, v5
	;;#ASMEND
	;;#ASMSTART
	v_dot2_f32_f16 v5, v19, v27, v5
	;;#ASMEND
	;;#ASMSTART
	v_dot2_f32_f16 v5, v20, v28, v5
	;;#ASMEND
	s_wait_dscnt 0x0
	;;#ASMSTART
	v_dot2_f32_f16 v6, v29, v21, v6
	;;#ASMEND
	;;#ASMSTART
	v_dot2_f32_f16 v6, v30, v22, v6
	;;#ASMEND
	;;#ASMSTART
	v_dot2_f32_f16 v6, v31, v23, v6
	;;#ASMEND
	;;#ASMSTART
	v_dot2_f32_f16 v6, v32, v24, v6
	;;#ASMEND
	;;#ASMSTART
	v_dot2_f32_f16 v4, v29, v25, v4
	;;#ASMEND
	;;#ASMSTART
	v_dot2_f32_f16 v4, v30, v26, v4
	;;#ASMEND
	;;#ASMSTART
	v_dot2_f32_f16 v4, v31, v27, v4
	;;#ASMEND
	;;#ASMSTART
	v_dot2_f32_f16 v4, v32, v28, v4
	;;#ASMEND
	ds_load_b128 v[17:20], v95 offset:16
	ds_load_b128 v[21:24], v94 offset:9232
	ds_load_b128 v[25:28], v94 offset:9488
	ds_load_b128 v[29:32], v95 offset:4624
	s_wait_dscnt 0x2
	;;#ASMSTART
	v_dot2_f32_f16 v3, v17, v21, v3
	;;#ASMEND
	;;#ASMSTART
	v_dot2_f32_f16 v3, v18, v22, v3
	;;#ASMEND
	;;#ASMSTART
	v_dot2_f32_f16 v3, v19, v23, v3
	;;#ASMEND
	;;#ASMSTART
	v_dot2_f32_f16 v3, v20, v24, v3
	;;#ASMEND
	s_wait_dscnt 0x1
	;;#ASMSTART
	v_dot2_f32_f16 v5, v17, v25, v5
	;;#ASMEND
	;;#ASMSTART
	v_dot2_f32_f16 v5, v18, v26, v5
	;;#ASMEND
	;;#ASMSTART
	v_dot2_f32_f16 v5, v19, v27, v5
	;;#ASMEND
	;;#ASMSTART
	v_dot2_f32_f16 v5, v20, v28, v5
	;;#ASMEND
	s_wait_dscnt 0x0
	;;#ASMSTART
	v_dot2_f32_f16 v6, v29, v21, v6
	;;#ASMEND
	;;#ASMSTART
	v_dot2_f32_f16 v6, v30, v22, v6
	;;#ASMEND
	;;#ASMSTART
	v_dot2_f32_f16 v6, v31, v23, v6
	;;#ASMEND
	;;#ASMSTART
	v_dot2_f32_f16 v6, v32, v24, v6
	;;#ASMEND
	;;#ASMSTART
	v_dot2_f32_f16 v4, v29, v25, v4
	;;#ASMEND
	;;#ASMSTART
	v_dot2_f32_f16 v4, v30, v26, v4
	;;#ASMEND
	;;#ASMSTART
	v_dot2_f32_f16 v4, v31, v27, v4
	;;#ASMEND
	;;#ASMSTART
	v_dot2_f32_f16 v4, v32, v28, v4
	;;#ASMEND
	ds_load_b128 v[17:20], v95 offset:32
	ds_load_b128 v[21:24], v94 offset:9248
	ds_load_b128 v[25:28], v94 offset:9504
	ds_load_b128 v[29:32], v95 offset:4640
	;; [unrolled: 55-line block ×7, first 2 shown]
	s_wait_dscnt 0x2
	;;#ASMSTART
	v_dot2_f32_f16 v3, v17, v21, v3
	;;#ASMEND
	;;#ASMSTART
	v_dot2_f32_f16 v3, v18, v22, v3
	;;#ASMEND
	;;#ASMSTART
	v_dot2_f32_f16 v3, v19, v23, v3
	;;#ASMEND
	;;#ASMSTART
	v_dot2_f32_f16 v3, v20, v24, v3
	;;#ASMEND
	s_wait_dscnt 0x1
	;;#ASMSTART
	v_dot2_f32_f16 v5, v17, v25, v5
	;;#ASMEND
	;;#ASMSTART
	v_dot2_f32_f16 v5, v18, v26, v5
	;;#ASMEND
	;;#ASMSTART
	v_dot2_f32_f16 v5, v19, v27, v5
	;;#ASMEND
	;;#ASMSTART
	v_dot2_f32_f16 v5, v20, v28, v5
	;;#ASMEND
	;; [unrolled: 13-line block ×3, first 2 shown]
	;;#ASMSTART
	v_dot2_f32_f16 v4, v29, v25, v4
	;;#ASMEND
	;;#ASMSTART
	v_dot2_f32_f16 v4, v30, v26, v4
	;;#ASMEND
	;; [unrolled: 3-line block ×4, first 2 shown]
	s_wait_loadcnt 0x0
	s_barrier_signal -1
	s_barrier_wait -1
	global_inv scope:SCOPE_SE
	s_clause 0x1
	scratch_store_b32 off, v7, off
	scratch_store_b96 off, v[0:2], off offset:4
	flat_load_b128 v[17:20], v[13:14]
	s_clause 0x1
	scratch_store_b32 off, v7, off
	scratch_store_b96 off, v[0:2], off offset:4
	s_wait_loadcnt_dscnt 0x0
	ds_store_b128 v8, v[17:20]
	flat_load_b128 v[17:20], v[9:10]
	v_add_co_u32 v9, vcc_lo, 0x80, v11
	s_wait_alu 0xfffd
	v_add_co_ci_u32_e64 v10, null, 0, v12, vcc_lo
	s_clause 0x1
	scratch_store_b32 off, v7, off
	scratch_store_b96 off, v[0:2], off offset:4
	v_cndmask_b32_e64 v9, 0, v9, s2
	v_add_co_u32 v13, vcc_lo, 0x80, v15
	v_cndmask_b32_e64 v10, s7, v10, s2
	s_wait_alu 0xfffd
	v_add_co_ci_u32_e64 v14, null, 0, v16, vcc_lo
	s_delay_alu instid0(VALU_DEP_3) | instskip(NEXT) | instid1(VALU_DEP_2)
	v_cndmask_b32_e64 v13, 0, v13, s4
	v_cndmask_b32_e64 v14, s7, v14, s4
	s_wait_loadcnt_dscnt 0x0
	ds_store_b128 v8, v[17:20] offset:2304
	flat_load_b128 v[9:12], v[9:10]
	s_clause 0x1
	scratch_store_b32 off, v7, off
	scratch_store_b96 off, v[0:2], off offset:4
                                        ; implicit-def: $vgpr0
	s_wait_loadcnt_dscnt 0x0
	ds_store_b128 v8, v[9:12] offset:4608
	flat_load_b128 v[9:12], v[13:14]
	s_wait_loadcnt_dscnt 0x0
	ds_store_b128 v8, v[9:12] offset:6912
	s_wait_storecnt_dscnt 0x0
	s_barrier_signal -1
	s_barrier_wait -1
	global_inv scope:SCOPE_SE
	ds_load_b128 v[7:10], v95
	ds_load_b128 v[11:14], v94 offset:9344
	ds_load_b128 v[15:18], v94 offset:9600
	ds_load_b128 v[19:22], v95 offset:4608
	s_wait_dscnt 0x2
	;;#ASMSTART
	v_dot2_f32_f16 v3, v7, v11, v3
	;;#ASMEND
	;;#ASMSTART
	v_dot2_f32_f16 v3, v8, v12, v3
	;;#ASMEND
	;;#ASMSTART
	v_dot2_f32_f16 v3, v9, v13, v3
	;;#ASMEND
	;;#ASMSTART
	v_dot2_f32_f16 v3, v10, v14, v3
	;;#ASMEND
	s_wait_dscnt 0x1
	;;#ASMSTART
	v_dot2_f32_f16 v5, v7, v15, v5
	;;#ASMEND
	;;#ASMSTART
	v_dot2_f32_f16 v5, v8, v16, v5
	;;#ASMEND
	;;#ASMSTART
	v_dot2_f32_f16 v5, v9, v17, v5
	;;#ASMEND
	;;#ASMSTART
	v_dot2_f32_f16 v5, v10, v18, v5
	;;#ASMEND
	s_wait_dscnt 0x0
	;;#ASMSTART
	v_dot2_f32_f16 v6, v19, v11, v6
	;;#ASMEND
	;;#ASMSTART
	v_dot2_f32_f16 v6, v20, v12, v6
	;;#ASMEND
	;;#ASMSTART
	v_dot2_f32_f16 v6, v21, v13, v6
	;;#ASMEND
	;;#ASMSTART
	v_dot2_f32_f16 v6, v22, v14, v6
	;;#ASMEND
	;;#ASMSTART
	v_dot2_f32_f16 v4, v19, v15, v4
	;;#ASMEND
	;;#ASMSTART
	v_dot2_f32_f16 v4, v20, v16, v4
	;;#ASMEND
	;;#ASMSTART
	v_dot2_f32_f16 v4, v21, v17, v4
	;;#ASMEND
	;;#ASMSTART
	v_dot2_f32_f16 v4, v22, v18, v4
	;;#ASMEND
	ds_load_b128 v[7:10], v95 offset:16
	ds_load_b128 v[11:14], v94 offset:9360
	ds_load_b128 v[15:18], v94 offset:9616
	ds_load_b128 v[19:22], v95 offset:4624
	s_wait_dscnt 0x2
	;;#ASMSTART
	v_dot2_f32_f16 v3, v7, v11, v3
	;;#ASMEND
	;;#ASMSTART
	v_dot2_f32_f16 v3, v8, v12, v3
	;;#ASMEND
	;;#ASMSTART
	v_dot2_f32_f16 v3, v9, v13, v3
	;;#ASMEND
	;;#ASMSTART
	v_dot2_f32_f16 v3, v10, v14, v3
	;;#ASMEND
	s_wait_dscnt 0x1
	;;#ASMSTART
	v_dot2_f32_f16 v5, v7, v15, v5
	;;#ASMEND
	;;#ASMSTART
	v_dot2_f32_f16 v5, v8, v16, v5
	;;#ASMEND
	;;#ASMSTART
	v_dot2_f32_f16 v5, v9, v17, v5
	;;#ASMEND
	;;#ASMSTART
	v_dot2_f32_f16 v5, v10, v18, v5
	;;#ASMEND
	s_wait_dscnt 0x0
	;;#ASMSTART
	v_dot2_f32_f16 v6, v19, v11, v6
	;;#ASMEND
	;;#ASMSTART
	v_dot2_f32_f16 v6, v20, v12, v6
	;;#ASMEND
	;;#ASMSTART
	v_dot2_f32_f16 v6, v21, v13, v6
	;;#ASMEND
	;;#ASMSTART
	v_dot2_f32_f16 v6, v22, v14, v6
	;;#ASMEND
	;;#ASMSTART
	v_dot2_f32_f16 v4, v19, v15, v4
	;;#ASMEND
	;;#ASMSTART
	v_dot2_f32_f16 v4, v20, v16, v4
	;;#ASMEND
	;;#ASMSTART
	v_dot2_f32_f16 v4, v21, v17, v4
	;;#ASMEND
	;;#ASMSTART
	v_dot2_f32_f16 v4, v22, v18, v4
	;;#ASMEND
	ds_load_b128 v[7:10], v95 offset:32
	;; [unrolled: 55-line block ×7, first 2 shown]
	ds_load_b128 v[11:14], v94 offset:9456
	ds_load_b128 v[15:18], v94 offset:9712
	ds_load_b128 v[19:22], v95 offset:4720
	s_wait_dscnt 0x2
	;;#ASMSTART
	v_dot2_f32_f16 v3, v7, v11, v3
	;;#ASMEND
	;;#ASMSTART
	v_dot2_f32_f16 v3, v8, v12, v3
	;;#ASMEND
	;; [unrolled: 3-line block ×4, first 2 shown]
	s_wait_dscnt 0x1
	;;#ASMSTART
	v_dot2_f32_f16 v5, v7, v15, v5
	;;#ASMEND
	;;#ASMSTART
	v_dot2_f32_f16 v5, v8, v16, v5
	;;#ASMEND
	;; [unrolled: 3-line block ×4, first 2 shown]
	s_wait_dscnt 0x0
	;;#ASMSTART
	v_dot2_f32_f16 v6, v19, v11, v6
	;;#ASMEND
	v_cmp_ngt_f32_e64 s2, 0x3f200000, |v3|
	;;#ASMSTART
	v_dot2_f32_f16 v6, v20, v12, v6
	;;#ASMEND
	;;#ASMSTART
	v_dot2_f32_f16 v6, v21, v13, v6
	;;#ASMEND
	;; [unrolled: 3-line block ×7, first 2 shown]
	s_and_saveexec_b32 s3, s2
	s_wait_alu 0xfffe
	s_xor_b32 s2, exec_lo, s3
	s_cbranch_execz .LBB89_43
; %bb.42:
	v_add_f32_e64 v0, |v3|, |v3|
	s_delay_alu instid0(VALU_DEP_1) | instskip(SKIP_1) | instid1(VALU_DEP_2)
	v_mul_f32_e32 v1, 0x3fb8aa3b, v0
	v_cmp_ngt_f32_e32 vcc_lo, 0xc2ce8ed0, v0
	v_rndne_f32_e32 v2, v1
	v_fma_f32 v7, 0x3fb8aa3b, v0, -v1
	s_delay_alu instid0(VALU_DEP_2) | instskip(NEXT) | instid1(VALU_DEP_2)
	v_sub_f32_e32 v1, v1, v2
	v_fmamk_f32 v7, v0, 0x32a5705f, v7
	v_cvt_i32_f32_e32 v2, v2
	s_delay_alu instid0(VALU_DEP_2) | instskip(NEXT) | instid1(VALU_DEP_1)
	v_add_f32_e32 v1, v1, v7
	v_exp_f32_e32 v1, v1
	s_delay_alu instid0(TRANS32_DEP_1) | instskip(SKIP_1) | instid1(VALU_DEP_1)
	v_ldexp_f32 v1, v1, v2
	s_wait_alu 0xfffd
	v_cndmask_b32_e32 v1, 0, v1, vcc_lo
	v_cmp_nlt_f32_e32 vcc_lo, 0x42b17218, v0
	s_wait_alu 0xfffd
	s_delay_alu instid0(VALU_DEP_2) | instskip(NEXT) | instid1(VALU_DEP_1)
	v_cndmask_b32_e32 v0, 0x7f800000, v1, vcc_lo
	v_add_f32_e32 v0, 1.0, v0
	s_delay_alu instid0(VALU_DEP_1) | instskip(NEXT) | instid1(TRANS32_DEP_1)
	v_rcp_f32_e32 v0, v0
	v_fma_f32 v0, v0, -2.0, 1.0
.LBB89_43:
	s_wait_alu 0xfffe
	s_and_not1_saveexec_b32 s2, s2
	s_cbranch_execz .LBB89_45
; %bb.44:
	v_mul_f32_e32 v0, v3, v3
	s_mov_b32 s3, 0xbbbac73d
	s_wait_alu 0xfffe
	s_delay_alu instid0(VALU_DEP_1) | instskip(NEXT) | instid1(VALU_DEP_1)
	v_fmaak_f32 v1, s3, v0, 0x3ca908c9
	v_fmaak_f32 v1, v0, v1, 0xbd5c1c4e
	s_delay_alu instid0(VALU_DEP_1) | instskip(NEXT) | instid1(VALU_DEP_1)
	v_fmaak_f32 v1, v0, v1, 0x3e088382
	v_fmaak_f32 v1, v0, v1, 0xbeaaaa99
	s_delay_alu instid0(VALU_DEP_1) | instskip(NEXT) | instid1(VALU_DEP_1)
	v_mul_f32_e64 v1, |v3|, v1
	v_fma_f32 v0, v0, v1, |v3|
.LBB89_45:
	s_wait_alu 0xfffe
	s_or_b32 exec_lo, exec_lo, s2
	s_delay_alu instid0(VALU_DEP_1)
	v_bfi_b32 v0, 0x7fffffff, v0, v3
	s_cmp_lg_u64 s[36:37], 0
	v_mad_co_u64_u32 v[2:3], null, v93, s15, s[34:35]
	s_cselect_b32 s4, -1, 0
	v_dual_mul_f32 v7, s11, v0 :: v_dual_mov_b32 v0, v100
	v_cmp_gt_i32_e64 s2, s8, v115
	s_wait_alu 0xfffe
	v_cndmask_b32_e64 v8, 0, 1, s4
	v_mov_b32_e32 v1, v101
	s_and_saveexec_b32 s3, s2
	s_cbranch_execz .LBB89_50
; %bb.46:
	s_and_not1_b32 vcc_lo, exec_lo, s4
	s_wait_alu 0xfffe
	s_cbranch_vccnz .LBB89_48
; %bb.47:
	v_add_nc_u32_e32 v0, v2, v115
	s_delay_alu instid0(VALU_DEP_1) | instskip(NEXT) | instid1(VALU_DEP_1)
	v_ashrrev_i32_e32 v1, 31, v0
	v_lshlrev_b64_e32 v[0:1], 1, v[0:1]
	s_delay_alu instid0(VALU_DEP_1) | instskip(SKIP_1) | instid1(VALU_DEP_2)
	v_add_co_u32 v0, vcc_lo, s36, v0
	s_wait_alu 0xfffd
	v_add_co_ci_u32_e64 v1, null, s37, v1, vcc_lo
	global_load_u16 v0, v[0:1], off
	s_wait_loadcnt 0x0
	v_cvt_f32_f16_e32 v0, v0
	s_delay_alu instid0(VALU_DEP_1)
	v_mul_f32_e32 v0, v89, v0
	s_branch .LBB89_49
.LBB89_48:
	v_mov_b32_e32 v0, 0
.LBB89_49:
	s_delay_alu instid0(VALU_DEP_1) | instskip(NEXT) | instid1(VALU_DEP_1)
	v_add_f32_e32 v7, v7, v0
	v_dual_max_num_f32 v0, v100, v100 :: v_dual_add_f32 v1, 0x40051340, v7
	s_delay_alu instid0(VALU_DEP_1)
	v_dual_max_num_f32 v0, v0, v1 :: v_dual_mov_b32 v1, v101
.LBB89_50:
	s_wait_alu 0xfffe
	s_or_b32 exec_lo, exec_lo, s3
	v_cmp_ngt_f32_e64 s3, 0x3f200000, |v6|
                                        ; implicit-def: $vgpr3
	s_and_saveexec_b32 s4, s3
	s_wait_alu 0xfffe
	s_xor_b32 s3, exec_lo, s4
	s_cbranch_execz .LBB89_52
; %bb.51:
	v_add_f32_e64 v3, |v6|, |v6|
	s_delay_alu instid0(VALU_DEP_1) | instskip(SKIP_1) | instid1(VALU_DEP_2)
	v_mul_f32_e32 v9, 0x3fb8aa3b, v3
	v_cmp_ngt_f32_e32 vcc_lo, 0xc2ce8ed0, v3
	v_rndne_f32_e32 v10, v9
	v_fma_f32 v11, 0x3fb8aa3b, v3, -v9
	s_delay_alu instid0(VALU_DEP_2) | instskip(NEXT) | instid1(VALU_DEP_2)
	v_sub_f32_e32 v9, v9, v10
	v_fmamk_f32 v11, v3, 0x32a5705f, v11
	v_cvt_i32_f32_e32 v10, v10
	s_delay_alu instid0(VALU_DEP_2) | instskip(NEXT) | instid1(VALU_DEP_1)
	v_add_f32_e32 v9, v9, v11
	v_exp_f32_e32 v9, v9
	s_delay_alu instid0(TRANS32_DEP_1) | instskip(SKIP_1) | instid1(VALU_DEP_1)
	v_ldexp_f32 v9, v9, v10
	s_wait_alu 0xfffd
	v_cndmask_b32_e32 v9, 0, v9, vcc_lo
	v_cmp_nlt_f32_e32 vcc_lo, 0x42b17218, v3
	s_wait_alu 0xfffd
	s_delay_alu instid0(VALU_DEP_2) | instskip(NEXT) | instid1(VALU_DEP_1)
	v_cndmask_b32_e32 v3, 0x7f800000, v9, vcc_lo
	v_add_f32_e32 v3, 1.0, v3
	s_delay_alu instid0(VALU_DEP_1) | instskip(NEXT) | instid1(TRANS32_DEP_1)
	v_rcp_f32_e32 v3, v3
	v_fma_f32 v3, v3, -2.0, 1.0
.LBB89_52:
	s_wait_alu 0xfffe
	s_and_not1_saveexec_b32 s3, s3
	s_cbranch_execz .LBB89_54
; %bb.53:
	v_mul_f32_e32 v3, v6, v6
	s_mov_b32 s4, 0xbbbac73d
	s_wait_alu 0xfffe
	s_delay_alu instid0(VALU_DEP_1) | instskip(NEXT) | instid1(VALU_DEP_1)
	v_fmaak_f32 v9, s4, v3, 0x3ca908c9
	v_fmaak_f32 v9, v3, v9, 0xbd5c1c4e
	s_delay_alu instid0(VALU_DEP_1) | instskip(NEXT) | instid1(VALU_DEP_1)
	v_fmaak_f32 v9, v3, v9, 0x3e088382
	v_fmaak_f32 v9, v3, v9, 0xbeaaaa99
	s_delay_alu instid0(VALU_DEP_1) | instskip(NEXT) | instid1(VALU_DEP_1)
	v_mul_f32_e64 v9, |v6|, v9
	v_fma_f32 v3, v3, v9, |v6|
.LBB89_54:
	s_wait_alu 0xfffe
	s_or_b32 exec_lo, exec_lo, s3
	s_delay_alu instid0(VALU_DEP_1) | instskip(SKIP_1) | instid1(VALU_DEP_2)
	v_bfi_b32 v3, 0x7fffffff, v3, v6
	v_add_nc_u32_e32 v6, 32, v115
	v_mul_f32_e32 v9, s11, v3
	s_delay_alu instid0(VALU_DEP_2)
	v_cmp_gt_i32_e64 s3, s8, v6
	s_and_saveexec_b32 s4, s3
	s_cbranch_execz .LBB89_59
; %bb.55:
	v_cmp_ne_u32_e32 vcc_lo, 1, v8
	s_cbranch_vccnz .LBB89_57
; %bb.56:
	v_ashrrev_i32_e32 v3, 31, v2
	v_add_co_u32 v2, vcc_lo, v2, v115
	s_wait_alu 0xfffd
	s_delay_alu instid0(VALU_DEP_2) | instskip(NEXT) | instid1(VALU_DEP_1)
	v_add_co_ci_u32_e64 v3, null, 0, v3, vcc_lo
	v_lshlrev_b64_e32 v[2:3], 1, v[2:3]
	s_delay_alu instid0(VALU_DEP_1) | instskip(SKIP_1) | instid1(VALU_DEP_2)
	v_add_co_u32 v2, vcc_lo, s36, v2
	s_wait_alu 0xfffd
	v_add_co_ci_u32_e64 v3, null, s37, v3, vcc_lo
	global_load_u16 v2, v[2:3], off offset:64
	s_wait_loadcnt 0x0
	v_cvt_f32_f16_e32 v2, v2
	s_delay_alu instid0(VALU_DEP_1)
	v_mul_f32_e32 v2, v89, v2
	s_branch .LBB89_58
.LBB89_57:
	v_mov_b32_e32 v2, 0
.LBB89_58:
	s_delay_alu instid0(VALU_DEP_1) | instskip(NEXT) | instid1(VALU_DEP_1)
	v_dual_add_f32 v9, v9, v2 :: v_dual_max_num_f32 v0, v0, v0
	v_add_f32_e32 v2, 0x40051340, v9
	s_delay_alu instid0(VALU_DEP_1)
	v_max_num_f32_e32 v0, v0, v2
.LBB89_59:
	s_wait_alu 0xfffe
	s_or_b32 exec_lo, exec_lo, s4
	v_xor_b32_e32 v125, 16, v116
	v_xor_b32_e32 v124, 8, v116
	;; [unrolled: 1-line block ×5, first 2 shown]
	v_cmp_gt_i32_e32 vcc_lo, 32, v125
	v_cmp_ngt_f32_e64 s4, 0x3f200000, |v5|
	s_wait_alu 0xfffd
	v_dual_mov_b32 v127, 32 :: v_dual_cndmask_b32 v2, v116, v125
	v_cmp_gt_i32_e32 vcc_lo, 32, v124
	s_wait_alu 0xfffd
	v_cndmask_b32_e32 v3, v116, v124, vcc_lo
	v_cmp_gt_i32_e32 vcc_lo, 32, v126
	s_delay_alu instid0(VALU_DEP_2)
	v_lshlrev_b32_e32 v11, 2, v3
	s_wait_alu 0xfffd
	v_cndmask_b32_e32 v3, v116, v126, vcc_lo
	v_cmp_gt_i32_e32 vcc_lo, 32, v128
	v_lshlrev_b32_e32 v10, 2, v2
	s_wait_alu 0xfffd
	s_delay_alu instid0(VALU_DEP_3)
	v_dual_cndmask_b32 v3, v116, v128 :: v_dual_lshlrev_b32 v12, 2, v3
	ds_bpermute_b32 v2, v10, v0
	v_max_num_f32_e32 v0, v0, v0
	v_cmp_gt_i32_e32 vcc_lo, 32, v129
	v_lshlrev_b32_e32 v13, 2, v3
	s_wait_alu 0xfffd
	v_cndmask_b32_e32 v3, v116, v129, vcc_lo
	s_delay_alu instid0(VALU_DEP_1) | instskip(SKIP_2) | instid1(VALU_DEP_1)
	v_lshlrev_b32_e32 v14, 2, v3
                                        ; implicit-def: $vgpr3
	s_wait_dscnt 0x0
	v_max_num_f32_e32 v2, v2, v2
	v_max_num_f32_e32 v0, v0, v2
	ds_bpermute_b32 v2, v11, v0
	s_wait_dscnt 0x0
	v_max_num_f32_e32 v2, v2, v2
	s_delay_alu instid0(VALU_DEP_1) | instskip(SKIP_3) | instid1(VALU_DEP_1)
	v_max_num_f32_e32 v0, v0, v2
	ds_bpermute_b32 v2, v12, v0
	s_wait_dscnt 0x0
	v_max_num_f32_e32 v2, v2, v2
	v_max_num_f32_e32 v0, v0, v2
	ds_bpermute_b32 v2, v13, v0
	s_wait_dscnt 0x0
	v_max_num_f32_e32 v2, v2, v2
	s_delay_alu instid0(VALU_DEP_1)
	v_max_num_f32_e32 v0, v0, v2
	ds_bpermute_b32 v2, v14, v0
	s_and_saveexec_b32 s5, s4
	s_wait_alu 0xfffe
	s_xor_b32 s4, exec_lo, s5
	s_cbranch_execz .LBB89_61
; %bb.60:
	v_add_f32_e64 v3, |v5|, |v5|
	s_delay_alu instid0(VALU_DEP_1) | instskip(SKIP_1) | instid1(VALU_DEP_2)
	v_mul_f32_e32 v15, 0x3fb8aa3b, v3
	v_cmp_ngt_f32_e32 vcc_lo, 0xc2ce8ed0, v3
	v_rndne_f32_e32 v16, v15
	v_fma_f32 v17, 0x3fb8aa3b, v3, -v15
	s_delay_alu instid0(VALU_DEP_2) | instskip(NEXT) | instid1(VALU_DEP_2)
	v_sub_f32_e32 v15, v15, v16
	v_fmamk_f32 v17, v3, 0x32a5705f, v17
	v_cvt_i32_f32_e32 v16, v16
	s_delay_alu instid0(VALU_DEP_2) | instskip(NEXT) | instid1(VALU_DEP_1)
	v_add_f32_e32 v15, v15, v17
	v_exp_f32_e32 v15, v15
	s_delay_alu instid0(TRANS32_DEP_1) | instskip(SKIP_1) | instid1(VALU_DEP_1)
	v_ldexp_f32 v15, v15, v16
	s_wait_alu 0xfffd
	v_cndmask_b32_e32 v15, 0, v15, vcc_lo
	v_cmp_nlt_f32_e32 vcc_lo, 0x42b17218, v3
	s_wait_alu 0xfffd
	s_delay_alu instid0(VALU_DEP_2) | instskip(NEXT) | instid1(VALU_DEP_1)
	v_cndmask_b32_e32 v3, 0x7f800000, v15, vcc_lo
	v_add_f32_e32 v3, 1.0, v3
	s_delay_alu instid0(VALU_DEP_1) | instskip(NEXT) | instid1(TRANS32_DEP_1)
	v_rcp_f32_e32 v3, v3
	v_fma_f32 v3, v3, -2.0, 1.0
.LBB89_61:
	s_wait_alu 0xfffe
	s_and_not1_saveexec_b32 s4, s4
	s_cbranch_execz .LBB89_63
; %bb.62:
	v_mul_f32_e32 v3, v5, v5
	s_mov_b32 s5, 0xbbbac73d
	s_wait_alu 0xfffe
	s_delay_alu instid0(VALU_DEP_1) | instskip(NEXT) | instid1(VALU_DEP_1)
	v_fmaak_f32 v15, s5, v3, 0x3ca908c9
	v_fmaak_f32 v15, v3, v15, 0xbd5c1c4e
	s_delay_alu instid0(VALU_DEP_1) | instskip(NEXT) | instid1(VALU_DEP_1)
	v_fmaak_f32 v15, v3, v15, 0x3e088382
	v_fmaak_f32 v15, v3, v15, 0xbeaaaa99
	s_delay_alu instid0(VALU_DEP_1) | instskip(NEXT) | instid1(VALU_DEP_1)
	v_mul_f32_e64 v15, |v5|, v15
	v_fma_f32 v3, v3, v15, |v5|
.LBB89_63:
	s_wait_alu 0xfffe
	s_or_b32 exec_lo, exec_lo, s4
	v_mul_hi_u32 v15, s20, v92
	v_max_num_f32_e32 v0, v0, v0
	v_bfi_b32 v5, 0x7fffffff, v3, v5
	s_wait_dscnt 0x0
	s_delay_alu instid0(VALU_DEP_3) | instskip(NEXT) | instid1(VALU_DEP_1)
	v_dual_max_num_f32 v16, v2, v2 :: v_dual_add_nc_u32 v15, v92, v15
	v_max_num_f32_e32 v102, v0, v16
	s_delay_alu instid0(VALU_DEP_3) | instskip(NEXT) | instid1(VALU_DEP_3)
	v_mul_f32_e32 v0, s11, v5
	v_lshrrev_b32_e32 v15, s21, v15
	s_delay_alu instid0(VALU_DEP_1) | instskip(NEXT) | instid1(VALU_DEP_1)
	v_mul_lo_u32 v15, v15, s22
	v_sub_nc_u32_e32 v15, v92, v15
	s_delay_alu instid0(VALU_DEP_1)
	v_mad_co_u64_u32 v[2:3], null, v15, s15, s[34:35]
	s_and_saveexec_b32 s4, s2
	s_cbranch_execz .LBB89_68
; %bb.64:
	v_cmp_ne_u32_e32 vcc_lo, 1, v8
	s_cbranch_vccnz .LBB89_66
; %bb.65:
	v_add_nc_u32_e32 v15, v2, v115
	s_delay_alu instid0(VALU_DEP_1) | instskip(NEXT) | instid1(VALU_DEP_1)
	v_ashrrev_i32_e32 v16, 31, v15
	v_lshlrev_b64_e32 v[15:16], 1, v[15:16]
	s_delay_alu instid0(VALU_DEP_1) | instskip(SKIP_1) | instid1(VALU_DEP_2)
	v_add_co_u32 v15, vcc_lo, s36, v15
	s_wait_alu 0xfffd
	v_add_co_ci_u32_e64 v16, null, s37, v16, vcc_lo
	global_load_u16 v3, v[15:16], off
	s_wait_loadcnt 0x0
	v_cvt_f32_f16_e32 v3, v3
	s_delay_alu instid0(VALU_DEP_1)
	v_mul_f32_e32 v3, v89, v3
	s_branch .LBB89_67
.LBB89_66:
	v_mov_b32_e32 v3, 0
.LBB89_67:
	s_delay_alu instid0(VALU_DEP_1) | instskip(NEXT) | instid1(VALU_DEP_1)
	v_dual_add_f32 v0, v0, v3 :: v_dual_max_num_f32 v1, v1, v1
	v_add_f32_e32 v3, 0x40051340, v0
	s_delay_alu instid0(VALU_DEP_1)
	v_max_num_f32_e32 v1, v1, v3
.LBB89_68:
	s_wait_alu 0xfffe
	s_or_b32 exec_lo, exec_lo, s4
	v_cmp_ngt_f32_e64 s2, 0x3f200000, |v4|
                                        ; implicit-def: $vgpr3
	s_and_saveexec_b32 s4, s2
	s_wait_alu 0xfffe
	s_xor_b32 s2, exec_lo, s4
	s_cbranch_execz .LBB89_70
; %bb.69:
	v_add_f32_e64 v3, |v4|, |v4|
	s_delay_alu instid0(VALU_DEP_1) | instskip(SKIP_1) | instid1(VALU_DEP_2)
	v_mul_f32_e32 v5, 0x3fb8aa3b, v3
	v_cmp_ngt_f32_e32 vcc_lo, 0xc2ce8ed0, v3
	v_rndne_f32_e32 v15, v5
	v_fma_f32 v16, 0x3fb8aa3b, v3, -v5
	s_delay_alu instid0(VALU_DEP_1) | instskip(SKIP_1) | instid1(VALU_DEP_2)
	v_dual_sub_f32 v5, v5, v15 :: v_dual_fmamk_f32 v16, v3, 0x32a5705f, v16
	v_cvt_i32_f32_e32 v15, v15
	v_add_f32_e32 v5, v5, v16
	s_delay_alu instid0(VALU_DEP_1) | instskip(NEXT) | instid1(TRANS32_DEP_1)
	v_exp_f32_e32 v5, v5
	v_ldexp_f32 v5, v5, v15
	s_wait_alu 0xfffd
	s_delay_alu instid0(VALU_DEP_1) | instskip(SKIP_2) | instid1(VALU_DEP_2)
	v_cndmask_b32_e32 v5, 0, v5, vcc_lo
	v_cmp_nlt_f32_e32 vcc_lo, 0x42b17218, v3
	s_wait_alu 0xfffd
	v_cndmask_b32_e32 v3, 0x7f800000, v5, vcc_lo
	s_delay_alu instid0(VALU_DEP_1) | instskip(NEXT) | instid1(VALU_DEP_1)
	v_add_f32_e32 v3, 1.0, v3
	v_rcp_f32_e32 v3, v3
	s_delay_alu instid0(TRANS32_DEP_1)
	v_fma_f32 v3, v3, -2.0, 1.0
.LBB89_70:
	s_wait_alu 0xfffe
	s_and_not1_saveexec_b32 s2, s2
	s_cbranch_execz .LBB89_72
; %bb.71:
	v_mul_f32_e32 v3, v4, v4
	s_mov_b32 s4, 0xbbbac73d
	s_wait_alu 0xfffe
	s_delay_alu instid0(VALU_DEP_1) | instskip(NEXT) | instid1(VALU_DEP_1)
	v_fmaak_f32 v5, s4, v3, 0x3ca908c9
	v_fmaak_f32 v5, v3, v5, 0xbd5c1c4e
	s_delay_alu instid0(VALU_DEP_1) | instskip(NEXT) | instid1(VALU_DEP_1)
	v_fmaak_f32 v5, v3, v5, 0x3e088382
	v_fmaak_f32 v5, v3, v5, 0xbeaaaa99
	s_delay_alu instid0(VALU_DEP_1) | instskip(NEXT) | instid1(VALU_DEP_1)
	v_mul_f32_e64 v5, |v4|, v5
	v_fma_f32 v3, v3, v5, |v4|
.LBB89_72:
	s_wait_alu 0xfffe
	s_or_b32 exec_lo, exec_lo, s2
	s_delay_alu instid0(VALU_DEP_1) | instskip(NEXT) | instid1(VALU_DEP_1)
	v_bfi_b32 v3, 0x7fffffff, v3, v4
	v_mul_f32_e32 v3, s11, v3
	s_and_saveexec_b32 s2, s3
	s_cbranch_execz .LBB89_77
; %bb.73:
	v_cmp_ne_u32_e32 vcc_lo, 1, v8
	s_cbranch_vccnz .LBB89_75
; %bb.74:
	v_ashrrev_i32_e32 v5, 31, v2
	v_add_co_u32 v4, vcc_lo, v2, v115
	s_wait_alu 0xfffd
	s_delay_alu instid0(VALU_DEP_2) | instskip(NEXT) | instid1(VALU_DEP_1)
	v_add_co_ci_u32_e64 v5, null, 0, v5, vcc_lo
	v_lshlrev_b64_e32 v[4:5], 1, v[4:5]
	s_delay_alu instid0(VALU_DEP_1) | instskip(SKIP_1) | instid1(VALU_DEP_2)
	v_add_co_u32 v4, vcc_lo, s36, v4
	s_wait_alu 0xfffd
	v_add_co_ci_u32_e64 v5, null, s37, v5, vcc_lo
	global_load_u16 v2, v[4:5], off offset:64
	s_wait_loadcnt 0x0
	v_cvt_f32_f16_e32 v2, v2
	s_delay_alu instid0(VALU_DEP_1)
	v_mul_f32_e32 v2, v89, v2
	s_branch .LBB89_76
.LBB89_75:
	v_mov_b32_e32 v2, 0
.LBB89_76:
	s_delay_alu instid0(VALU_DEP_1) | instskip(NEXT) | instid1(VALU_DEP_1)
	v_add_f32_e32 v3, v3, v2
	v_dual_max_num_f32 v1, v1, v1 :: v_dual_add_f32 v2, 0x40051340, v3
	s_delay_alu instid0(VALU_DEP_1)
	v_max_num_f32_e32 v1, v1, v2
.LBB89_77:
	s_wait_alu 0xfffe
	s_or_b32 exec_lo, exec_lo, s2
	ds_bpermute_b32 v2, v10, v1
	v_max_num_f32_e32 v1, v1, v1
	s_mov_b32 s36, 0
	v_sub_f32_e32 v9, v9, v102
	s_wait_alu 0xfffe
	s_mov_b32 s37, s36
	s_mov_b32 s38, s36
	v_sub_f32_e32 v5, v7, v102
	s_mov_b64 s[4:5], src_private_base
	v_mul_f32_e32 v10, 0x3fb8aa3b, v9
	s_ashr_i32 s27, s26, 31
	s_wait_loadcnt_dscnt 0x0
	v_mul_f32_e32 v8, 0x3fb8aa3b, v5
	v_cmp_ngt_f32_e32 vcc_lo, 0xc2ce8ed0, v5
	s_wait_alu 0xfffe
	s_mul_u64 s[2:3], s[34:35], s[26:27]
	s_barrier_signal -1
	s_wait_alu 0xfffe
	s_lshl_b64 s[2:3], s[2:3], 2
	s_barrier_wait -1
	s_wait_alu 0xfffe
	s_add_nc_u64 s[6:7], s[24:25], s[2:3]
	v_cmp_nlt_f32_e64 s2, 0x42b17218, v9
	global_inv scope:SCOPE_SE
	v_max_num_f32_e32 v2, v2, v2
	s_sub_co_i32 s4, s8, 32
	v_lshlrev_b32_e32 v130, 8, v88
	v_lshlrev_b32_e32 v35, 2, v91
	v_mov_b32_e32 v137, 0
	v_dual_max_num_f32 v1, v1, v2 :: v_dual_mov_b32 v32, s36
	v_dual_mov_b32 v33, s37 :: v_dual_mov_b32 v34, s38
	s_clause 0x1
	scratch_store_b32 off, v137, off
	scratch_store_b96 off, v[32:34], off offset:4
	ds_bpermute_b32 v2, v11, v1
	s_wait_dscnt 0x0
	v_dual_max_num_f32 v2, v2, v2 :: v_dual_add_nc_u32 v133, 0x800, v117
	s_delay_alu instid0(VALU_DEP_1) | instskip(SKIP_2) | instid1(VALU_DEP_1)
	v_max_num_f32_e32 v1, v1, v2
	ds_bpermute_b32 v2, v12, v1
	v_fma_f32 v12, 0x3fb8aa3b, v5, -v8
	v_fmac_f32_e32 v12, 0x32a5705f, v5
	s_wait_dscnt 0x0
	v_max_num_f32_e32 v2, v2, v2
	s_delay_alu instid0(VALU_DEP_1) | instskip(SKIP_4) | instid1(VALU_DEP_1)
	v_max_num_f32_e32 v1, v1, v2
	ds_bpermute_b32 v2, v13, v1
	v_rndne_f32_e32 v13, v8
	s_wait_dscnt 0x0
	v_max_num_f32_e32 v2, v2, v2
	v_dual_max_num_f32 v1, v1, v2 :: v_dual_add_nc_u32 v2, v90, v112
	ds_bpermute_b32 v4, v14, v1
	v_add_nc_u32_e32 v11, 0x2c00, v130
	v_mul_lo_u32 v7, s26, v2
	v_add_nc_u32_e32 v141, 8, v2
	v_add_nc_u32_e32 v143, 16, v2
	;; [unrolled: 1-line block ×3, first 2 shown]
	v_lshl_or_b32 v140, v2, 8, v35
	s_delay_alu instid0(VALU_DEP_4) | instskip(NEXT) | instid1(VALU_DEP_4)
	v_lshl_or_b32 v142, v141, 8, v35
	v_lshl_or_b32 v144, v143, 8, v35
	s_delay_alu instid0(VALU_DEP_4) | instskip(SKIP_2) | instid1(VALU_DEP_1)
	v_lshl_or_b32 v136, v145, 8, v35
	s_wait_dscnt 0x0
	v_max_num_f32_e32 v4, v4, v4
	v_max_num_f32_e32 v103, v1, v4
	v_fma_f32 v1, 0x3fb8aa3b, v9, -v10
	v_rndne_f32_e32 v4, v10
	v_sub_f32_e32 v8, v8, v13
	v_cvt_i32_f32_e32 v13, v13
	s_delay_alu instid0(VALU_DEP_4) | instskip(NEXT) | instid1(VALU_DEP_4)
	v_dual_sub_f32 v14, v0, v103 :: v_dual_fmac_f32 v1, 0x32a5705f, v9
	v_dual_sub_f32 v3, v3, v103 :: v_dual_sub_f32 v0, v10, v4
	v_cvt_i32_f32_e32 v4, v4
	s_delay_alu instid0(VALU_DEP_3) | instskip(SKIP_1) | instid1(VALU_DEP_4)
	v_mul_f32_e32 v10, 0x3fb8aa3b, v14
	v_cmp_nlt_f32_e64 s3, 0x42b17218, v14
	v_dual_mul_f32 v15, 0x3fb8aa3b, v3 :: v_dual_add_f32 v0, v0, v1
	s_delay_alu instid0(VALU_DEP_3) | instskip(SKIP_2) | instid1(VALU_DEP_4)
	v_fma_f32 v1, 0x3fb8aa3b, v14, -v10
	v_add_f32_e32 v8, v8, v12
	v_rndne_f32_e32 v17, v10
	v_fma_f32 v18, 0x3fb8aa3b, v3, -v15
	v_rndne_f32_e32 v19, v15
	v_fmac_f32_e32 v1, 0x32a5705f, v14
	v_exp_f32_e32 v16, v8
	v_exp_f32_e32 v20, v0
	v_sub_f32_e32 v0, v10, v17
	v_ashrrev_i32_e32 v8, 31, v7
	v_fmac_f32_e32 v18, 0x32a5705f, v3
	s_delay_alu instid0(VALU_DEP_3) | instskip(NEXT) | instid1(VALU_DEP_3)
	v_dual_sub_f32 v10, v15, v19 :: v_dual_add_f32 v15, v0, v1
	v_lshlrev_b64_e32 v[0:1], 2, v[7:8]
	s_delay_alu instid0(TRANS32_DEP_2) | instskip(NEXT) | instid1(VALU_DEP_3)
	v_ldexp_f32 v8, v16, v13
	v_add_f32_e32 v10, v10, v18
	s_delay_alu instid0(TRANS32_DEP_1)
	v_ldexp_f32 v4, v20, v4
	v_exp_f32_e32 v13, v15
	v_cvt_i32_f32_e32 v15, v17
	s_wait_alu 0xfffd
	v_cndmask_b32_e32 v8, 0, v8, vcc_lo
	v_cmp_ngt_f32_e32 vcc_lo, 0xc2ce8ed0, v9
	v_exp_f32_e32 v10, v10
	v_cvt_i32_f32_e32 v16, v19
	s_wait_alu 0xfffd
	v_cndmask_b32_e32 v4, 0, v4, vcc_lo
	v_cmp_nlt_f32_e32 vcc_lo, 0x42b17218, v5
	v_add_nc_u32_e32 v12, v11, v113
	s_delay_alu instid0(VALU_DEP_3)
	v_cndmask_b32_e64 v4, 0x7f800000, v4, s2
	s_wait_alu 0xfffd
	v_cndmask_b32_e32 v5, 0x7f800000, v8, vcc_lo
	v_ldexp_f32 v8, v13, v15
	v_cmp_ngt_f32_e64 s2, 0xc2ce8ed0, v14
	v_ldexp_f32 v10, v10, v16
	v_cmp_gt_u32_e32 vcc_lo, s8, v115
	s_wait_alu 0xf1ff
	s_delay_alu instid0(VALU_DEP_3) | instskip(SKIP_1) | instid1(VALU_DEP_2)
	v_cndmask_b32_e64 v8, 0, v8, s2
	v_cmp_ngt_f32_e64 s2, 0xc2ce8ed0, v3
	v_cndmask_b32_e64 v8, 0x7f800000, v8, s3
	s_wait_alu 0xf1ff
	s_delay_alu instid0(VALU_DEP_2)
	v_cndmask_b32_e64 v9, 0, v10, s2
	v_cmp_nlt_f32_e64 s3, 0x42b17218, v3
	v_cmp_gt_u32_e64 s2, s8, v6
	v_lshl_add_u32 v6, v6, 2, v11
	s_wait_alu 0xfffd
	v_cndmask_b32_e32 v131, 0, v8, vcc_lo
	s_wait_alu 0xf1ff
	v_cndmask_b32_e64 v3, 0x7f800000, v9, s3
	s_wait_alu 0xfffe
	v_add_co_u32 v9, s3, s6, v0
	v_cndmask_b32_e64 v139, 0, v4, s2
	s_wait_alu 0xf1ff
	v_add_co_ci_u32_e64 v10, null, s7, v1, s3
	v_cndmask_b32_e64 v132, 0, v3, s2
	s_lshl_b32 s2, s26, 3
	v_cndmask_b32_e32 v138, 0, v5, vcc_lo
	v_add_co_u32 v3, vcc_lo, v9, v35
	v_cvt_f16_f32_e64 v9, v131
	s_wait_alu 0xfffd
	v_add_co_ci_u32_e64 v4, null, 0, v10, vcc_lo
	v_cvt_f16_f32_e64 v5, v138
	v_cvt_f16_f32_e64 v8, v139
	;; [unrolled: 1-line block ×3, first 2 shown]
	v_cmp_gt_i32_e32 vcc_lo, s8, v2
	s_wait_alu 0xfffe
	v_add_nc_u32_e32 v7, s2, v7
	v_pack_b32_f16 v5, v5, v9
	v_pack_b32_f16 v8, v8, v10
	s_wait_alu 0xfffd
	v_cndmask_b32_e32 v4, s5, v4, vcc_lo
	v_cndmask_b32_e32 v3, 0, v3, vcc_lo
	ds_store_b32 v12, v5
	ds_store_b32 v6, v8
	v_ashrrev_i32_e32 v8, 31, v7
	flat_load_b128 v[3:6], v[3:4]
	s_clause 0x1
	scratch_store_b32 off, v137, off
	scratch_store_b96 off, v[32:34], off offset:4
	v_lshlrev_b64_e32 v[104:105], 2, v[7:8]
	v_add_nc_u32_e32 v7, s2, v7
	s_delay_alu instid0(VALU_DEP_2) | instskip(SKIP_1) | instid1(VALU_DEP_3)
	v_add_co_u32 v8, vcc_lo, s6, v104
	s_wait_alu 0xfffd
	v_add_co_ci_u32_e64 v9, null, s7, v105, vcc_lo
	s_delay_alu instid0(VALU_DEP_2) | instskip(SKIP_1) | instid1(VALU_DEP_2)
	v_add_co_u32 v8, vcc_lo, v8, v35
	s_wait_alu 0xfffd
	v_add_co_ci_u32_e64 v9, null, 0, v9, vcc_lo
	v_cmp_gt_i32_e32 vcc_lo, s8, v141
	s_wait_alu 0xfffd
	s_delay_alu instid0(VALU_DEP_2)
	v_cndmask_b32_e32 v9, s5, v9, vcc_lo
	v_cndmask_b32_e32 v8, 0, v8, vcc_lo
	s_wait_loadcnt_dscnt 0x0
	ds_store_b128 v140, v[3:6]
	flat_load_b128 v[3:6], v[8:9]
	v_ashrrev_i32_e32 v8, 31, v7
	s_clause 0x1
	scratch_store_b32 off, v137, off
	scratch_store_b96 off, v[32:34], off offset:4
	v_lshlrev_b64_e32 v[106:107], 2, v[7:8]
	v_add_nc_u32_e32 v7, s2, v7
	s_or_b32 s2, s34, 32
	v_add_nc_u32_e32 v134, 0x1800, v117
	s_wait_alu 0xfffe
	s_ashr_i32 s3, s2, 31
	v_add_co_u32 v8, vcc_lo, s6, v106
	s_wait_alu 0xfffd
	v_add_co_ci_u32_e64 v9, null, s7, v107, vcc_lo
	s_wait_alu 0xfffe
	s_mul_u64 s[2:3], s[2:3], s[26:27]
	v_add_co_u32 v8, vcc_lo, v8, v35
	s_wait_alu 0xfffd
	v_add_co_ci_u32_e64 v9, null, 0, v9, vcc_lo
	v_cmp_gt_i32_e32 vcc_lo, s8, v143
	s_wait_alu 0xfffe
	s_lshl_b64 s[2:3], s[2:3], 2
	s_wait_alu 0xfffe
	s_add_nc_u64 s[2:3], s[24:25], s[2:3]
	s_wait_alu 0xfffd
	v_cndmask_b32_e32 v9, s5, v9, vcc_lo
	v_cndmask_b32_e32 v8, 0, v8, vcc_lo
	s_wait_loadcnt_dscnt 0x0
	ds_store_b128 v142, v[3:6]
	flat_load_b128 v[3:6], v[8:9]
	v_ashrrev_i32_e32 v8, 31, v7
	s_clause 0x1
	scratch_store_b32 off, v137, off
	scratch_store_b96 off, v[32:34], off offset:4
	v_lshlrev_b64_e32 v[108:109], 2, v[7:8]
	s_delay_alu instid0(VALU_DEP_1) | instskip(SKIP_1) | instid1(VALU_DEP_2)
	v_add_co_u32 v7, vcc_lo, s6, v108
	s_wait_alu 0xfffd
	v_add_co_ci_u32_e64 v8, null, s7, v109, vcc_lo
	s_delay_alu instid0(VALU_DEP_2) | instskip(SKIP_1) | instid1(VALU_DEP_2)
	v_add_co_u32 v7, vcc_lo, v7, v35
	s_wait_alu 0xfffd
	v_add_co_ci_u32_e64 v8, null, 0, v8, vcc_lo
	v_cmp_gt_i32_e32 vcc_lo, s8, v145
	s_wait_alu 0xfffd
	s_delay_alu instid0(VALU_DEP_2)
	v_cndmask_b32_e32 v8, s5, v8, vcc_lo
	v_cndmask_b32_e32 v7, 0, v7, vcc_lo
	s_wait_alu 0xfffe
	v_add_co_u32 v0, vcc_lo, s2, v0
	s_wait_alu 0xfffd
	v_add_co_ci_u32_e64 v1, null, s3, v1, vcc_lo
	s_delay_alu instid0(VALU_DEP_2) | instskip(SKIP_1) | instid1(VALU_DEP_2)
	v_add_co_u32 v0, vcc_lo, v0, v35
	s_wait_alu 0xfffd
	v_add_co_ci_u32_e64 v1, null, 0, v1, vcc_lo
	v_cmp_gt_i32_e32 vcc_lo, s4, v2
	s_wait_alu 0xfffd
	v_dual_cndmask_b32 v146, 0, v0 :: v_dual_add_nc_u32 v135, 0x1000, v117
	s_delay_alu instid0(VALU_DEP_3) | instskip(SKIP_3) | instid1(VALU_DEP_2)
	v_cndmask_b32_e32 v147, s5, v1, vcc_lo
	v_add_co_u32 v104, vcc_lo, s2, v104
	s_wait_alu 0xfffd
	v_add_co_ci_u32_e64 v105, null, s3, v105, vcc_lo
	v_add_co_u32 v104, vcc_lo, v104, v35
	s_wait_alu 0xfffd
	s_delay_alu instid0(VALU_DEP_2) | instskip(SKIP_2) | instid1(VALU_DEP_2)
	v_add_co_ci_u32_e64 v105, null, 0, v105, vcc_lo
	v_cmp_gt_i32_e32 vcc_lo, s4, v141
	s_wait_alu 0xfffd
	v_cndmask_b32_e32 v105, s5, v105, vcc_lo
	v_cndmask_b32_e32 v104, 0, v104, vcc_lo
	s_wait_loadcnt_dscnt 0x0
	ds_store_b128 v144, v[3:6]
	flat_load_b128 v[3:6], v[7:8]
	s_wait_loadcnt_dscnt 0x0
	ds_store_b128 v136, v[3:6]
	s_wait_storecnt_dscnt 0x0
	s_barrier_signal -1
	s_barrier_wait -1
	global_inv scope:SCOPE_SE
	ds_load_2addr_b64 v[64:67], v117 offset1:32
	ds_load_b128 v[96:99], v130 offset:11264
	ds_load_b128 v[92:95], v130 offset:11280
	ds_load_b128 v[88:91], v130 offset:11296
	ds_load_b128 v[80:83], v130 offset:11312
	ds_load_2addr_b64 v[60:63], v117 offset0:64 offset1:96
	ds_load_2addr_b64 v[56:59], v117 offset0:128 offset1:160
	ds_load_2addr_b64 v[52:55], v117 offset0:192 offset1:224
	ds_load_2addr_b64 v[48:51], v133 offset1:32
	ds_load_2addr_b64 v[44:47], v133 offset0:64 offset1:96
	ds_load_2addr_b64 v[40:43], v133 offset0:128 offset1:160
	ds_load_2addr_b64 v[36:39], v133 offset0:192 offset1:224
	ds_load_2addr_b64 v[28:31], v135 offset1:32
	ds_load_2addr_b64 v[24:27], v135 offset0:64 offset1:96
	ds_load_2addr_b64 v[20:23], v135 offset0:128 offset1:160
	ds_load_b128 v[84:87], v130 offset:11328
	ds_load_b128 v[76:79], v130 offset:11344
	ds_load_2addr_b64 v[16:19], v135 offset0:192 offset1:224
	ds_load_2addr_b64 v[12:15], v134 offset1:32
	ds_load_2addr_b64 v[8:11], v134 offset0:64 offset1:96
	ds_load_2addr_b64 v[4:7], v134 offset0:128 offset1:160
	ds_load_b128 v[72:75], v130 offset:11360
	ds_load_b128 v[68:71], v130 offset:11376
	ds_load_2addr_b64 v[0:3], v134 offset0:192 offset1:224
	s_wait_loadcnt_dscnt 0x0
	s_barrier_signal -1
	s_barrier_wait -1
	global_inv scope:SCOPE_SE
	s_clause 0x1
	scratch_store_b32 off, v137, off
	scratch_store_b96 off, v[32:34], off offset:4
	flat_load_b128 v[146:149], v[146:147]
	s_clause 0x1
	scratch_store_b32 off, v137, off
	scratch_store_b96 off, v[32:34], off offset:4
	v_lshrrev_b32_e32 v150, 16, v87
	v_and_b32_e32 v87, 0xffff, v87
	v_lshrrev_b32_e32 v151, 16, v76
	v_and_b32_e32 v76, 0xffff, v76
	;; [unrolled: 2-line block ×13, first 2 shown]
	s_wait_loadcnt_dscnt 0x0
	ds_store_b128 v140, v[146:149]
	flat_load_b128 v[146:149], v[104:105]
	v_add_co_u32 v104, vcc_lo, s2, v106
	s_wait_alu 0xfffd
	v_add_co_ci_u32_e64 v105, null, s3, v107, vcc_lo
	s_clause 0x1
	scratch_store_b32 off, v137, off
	scratch_store_b96 off, v[32:34], off offset:4
	v_add_co_u32 v104, vcc_lo, v104, v35
	s_wait_alu 0xfffd
	v_add_co_ci_u32_e64 v105, null, 0, v105, vcc_lo
	v_cmp_gt_i32_e32 vcc_lo, s4, v143
	v_sub_f32_e32 v140, v100, v102
	v_lshrrev_b32_e32 v143, 16, v80
	v_and_b32_e32 v80, 0xffff, v80
	s_wait_alu 0xfffd
	v_cndmask_b32_e32 v105, s5, v105, vcc_lo
	v_cndmask_b32_e32 v104, 0, v104, vcc_lo
	v_add_co_u32 v108, vcc_lo, s2, v108
	s_wait_alu 0xfffd
	v_add_co_ci_u32_e64 v109, null, s3, v109, vcc_lo
	v_mul_u32_u24_e32 v80, 0x10001, v80
	s_delay_alu instid0(VALU_DEP_3) | instskip(SKIP_1) | instid1(VALU_DEP_3)
	v_add_co_u32 v35, vcc_lo, v108, v35
	s_wait_alu 0xfffd
	v_add_co_ci_u32_e64 v100, null, 0, v109, vcc_lo
	v_cmp_gt_i32_e32 vcc_lo, s4, v145
	v_dual_sub_f32 v108, v101, v103 :: v_dual_mul_f32 v109, 0x3fb8aa3b, v140
	v_mul_u32_u24_e32 v143, 0x10001, v143
	v_lshrrev_b32_e32 v145, 16, v82
	s_wait_alu 0xfffd
	v_cndmask_b32_e32 v101, s5, v100, vcc_lo
	v_cndmask_b32_e32 v100, 0, v35, vcc_lo
	v_cmp_ngt_f32_e32 vcc_lo, 0xc2ce8ed0, v140
	v_and_b32_e32 v82, 0xffff, v82
	v_mul_u32_u24_e32 v145, 0x10001, v145
	s_delay_alu instid0(VALU_DEP_2)
	v_mul_u32_u24_e32 v82, 0x10001, v82
	s_wait_loadcnt_dscnt 0x0
	ds_store_b128 v142, v[146:149]
	flat_load_b128 v[104:107], v[104:105]
	s_clause 0x1
	scratch_store_b32 off, v137, off
	scratch_store_b96 off, v[32:34], off offset:4
	v_lshrrev_b32_e32 v137, 16, v94
	v_and_b32_e32 v94, 0xffff, v94
	v_lshrrev_b32_e32 v142, 16, v91
	v_and_b32_e32 v91, 0xffff, v91
	v_lshrrev_b32_e32 v146, 16, v83
	v_mul_u32_u24_e32 v137, 0x10001, v137
	v_mul_u32_u24_e32 v94, 0x10001, v94
	;; [unrolled: 1-line block ×4, first 2 shown]
	v_and_b32_e32 v83, 0xffff, v83
	v_lshrrev_b32_e32 v147, 16, v84
	v_and_b32_e32 v84, 0xffff, v84
	v_mul_u32_u24_e32 v146, 0x10001, v146
	v_lshrrev_b32_e32 v148, 16, v85
	v_mul_u32_u24_e32 v83, 0x10001, v83
	v_and_b32_e32 v85, 0xffff, v85
	v_mul_u32_u24_e32 v84, 0x10001, v84
	v_mul_u32_u24_e32 v147, 0x10001, v147
	v_lshrrev_b32_e32 v149, 16, v86
	v_and_b32_e32 v86, 0xffff, v86
	v_mul_u32_u24_e32 v85, 0x10001, v85
	s_wait_loadcnt_dscnt 0x0
	ds_store_b128 v144, v[104:107]
	flat_load_b128 v[32:35], v[100:101]
	v_rndne_f32_e32 v101, v109
	v_mul_f32_e32 v141, 0x3fb8aa3b, v108
	v_fma_f32 v100, 0x3fb8aa3b, v140, -v109
	v_lshrrev_b32_e32 v144, 16, v81
	v_and_b32_e32 v81, 0xffff, v81
	v_sub_f32_e32 v106, v109, v101
	v_fma_f32 v104, 0x3fb8aa3b, v108, -v141
	v_rndne_f32_e32 v105, v141
	v_cvt_i32_f32_e32 v101, v101
	v_lshrrev_b32_e32 v109, 16, v97
	v_mul_u32_u24_e32 v81, 0x10001, v81
	s_delay_alu instid0(VALU_DEP_4)
	v_dual_fmac_f32 v104, 0x32a5705f, v108 :: v_dual_sub_f32 v107, v141, v105
	v_cvt_i32_f32_e32 v105, v105
	v_and_b32_e32 v97, 0xffff, v97
	v_mul_u32_u24_e32 v109, 0x10001, v109
	v_lshrrev_b32_e32 v141, 16, v90
	v_dual_add_f32 v104, v107, v104 :: v_dual_add_f32 v107, v138, v139
	v_fmac_f32_e32 v100, 0x32a5705f, v140
	v_mul_u32_u24_e32 v97, 0x10001, v97
	v_lshrrev_b32_e32 v138, 16, v95
	s_delay_alu instid0(VALU_DEP_4) | instskip(NEXT) | instid1(VALU_DEP_3)
	v_exp_f32_e32 v104, v104
	v_dual_add_f32 v100, v106, v100 :: v_dual_and_b32 v95, 0xffff, v95
	v_lshrrev_b32_e32 v139, 16, v88
	v_and_b32_e32 v88, 0xffff, v88
	v_mul_u32_u24_e32 v138, 0x10001, v138
	s_delay_alu instid0(VALU_DEP_4)
	v_mul_u32_u24_e32 v95, 0x10001, v95
	v_exp_f32_e32 v100, v100
	v_mul_u32_u24_e32 v139, 0x10001, v139
	v_mul_u32_u24_e32 v88, 0x10001, v88
	v_and_b32_e32 v90, 0xffff, v90
	v_mul_u32_u24_e32 v141, 0x10001, v141
	v_mul_u32_u24_e32 v144, 0x10001, v144
	s_delay_alu instid0(VALU_DEP_3) | instskip(NEXT) | instid1(TRANS32_DEP_1)
	v_mul_u32_u24_e32 v90, 0x10001, v90
	v_ldexp_f32 v100, v100, v101
	v_ldexp_f32 v101, v104, v105
	s_wait_alu 0xfffd
	s_delay_alu instid0(VALU_DEP_2)
	v_cndmask_b32_e32 v100, 0, v100, vcc_lo
	v_cmp_ngt_f32_e32 vcc_lo, 0xc2ce8ed0, v108
	s_wait_alu 0xfffd
	v_cndmask_b32_e32 v101, 0, v101, vcc_lo
	v_cmp_nlt_f32_e32 vcc_lo, 0x42b17218, v140
	v_lshrrev_b32_e32 v140, 16, v89
	v_and_b32_e32 v89, 0xffff, v89
	s_wait_alu 0xfffd
	v_cndmask_b32_e32 v105, 0x7f800000, v100, vcc_lo
	v_cmp_nlt_f32_e32 vcc_lo, 0x42b17218, v108
	v_lshrrev_b32_e32 v108, 16, v96
	v_and_b32_e32 v96, 0xffff, v96
	v_mul_u32_u24_e32 v89, 0x10001, v89
	v_fmac_f32_e32 v107, v123, v105
	s_wait_alu 0xfffd
	v_cndmask_b32_e32 v100, 0x7f800000, v101, vcc_lo
	v_cvt_f16_f32_e32 v101, v105
	v_mul_u32_u24_e32 v96, 0x10001, v96
	v_mul_u32_u24_e32 v108, 0x10001, v108
	v_mov_b32_e32 v123, v107
	v_cvt_f16_f32_e32 v104, v100
	v_and_b32_e32 v101, 0xffff, v101
	v_pk_mul_f16 v163, v64, v96
	v_pk_mul_f16 v64, v64, v108
	v_mul_u32_u24_e32 v140, 0x10001, v140
	v_and_b32_e32 v106, 0xffff, v104
	v_mul_u32_u24_e32 v104, 0x10001, v101
	v_add_f32_e32 v101, v131, v132
	v_lshrrev_b32_e32 v131, 16, v92
	v_and_b32_e32 v92, 0xffff, v92
	v_mul_u32_u24_e32 v105, 0x10001, v106
	v_pk_mul_f16 v106, v121, v104
	v_pk_fma_f16 v104, v119, v104, v163
	v_lshrrev_b32_e32 v121, 16, v99
	v_and_b32_e32 v99, 0xffff, v99
	v_pk_mul_f16 v107, v120, v105
	v_lshrrev_b32_e32 v120, 16, v98
	v_dual_fmac_f32 v101, v122, v100 :: v_dual_and_b32 v98, 0xffff, v98
	v_pk_fma_f16 v96, v65, v96, v106
	s_delay_alu instid0(VALU_DEP_4) | instskip(SKIP_1) | instid1(VALU_DEP_4)
	v_pk_fma_f16 v65, v65, v108, v107
	v_pk_fma_f16 v64, v118, v105, v64
	v_mul_u32_u24_e32 v98, 0x10001, v98
	v_mul_u32_u24_e32 v120, 0x10001, v120
	v_pk_fma_f16 v96, v67, v97, v96
	v_pk_fma_f16 v65, v67, v109, v65
	;; [unrolled: 1-line block ×4, first 2 shown]
	v_mul_u32_u24_e32 v99, 0x10001, v99
	v_mul_u32_u24_e32 v121, 0x10001, v121
	v_pk_fma_f16 v96, v61, v98, v96
	v_pk_fma_f16 v61, v61, v120, v65
	;; [unrolled: 1-line block ×4, first 2 shown]
	v_lshrrev_b32_e32 v132, 16, v93
	v_and_b32_e32 v93, 0xffff, v93
	v_mul_u32_u24_e32 v92, 0x10001, v92
	v_mul_u32_u24_e32 v131, 0x10001, v131
	v_pk_fma_f16 v67, v63, v99, v96
	v_pk_fma_f16 v61, v63, v121, v61
	;; [unrolled: 1-line block ×4, first 2 shown]
	v_mul_u32_u24_e32 v93, 0x10001, v93
	v_mul_u32_u24_e32 v132, 0x10001, v132
	v_pk_fma_f16 v65, v57, v92, v67
	v_pk_fma_f16 v57, v57, v131, v61
	v_pk_fma_f16 v61, v56, v92, v63
	v_pk_fma_f16 v56, v56, v131, v60
	v_mul_u32_u24_e32 v66, 0x10001, v148
	v_pk_fma_f16 v63, v59, v93, v65
	v_pk_fma_f16 v57, v59, v132, v57
	v_pk_fma_f16 v59, v58, v93, v61
	v_pk_fma_f16 v56, v58, v132, v56
	;; [unrolled: 5-line block ×24, first 2 shown]
	v_mul_u32_u24_e32 v16, 0x10001, v69
	v_mul_u32_u24_e32 v14, 0x10001, v160
	v_pk_fma_f16 v13, v5, v20, v15
	v_pk_fma_f16 v5, v5, v18, v9
	v_pk_fma_f16 v9, v4, v20, v11
	v_pk_fma_f16 v4, v4, v18, v8
	v_mul_u32_u24_e32 v12, 0x10001, v70
	v_mul_u32_u24_e32 v10, 0x10001, v161
	v_pk_fma_f16 v11, v7, v16, v13
	v_pk_fma_f16 v5, v7, v14, v5
	v_pk_fma_f16 v7, v6, v16, v9
	v_pk_fma_f16 v4, v6, v14, v4
	;; [unrolled: 6-line block ×3, first 2 shown]
	s_delay_alu instid0(VALU_DEP_4) | instskip(NEXT) | instid1(VALU_DEP_4)
	v_pk_fma_f16 v96, v3, v8, v9
	v_pk_fma_f16 v97, v3, v6, v1
	s_delay_alu instid0(VALU_DEP_4) | instskip(NEXT) | instid1(VALU_DEP_4)
	v_pk_fma_f16 v98, v2, v8, v5
	v_pk_fma_f16 v99, v2, v6, v0
	s_wait_loadcnt_dscnt 0x0
	ds_store_b128 v136, v[32:35]
	s_wait_storecnt_dscnt 0x0
	s_barrier_signal -1
	s_barrier_wait -1
	global_inv scope:SCOPE_SE
	ds_load_2addr_b64 v[0:3], v117 offset1:32
	ds_load_b128 v[4:7], v130 offset:11392
	ds_load_b128 v[8:11], v130 offset:11408
	ds_load_b128 v[12:15], v130 offset:11424
	ds_load_b128 v[16:19], v130 offset:11440
	ds_load_2addr_b64 v[20:23], v117 offset0:64 offset1:96
	ds_load_2addr_b64 v[24:27], v117 offset0:128 offset1:160
	;; [unrolled: 1-line block ×3, first 2 shown]
	ds_load_2addr_b64 v[32:35], v133 offset1:32
	ds_load_2addr_b64 v[36:39], v133 offset0:64 offset1:96
	ds_load_2addr_b64 v[40:43], v133 offset0:128 offset1:160
	;; [unrolled: 1-line block ×3, first 2 shown]
	ds_load_2addr_b64 v[48:51], v135 offset1:32
	ds_load_2addr_b64 v[52:55], v135 offset0:64 offset1:96
	ds_load_2addr_b64 v[56:59], v135 offset0:128 offset1:160
	ds_load_b128 v[60:63], v130 offset:11456
	ds_load_b128 v[64:67], v130 offset:11472
	ds_load_2addr_b64 v[68:71], v135 offset0:192 offset1:224
	ds_load_2addr_b64 v[72:75], v134 offset1:32
	ds_load_2addr_b64 v[76:79], v134 offset0:64 offset1:96
	ds_load_2addr_b64 v[80:83], v134 offset0:128 offset1:160
	ds_load_b128 v[84:87], v130 offset:11488
	ds_load_b128 v[88:91], v130 offset:11504
	ds_load_2addr_b64 v[92:95], v134 offset0:192 offset1:224
	s_wait_dscnt 0x16
	v_lshrrev_b32_e32 v100, 16, v4
	v_and_b32_e32 v4, 0xffff, v4
	v_lshrrev_b32_e32 v104, 16, v5
	v_and_b32_e32 v5, 0xffff, v5
	v_lshrrev_b32_e32 v105, 16, v6
	v_mul_u32_u24_e32 v100, 0x10001, v100
	v_mul_u32_u24_e32 v4, 0x10001, v4
	v_and_b32_e32 v6, 0xffff, v6
	v_mul_u32_u24_e32 v5, 0x10001, v5
	v_mul_u32_u24_e32 v104, 0x10001, v104
	v_lshrrev_b32_e32 v106, 16, v7
	v_pk_fma_f16 v98, v0, v4, v98
	v_pk_fma_f16 v0, v0, v100, v99
	;; [unrolled: 1-line block ×4, first 2 shown]
	v_and_b32_e32 v7, 0xffff, v7
	v_mul_u32_u24_e32 v6, 0x10001, v6
	v_mul_u32_u24_e32 v105, 0x10001, v105
	v_pk_fma_f16 v96, v2, v5, v98
	v_pk_fma_f16 v0, v2, v104, v0
	;; [unrolled: 1-line block ×4, first 2 shown]
	s_wait_dscnt 0x15
	v_lshrrev_b32_e32 v107, 16, v8
	v_and_b32_e32 v8, 0xffff, v8
	v_mul_u32_u24_e32 v7, 0x10001, v7
	v_mul_u32_u24_e32 v106, 0x10001, v106
	s_wait_dscnt 0x12
	v_pk_fma_f16 v4, v20, v6, v96
	v_pk_fma_f16 v0, v20, v105, v0
	v_pk_fma_f16 v2, v21, v6, v2
	v_pk_fma_f16 v1, v21, v105, v1
	v_lshrrev_b32_e32 v108, 16, v9
	v_and_b32_e32 v9, 0xffff, v9
	v_mul_u32_u24_e32 v8, 0x10001, v8
	v_mul_u32_u24_e32 v107, 0x10001, v107
	v_pk_fma_f16 v4, v22, v7, v4
	v_pk_fma_f16 v0, v22, v106, v0
	v_pk_fma_f16 v2, v23, v7, v2
	v_pk_fma_f16 v1, v23, v106, v1
	v_lshrrev_b32_e32 v109, 16, v10
	v_and_b32_e32 v10, 0xffff, v10
	v_mul_u32_u24_e32 v9, 0x10001, v9
	v_mul_u32_u24_e32 v108, 0x10001, v108
	s_wait_dscnt 0x11
	v_pk_fma_f16 v4, v24, v8, v4
	v_pk_fma_f16 v0, v24, v107, v0
	v_pk_fma_f16 v2, v25, v8, v2
	v_pk_fma_f16 v1, v25, v107, v1
	v_lshrrev_b32_e32 v117, 16, v11
	v_and_b32_e32 v11, 0xffff, v11
	v_mul_u32_u24_e32 v10, 0x10001, v10
	v_mul_u32_u24_e32 v109, 0x10001, v109
	v_pk_fma_f16 v4, v26, v9, v4
	v_pk_fma_f16 v0, v26, v108, v0
	v_pk_fma_f16 v2, v27, v9, v2
	v_pk_fma_f16 v1, v27, v108, v1
	;; [unrolled: 17-line block ×6, first 2 shown]
	s_wait_dscnt 0x8
	v_lshrrev_b32_e32 v133, 16, v60
	v_and_b32_e32 v60, 0xffff, v60
	v_mul_u32_u24_e32 v19, 0x10001, v19
	v_mul_u32_u24_e32 v132, 0x10001, v132
	v_pk_fma_f16 v4, v44, v18, v4
	v_pk_fma_f16 v0, v44, v131, v0
	v_pk_fma_f16 v2, v45, v18, v2
	v_pk_fma_f16 v1, v45, v131, v1
	v_lshrrev_b32_e32 v134, 16, v61
	v_and_b32_e32 v61, 0xffff, v61
	v_mul_u32_u24_e32 v60, 0x10001, v60
	v_mul_u32_u24_e32 v133, 0x10001, v133
	v_pk_fma_f16 v4, v46, v19, v4
	v_pk_fma_f16 v0, v46, v132, v0
	v_pk_fma_f16 v2, v47, v19, v2
	v_pk_fma_f16 v1, v47, v132, v1
	v_lshrrev_b32_e32 v135, 16, v62
	v_and_b32_e32 v62, 0xffff, v62
	v_mul_u32_u24_e32 v61, 0x10001, v61
	v_mul_u32_u24_e32 v3, 0x10001, v134
	v_pk_fma_f16 v4, v48, v60, v4
	v_pk_fma_f16 v0, v48, v133, v0
	v_pk_fma_f16 v2, v49, v60, v2
	v_pk_fma_f16 v1, v49, v133, v1
	v_lshrrev_b32_e32 v136, 16, v63
	v_and_b32_e32 v63, 0xffff, v63
	v_mul_u32_u24_e32 v5, 0x10001, v62
	v_mul_u32_u24_e32 v6, 0x10001, v135
	v_pk_fma_f16 v4, v50, v61, v4
	v_pk_fma_f16 v0, v50, v3, v0
	v_pk_fma_f16 v2, v51, v61, v2
	v_pk_fma_f16 v1, v51, v3, v1
	s_wait_dscnt 0x7
	v_lshrrev_b32_e32 v137, 16, v64
	v_and_b32_e32 v64, 0xffff, v64
	v_mul_u32_u24_e32 v7, 0x10001, v63
	v_mul_u32_u24_e32 v8, 0x10001, v136
	v_pk_fma_f16 v4, v52, v5, v4
	v_pk_fma_f16 v0, v52, v6, v0
	v_pk_fma_f16 v2, v53, v5, v2
	v_pk_fma_f16 v1, v53, v6, v1
	v_lshrrev_b32_e32 v138, 16, v65
	v_and_b32_e32 v65, 0xffff, v65
	v_mul_u32_u24_e32 v9, 0x10001, v64
	v_mul_u32_u24_e32 v10, 0x10001, v137
	v_pk_fma_f16 v4, v54, v7, v4
	v_pk_fma_f16 v0, v54, v8, v0
	v_pk_fma_f16 v2, v55, v7, v2
	v_pk_fma_f16 v1, v55, v8, v1
	v_lshrrev_b32_e32 v139, 16, v66
	v_and_b32_e32 v66, 0xffff, v66
	v_mul_u32_u24_e32 v11, 0x10001, v65
	v_mul_u32_u24_e32 v12, 0x10001, v138
	v_pk_fma_f16 v4, v56, v9, v4
	v_pk_fma_f16 v0, v56, v10, v0
	v_pk_fma_f16 v2, v57, v9, v2
	v_pk_fma_f16 v1, v57, v10, v1
	v_lshrrev_b32_e32 v140, 16, v67
	v_and_b32_e32 v67, 0xffff, v67
	v_mul_u32_u24_e32 v13, 0x10001, v66
	v_mul_u32_u24_e32 v14, 0x10001, v139
	v_pk_fma_f16 v4, v58, v11, v4
	v_pk_fma_f16 v0, v58, v12, v0
	v_pk_fma_f16 v2, v59, v11, v2
	v_pk_fma_f16 v1, v59, v12, v1
	;; [unrolled: 33-line block ×4, first 2 shown]
	v_mul_u32_u24_e32 v7, 0x10001, v91
	v_mul_u32_u24_e32 v3, 0x10001, v148
	s_wait_dscnt 0x0
	v_pk_fma_f16 v4, v92, v5, v4
	v_pk_fma_f16 v0, v92, v6, v0
	;; [unrolled: 1-line block ×4, first 2 shown]
	v_mov_b32_e32 v122, v101
	v_mov_b32_e32 v100, v102
	v_pk_fma_f16 v119, v94, v7, v4
	v_pk_fma_f16 v118, v94, v3, v0
	;; [unrolled: 1-line block ×4, first 2 shown]
	v_mov_b32_e32 v101, v103
	s_wait_loadcnt 0x0
	s_barrier_signal -1
	s_barrier_wait -1
	global_inv scope:SCOPE_SE
.LBB89_78:
	v_cmp_lt_i32_e32 vcc_lo, v125, v127
	s_cmp_eq_u64 s[12:13], 0
	s_cselect_b32 s2, -1, 0
	s_cmp_lg_u32 s14, 0
	s_wait_alu 0xfffd
	v_cndmask_b32_e32 v0, v116, v125, vcc_lo
	v_cmp_lt_i32_e32 vcc_lo, v124, v127
	s_cselect_b32 s3, -1, 0
	s_wait_alu 0xfffe
	s_or_b32 s2, s3, s2
	v_lshlrev_b32_e32 v0, 2, v0
	s_wait_alu 0xfffd
	v_cndmask_b32_e32 v2, v116, v124, vcc_lo
	v_cmp_lt_i32_e32 vcc_lo, v126, v127
	ds_bpermute_b32 v1, v0, v123
	v_lshlrev_b32_e32 v2, 2, v2
	s_wait_alu 0xfffd
	v_cndmask_b32_e32 v4, v116, v126, vcc_lo
	v_cmp_lt_i32_e32 vcc_lo, v128, v127
	s_wait_dscnt 0x0
	s_delay_alu instid0(VALU_DEP_2)
	v_dual_add_f32 v1, v123, v1 :: v_dual_lshlrev_b32 v4, 2, v4
	ds_bpermute_b32 v0, v0, v122
	ds_bpermute_b32 v3, v2, v1
	s_wait_dscnt 0x0
	v_dual_add_f32 v1, v1, v3 :: v_dual_add_f32 v0, v122, v0
	ds_bpermute_b32 v2, v2, v0
	s_wait_dscnt 0x0
	v_add_f32_e32 v0, v0, v2
	ds_bpermute_b32 v2, v4, v1
	ds_bpermute_b32 v3, v4, v0
	s_wait_alu 0xfffd
	v_cndmask_b32_e32 v4, v116, v128, vcc_lo
	v_cmp_lt_i32_e32 vcc_lo, v129, v127
	s_wait_dscnt 0x1
	s_delay_alu instid0(VALU_DEP_2)
	v_dual_add_f32 v1, v1, v2 :: v_dual_lshlrev_b32 v4, 2, v4
	s_wait_dscnt 0x0
	v_add_f32_e32 v0, v0, v3
	ds_bpermute_b32 v2, v4, v1
	ds_bpermute_b32 v3, v4, v0
	s_wait_alu 0xfffd
	v_cndmask_b32_e32 v4, v116, v129, vcc_lo
	s_wait_alu 0xfffe
	s_and_b32 vcc_lo, exec_lo, s2
	s_wait_dscnt 0x1
	s_delay_alu instid0(VALU_DEP_1)
	v_dual_add_f32 v1, v1, v2 :: v_dual_lshlrev_b32 v4, 2, v4
	s_wait_dscnt 0x0
	v_add_f32_e32 v2, v0, v3
	ds_bpermute_b32 v0, v4, v1
	ds_bpermute_b32 v3, v4, v2
	s_wait_dscnt 0x0
	v_dual_add_f32 v0, v1, v0 :: v_dual_add_f32 v1, v2, v3
	s_wait_alu 0xfffe
	s_cbranch_vccnz .LBB89_80
; %bb.79:
	v_dual_mov_b32 v2, 0 :: v_dual_max_num_f32 v3, v100, v100
	s_lshl_b64 s[2:3], s[28:29], 2
	v_max_num_f32_e32 v6, v101, v101
	s_wait_alu 0xfffe
	s_add_nc_u64 s[2:3], s[12:13], s[2:3]
	global_load_b32 v2, v2, s[2:3]
	s_wait_loadcnt 0x0
	v_max_num_f32_e32 v5, v2, v2
	s_delay_alu instid0(VALU_DEP_1) | instskip(SKIP_1) | instid1(VALU_DEP_2)
	v_max_num_f32_e32 v4, v3, v5
	v_max_num_f32_e32 v5, v6, v5
	v_sub_f32_e32 v6, v2, v4
	s_delay_alu instid0(VALU_DEP_1) | instskip(SKIP_1) | instid1(VALU_DEP_2)
	v_dual_sub_f32 v8, v2, v5 :: v_dual_mul_f32 v9, 0x3fb8aa3b, v6
	v_sub_f32_e32 v3, v100, v4
	v_mul_f32_e32 v11, 0x3fb8aa3b, v8
	s_delay_alu instid0(VALU_DEP_3) | instskip(NEXT) | instid1(VALU_DEP_3)
	v_rndne_f32_e32 v15, v9
	v_dual_mul_f32 v2, 0x3fb8aa3b, v3 :: v_dual_sub_f32 v7, v101, v5
	v_fma_f32 v14, 0x3fb8aa3b, v6, -v9
	v_cmp_ngt_f32_e32 vcc_lo, 0xc2ce8ed0, v3
	v_rndne_f32_e32 v19, v11
	s_delay_alu instid0(VALU_DEP_4) | instskip(SKIP_3) | instid1(VALU_DEP_4)
	v_rndne_f32_e32 v13, v2
	v_mul_f32_e32 v10, 0x3fb8aa3b, v7
	v_fma_f32 v12, 0x3fb8aa3b, v3, -v2
	v_dual_fmac_f32 v14, 0x32a5705f, v6 :: v_dual_sub_f32 v9, v9, v15
	v_sub_f32_e32 v2, v2, v13
	v_fma_f32 v18, 0x3fb8aa3b, v8, -v11
	v_fma_f32 v16, 0x3fb8aa3b, v7, -v10
	v_sub_f32_e32 v11, v11, v19
	v_dual_fmac_f32 v12, 0x32a5705f, v3 :: v_dual_add_f32 v9, v9, v14
	v_rndne_f32_e32 v17, v10
	v_dual_mov_b32 v101, v5 :: v_dual_mov_b32 v100, v4
	s_delay_alu instid0(VALU_DEP_3) | instskip(NEXT) | instid1(VALU_DEP_4)
	v_add_f32_e32 v2, v2, v12
	v_exp_f32_e32 v9, v9
	v_cvt_i32_f32_e32 v12, v13
	v_cvt_i32_f32_e32 v13, v15
	;; [unrolled: 1-line block ×3, first 2 shown]
	v_exp_f32_e32 v2, v2
	v_cvt_i32_f32_e32 v14, v17
	s_delay_alu instid0(TRANS32_DEP_2) | instid1(VALU_DEP_3)
	v_ldexp_f32 v9, v9, v13
	v_fmac_f32_e32 v18, 0x32a5705f, v8
	v_fmac_f32_e32 v16, 0x32a5705f, v7
	s_delay_alu instid0(TRANS32_DEP_1) | instskip(NEXT) | instid1(VALU_DEP_3)
	v_ldexp_f32 v2, v2, v12
	v_add_f32_e32 v11, v11, v18
	s_wait_alu 0xfffd
	s_delay_alu instid0(VALU_DEP_2) | instskip(SKIP_1) | instid1(VALU_DEP_3)
	v_cndmask_b32_e32 v2, 0, v2, vcc_lo
	v_cmp_ngt_f32_e32 vcc_lo, 0xc2ce8ed0, v7
	v_exp_f32_e32 v11, v11
	s_delay_alu instid0(TRANS32_DEP_1) | instskip(SKIP_1) | instid1(VALU_DEP_1)
	v_ldexp_f32 v11, v11, v15
	v_sub_f32_e32 v10, v10, v17
	v_add_f32_e32 v10, v10, v16
	s_delay_alu instid0(VALU_DEP_1) | instskip(NEXT) | instid1(TRANS32_DEP_1)
	v_exp_f32_e32 v10, v10
	v_ldexp_f32 v10, v10, v14
	s_wait_alu 0xfffd
	s_delay_alu instid0(VALU_DEP_1)
	v_cndmask_b32_e32 v10, 0, v10, vcc_lo
	v_cmp_ngt_f32_e32 vcc_lo, 0xc2ce8ed0, v6
	s_wait_alu 0xfffd
	v_cndmask_b32_e32 v9, 0, v9, vcc_lo
	v_cmp_nlt_f32_e32 vcc_lo, 0x42b17218, v3
	s_wait_alu 0xfffd
	v_cndmask_b32_e32 v12, 0x7f800000, v2, vcc_lo
	v_cmp_nlt_f32_e32 vcc_lo, 0x42b17218, v7
	s_wait_alu 0xfffd
	v_cndmask_b32_e32 v7, 0x7f800000, v10, vcc_lo
	v_cmp_ngt_f32_e32 vcc_lo, 0xc2ce8ed0, v8
	v_cvt_f16_f32_e32 v10, v12
	s_wait_alu 0xfffd
	v_cndmask_b32_e32 v3, 0, v11, vcc_lo
	v_cmp_nlt_f32_e32 vcc_lo, 0x42b17218, v6
	v_cvt_f16_f32_e32 v6, v7
	s_wait_alu 0xfffd
	v_cndmask_b32_e32 v2, 0x7f800000, v9, vcc_lo
	v_cmp_nlt_f32_e32 vcc_lo, 0x42b17218, v8
	v_and_b32_e32 v8, 0xffff, v10
	v_and_b32_e32 v6, 0xffff, v6
	s_wait_alu 0xfffd
	v_dual_fmac_f32 v2, v0, v12 :: v_dual_cndmask_b32 v3, 0x7f800000, v3
	s_delay_alu instid0(VALU_DEP_2) | instskip(NEXT) | instid1(VALU_DEP_2)
	v_mul_u32_u24_e32 v6, 0x10001, v6
	v_fmac_f32_e32 v3, v1, v7
	v_mul_u32_u24_e32 v7, 0x10001, v8
	s_delay_alu instid0(VALU_DEP_4) | instskip(NEXT) | instid1(VALU_DEP_4)
	v_mov_b32_e32 v0, v2
	v_pk_mul_f16 v118, v118, v6
	v_pk_mul_f16 v120, v120, v6
	v_mov_b32_e32 v1, v3
	v_pk_mul_f16 v119, v119, v7
	v_pk_mul_f16 v121, v121, v7
	s_mov_b32 s2, exec_lo
	v_cmpx_gt_i32_e64 s22, v114
	s_cbranch_execnz .LBB89_81
	s_branch .LBB89_90
.LBB89_80:
	s_delay_alu instid0(VALU_DEP_1)
	v_dual_mov_b32 v2, v0 :: v_dual_mov_b32 v3, v1
	s_mov_b32 s2, exec_lo
	v_cmpx_gt_i32_e64 s22, v114
	s_cbranch_execz .LBB89_90
.LBB89_81:
	s_load_b32 s1, s[0:1], 0xd4
	v_mov_b32_e32 v6, 1.0
	s_wait_kmcnt 0x0
	s_cmp_lg_u32 s1, 1
	s_cselect_b32 s4, -1, 0
	s_cmp_eq_u32 s1, 1
	s_cselect_b32 s2, -1, 0
	s_wait_alu 0xfffe
	s_and_b32 vcc_lo, exec_lo, s4
	s_wait_alu 0xfffe
	s_cbranch_vccnz .LBB89_83
; %bb.82:
	v_div_scale_f32 v4, null, v2, v2, 1.0
	s_delay_alu instid0(VALU_DEP_1) | instskip(NEXT) | instid1(TRANS32_DEP_1)
	v_rcp_f32_e32 v5, v4
	v_fma_f32 v6, -v4, v5, 1.0
	s_delay_alu instid0(VALU_DEP_1) | instskip(SKIP_1) | instid1(VALU_DEP_1)
	v_fmac_f32_e32 v5, v6, v5
	v_div_scale_f32 v6, vcc_lo, 1.0, v2, 1.0
	v_mul_f32_e32 v7, v6, v5
	s_delay_alu instid0(VALU_DEP_1) | instskip(NEXT) | instid1(VALU_DEP_1)
	v_fma_f32 v8, -v4, v7, v6
	v_fmac_f32_e32 v7, v8, v5
	s_delay_alu instid0(VALU_DEP_1) | instskip(SKIP_1) | instid1(VALU_DEP_1)
	v_fma_f32 v4, -v4, v7, v6
	s_wait_alu 0xfffd
	v_div_fmas_f32 v4, v4, v5, v7
	s_delay_alu instid0(VALU_DEP_1)
	v_div_fixup_f32 v6, v4, v2, 1.0
.LBB89_83:
	s_mul_i32 s3, s30, s22
	v_cvt_f32_f16_e32 v9, v119
	s_wait_alu 0xfffe
	s_add_co_i32 s3, s3, s33
	v_cvt_f32_f16_e32 v10, v121
	s_wait_alu 0xfffe
	v_add_nc_u32_e32 v2, s3, v112
	v_mov_b32_e32 v8, 0
	v_cmp_eq_u32_e32 vcc_lo, 0, v115
	s_delay_alu instid0(VALU_DEP_3) | instskip(SKIP_1) | instid1(VALU_DEP_1)
	v_mad_co_u64_u32 v[4:5], null, v2, s23, s[28:29]
	v_lshrrev_b32_e32 v2, 16, v119
	v_cvt_f32_f16_e32 v2, v2
	s_delay_alu instid0(VALU_DEP_3) | instskip(SKIP_1) | instid1(VALU_DEP_1)
	v_mad_co_u64_u32 v[4:5], null, s1, v4, s[14:15]
	v_lshrrev_b32_e32 v5, 16, v121
	v_cvt_f32_f16_e32 v5, v5
	s_delay_alu instid0(VALU_DEP_3) | instskip(NEXT) | instid1(VALU_DEP_1)
	v_lshl_add_u32 v7, v4, 7, v113
	v_lshlrev_b64_e32 v[11:12], 2, v[7:8]
	v_mul_f32_e32 v7, v6, v9
	v_mul_f32_e32 v9, v6, v10
	;; [unrolled: 1-line block ×4, first 2 shown]
	v_add_co_u32 v5, s0, s16, v11
	s_wait_alu 0xf1ff
	v_add_co_ci_u32_e64 v6, null, s17, v12, s0
	s_and_b32 s0, vcc_lo, s4
	global_store_b128 v[5:6], v[7:10], off
	s_wait_alu 0xfffe
	s_and_saveexec_b32 s4, s0
	s_cbranch_execz .LBB89_85
; %bb.84:
	v_ashrrev_i32_e32 v5, 31, v4
	v_dual_mov_b32 v6, v100 :: v_dual_mov_b32 v7, v0
	s_delay_alu instid0(VALU_DEP_2) | instskip(NEXT) | instid1(VALU_DEP_1)
	v_lshlrev_b64_e32 v[4:5], 3, v[4:5]
	v_add_co_u32 v4, vcc_lo, s18, v4
	s_wait_alu 0xfffd
	s_delay_alu instid0(VALU_DEP_2)
	v_add_co_ci_u32_e64 v5, null, s19, v5, vcc_lo
	global_store_b64 v[4:5], v[6:7], off
.LBB89_85:
	s_wait_alu 0xfffe
	s_or_b32 exec_lo, exec_lo, s4
	v_cmp_gt_i32_e32 vcc_lo, s22, v111
	s_and_b32 exec_lo, exec_lo, vcc_lo
	s_cbranch_execz .LBB89_90
; %bb.86:
	v_mov_b32_e32 v0, 1.0
	s_and_not1_b32 vcc_lo, exec_lo, s2
	s_wait_alu 0xfffe
	s_cbranch_vccnz .LBB89_88
; %bb.87:
	v_div_scale_f32 v0, null, v3, v3, 1.0
	s_delay_alu instid0(VALU_DEP_1) | instskip(NEXT) | instid1(TRANS32_DEP_1)
	v_rcp_f32_e32 v2, v0
	v_fma_f32 v4, -v0, v2, 1.0
	s_delay_alu instid0(VALU_DEP_1) | instskip(SKIP_1) | instid1(VALU_DEP_1)
	v_fmac_f32_e32 v2, v4, v2
	v_div_scale_f32 v4, vcc_lo, 1.0, v3, 1.0
	v_mul_f32_e32 v5, v4, v2
	s_delay_alu instid0(VALU_DEP_1) | instskip(NEXT) | instid1(VALU_DEP_1)
	v_fma_f32 v6, -v0, v5, v4
	v_fmac_f32_e32 v5, v6, v2
	s_delay_alu instid0(VALU_DEP_1) | instskip(SKIP_1) | instid1(VALU_DEP_1)
	v_fma_f32 v0, -v0, v5, v4
	s_wait_alu 0xfffd
	v_div_fmas_f32 v0, v0, v2, v5
	s_delay_alu instid0(VALU_DEP_1)
	v_div_fixup_f32 v0, v0, v3, 1.0
.LBB89_88:
	v_cvt_f32_f16_e32 v9, v118
	v_add_nc_u32_e32 v2, s3, v110
	v_lshrrev_b32_e32 v5, 16, v118
	v_cvt_f32_f16_e32 v10, v120
	v_mov_b32_e32 v4, 0
	v_lshrrev_b32_e32 v6, 16, v120
	v_mad_co_u64_u32 v[2:3], null, v2, s23, s[28:29]
	v_cvt_f32_f16_e32 v11, v5
	v_mul_f32_e32 v5, v0, v10
	s_delay_alu instid0(VALU_DEP_4) | instskip(NEXT) | instid1(VALU_DEP_4)
	v_cvt_f32_f16_e32 v6, v6
	v_mad_co_u64_u32 v[2:3], null, s1, v2, s[14:15]
	s_delay_alu instid0(VALU_DEP_2) | instskip(NEXT) | instid1(VALU_DEP_2)
	v_mul_f32_e32 v6, v0, v6
	v_lshl_add_u32 v3, v2, 7, v113
	s_delay_alu instid0(VALU_DEP_1) | instskip(SKIP_2) | instid1(VALU_DEP_3)
	v_lshlrev_b64_e32 v[7:8], 2, v[3:4]
	v_mul_f32_e32 v3, v0, v9
	v_mul_f32_e32 v4, v0, v11
	v_add_co_u32 v7, vcc_lo, s16, v7
	s_wait_alu 0xfffd
	s_delay_alu instid0(VALU_DEP_4)
	v_add_co_ci_u32_e64 v8, null, s17, v8, vcc_lo
	global_store_b128 v[7:8], v[3:6], off
	s_and_b32 exec_lo, exec_lo, s0
	s_cbranch_execz .LBB89_90
; %bb.89:
	v_ashrrev_i32_e32 v3, 31, v2
	v_mov_b32_e32 v0, v101
	s_delay_alu instid0(VALU_DEP_2) | instskip(NEXT) | instid1(VALU_DEP_1)
	v_lshlrev_b64_e32 v[2:3], 3, v[2:3]
	v_add_co_u32 v2, vcc_lo, s18, v2
	s_wait_alu 0xfffd
	s_delay_alu instid0(VALU_DEP_2)
	v_add_co_ci_u32_e64 v3, null, s19, v3, vcc_lo
	global_store_b64 v[2:3], v[0:1], off
	s_nop 0
	s_sendmsg sendmsg(MSG_DEALLOC_VGPRS)
	s_endpgm
.LBB89_90:
	s_nop 0
	s_sendmsg sendmsg(MSG_DEALLOC_VGPRS)
	s_endpgm
	.section	.rodata,"a",@progbits
	.p2align	6, 0x0
	.amdhsa_kernel _ZL15flash_attn_tileILi128ELi128ELi8ELi1ELb1EEvPKcS1_S1_S1_S1_PKiPfP15HIP_vector_typeIfLj2EEffffjfiS5_IjLj3EEiiiiiiiiiiiliiliiiiil
		.amdhsa_group_segment_fixed_size 12288
		.amdhsa_private_segment_fixed_size 32
		.amdhsa_kernarg_size 464
		.amdhsa_user_sgpr_count 2
		.amdhsa_user_sgpr_dispatch_ptr 0
		.amdhsa_user_sgpr_queue_ptr 0
		.amdhsa_user_sgpr_kernarg_segment_ptr 1
		.amdhsa_user_sgpr_dispatch_id 0
		.amdhsa_user_sgpr_private_segment_size 0
		.amdhsa_wavefront_size32 1
		.amdhsa_uses_dynamic_stack 0
		.amdhsa_enable_private_segment 1
		.amdhsa_system_sgpr_workgroup_id_x 1
		.amdhsa_system_sgpr_workgroup_id_y 1
		.amdhsa_system_sgpr_workgroup_id_z 1
		.amdhsa_system_sgpr_workgroup_info 0
		.amdhsa_system_vgpr_workitem_id 1
		.amdhsa_next_free_vgpr 192
		.amdhsa_next_free_sgpr 48
		.amdhsa_reserve_vcc 1
		.amdhsa_float_round_mode_32 0
		.amdhsa_float_round_mode_16_64 0
		.amdhsa_float_denorm_mode_32 3
		.amdhsa_float_denorm_mode_16_64 3
		.amdhsa_fp16_overflow 0
		.amdhsa_workgroup_processor_mode 1
		.amdhsa_memory_ordered 1
		.amdhsa_forward_progress 1
		.amdhsa_inst_pref_size 191
		.amdhsa_round_robin_scheduling 0
		.amdhsa_exception_fp_ieee_invalid_op 0
		.amdhsa_exception_fp_denorm_src 0
		.amdhsa_exception_fp_ieee_div_zero 0
		.amdhsa_exception_fp_ieee_overflow 0
		.amdhsa_exception_fp_ieee_underflow 0
		.amdhsa_exception_fp_ieee_inexact 0
		.amdhsa_exception_int_div_zero 0
	.end_amdhsa_kernel
	.section	.text._ZL15flash_attn_tileILi128ELi128ELi8ELi1ELb1EEvPKcS1_S1_S1_S1_PKiPfP15HIP_vector_typeIfLj2EEffffjfiS5_IjLj3EEiiiiiiiiiiiliiliiiiil,"axG",@progbits,_ZL15flash_attn_tileILi128ELi128ELi8ELi1ELb1EEvPKcS1_S1_S1_S1_PKiPfP15HIP_vector_typeIfLj2EEffffjfiS5_IjLj3EEiiiiiiiiiiiliiliiiiil,comdat
.Lfunc_end89:
	.size	_ZL15flash_attn_tileILi128ELi128ELi8ELi1ELb1EEvPKcS1_S1_S1_S1_PKiPfP15HIP_vector_typeIfLj2EEffffjfiS5_IjLj3EEiiiiiiiiiiiliiliiiiil, .Lfunc_end89-_ZL15flash_attn_tileILi128ELi128ELi8ELi1ELb1EEvPKcS1_S1_S1_S1_PKiPfP15HIP_vector_typeIfLj2EEffffjfiS5_IjLj3EEiiiiiiiiiiiliiliiiiil
                                        ; -- End function
	.set _ZL15flash_attn_tileILi128ELi128ELi8ELi1ELb1EEvPKcS1_S1_S1_S1_PKiPfP15HIP_vector_typeIfLj2EEffffjfiS5_IjLj3EEiiiiiiiiiiiliiliiiiil.num_vgpr, 192
	.set _ZL15flash_attn_tileILi128ELi128ELi8ELi1ELb1EEvPKcS1_S1_S1_S1_PKiPfP15HIP_vector_typeIfLj2EEffffjfiS5_IjLj3EEiiiiiiiiiiiliiliiiiil.num_agpr, 0
	.set _ZL15flash_attn_tileILi128ELi128ELi8ELi1ELb1EEvPKcS1_S1_S1_S1_PKiPfP15HIP_vector_typeIfLj2EEffffjfiS5_IjLj3EEiiiiiiiiiiiliiliiiiil.numbered_sgpr, 48
	.set _ZL15flash_attn_tileILi128ELi128ELi8ELi1ELb1EEvPKcS1_S1_S1_S1_PKiPfP15HIP_vector_typeIfLj2EEffffjfiS5_IjLj3EEiiiiiiiiiiiliiliiiiil.num_named_barrier, 0
	.set _ZL15flash_attn_tileILi128ELi128ELi8ELi1ELb1EEvPKcS1_S1_S1_S1_PKiPfP15HIP_vector_typeIfLj2EEffffjfiS5_IjLj3EEiiiiiiiiiiiliiliiiiil.private_seg_size, 32
	.set _ZL15flash_attn_tileILi128ELi128ELi8ELi1ELb1EEvPKcS1_S1_S1_S1_PKiPfP15HIP_vector_typeIfLj2EEffffjfiS5_IjLj3EEiiiiiiiiiiiliiliiiiil.uses_vcc, 1
	.set _ZL15flash_attn_tileILi128ELi128ELi8ELi1ELb1EEvPKcS1_S1_S1_S1_PKiPfP15HIP_vector_typeIfLj2EEffffjfiS5_IjLj3EEiiiiiiiiiiiliiliiiiil.uses_flat_scratch, 1
	.set _ZL15flash_attn_tileILi128ELi128ELi8ELi1ELb1EEvPKcS1_S1_S1_S1_PKiPfP15HIP_vector_typeIfLj2EEffffjfiS5_IjLj3EEiiiiiiiiiiiliiliiiiil.has_dyn_sized_stack, 0
	.set _ZL15flash_attn_tileILi128ELi128ELi8ELi1ELb1EEvPKcS1_S1_S1_S1_PKiPfP15HIP_vector_typeIfLj2EEffffjfiS5_IjLj3EEiiiiiiiiiiiliiliiiiil.has_recursion, 0
	.set _ZL15flash_attn_tileILi128ELi128ELi8ELi1ELb1EEvPKcS1_S1_S1_S1_PKiPfP15HIP_vector_typeIfLj2EEffffjfiS5_IjLj3EEiiiiiiiiiiiliiliiiiil.has_indirect_call, 0
	.section	.AMDGPU.csdata,"",@progbits
; Kernel info:
; codeLenInByte = 24360
; TotalNumSgprs: 50
; NumVgprs: 192
; ScratchSize: 32
; MemoryBound: 0
; FloatMode: 240
; IeeeMode: 1
; LDSByteSize: 12288 bytes/workgroup (compile time only)
; SGPRBlocks: 0
; VGPRBlocks: 23
; NumSGPRsForWavesPerEU: 50
; NumVGPRsForWavesPerEU: 192
; Occupancy: 8
; WaveLimiterHint : 1
; COMPUTE_PGM_RSRC2:SCRATCH_EN: 1
; COMPUTE_PGM_RSRC2:USER_SGPR: 2
; COMPUTE_PGM_RSRC2:TRAP_HANDLER: 0
; COMPUTE_PGM_RSRC2:TGID_X_EN: 1
; COMPUTE_PGM_RSRC2:TGID_Y_EN: 1
; COMPUTE_PGM_RSRC2:TGID_Z_EN: 1
; COMPUTE_PGM_RSRC2:TIDIG_COMP_CNT: 1
	.section	.text._ZL15flash_attn_tileILi128ELi128ELi4ELi1ELb1EEvPKcS1_S1_S1_S1_PKiPfP15HIP_vector_typeIfLj2EEffffjfiS5_IjLj3EEiiiiiiiiiiiliiliiiiil,"axG",@progbits,_ZL15flash_attn_tileILi128ELi128ELi4ELi1ELb1EEvPKcS1_S1_S1_S1_PKiPfP15HIP_vector_typeIfLj2EEffffjfiS5_IjLj3EEiiiiiiiiiiiliiliiiiil,comdat
	.globl	_ZL15flash_attn_tileILi128ELi128ELi4ELi1ELb1EEvPKcS1_S1_S1_S1_PKiPfP15HIP_vector_typeIfLj2EEffffjfiS5_IjLj3EEiiiiiiiiiiiliiliiiiil ; -- Begin function _ZL15flash_attn_tileILi128ELi128ELi4ELi1ELb1EEvPKcS1_S1_S1_S1_PKiPfP15HIP_vector_typeIfLj2EEffffjfiS5_IjLj3EEiiiiiiiiiiiliiliiiiil
	.p2align	8
	.type	_ZL15flash_attn_tileILi128ELi128ELi4ELi1ELb1EEvPKcS1_S1_S1_S1_PKiPfP15HIP_vector_typeIfLj2EEffffjfiS5_IjLj3EEiiiiiiiiiiiliiliiiiil,@function
_ZL15flash_attn_tileILi128ELi128ELi4ELi1ELb1EEvPKcS1_S1_S1_S1_PKiPfP15HIP_vector_typeIfLj2EEffffjfiS5_IjLj3EEiiiiiiiiiiiliiliiiiil: ; @_ZL15flash_attn_tileILi128ELi128ELi4ELi1ELb1EEvPKcS1_S1_S1_S1_PKiPfP15HIP_vector_typeIfLj2EEffffjfiS5_IjLj3EEiiiiiiiiiiiliiliiiiil
; %bb.0:
	s_clause 0x1
	s_load_b128 s[20:23], s[0:1], 0x5c
	s_load_b64 s[2:3], s[0:1], 0x80
	s_lshr_b32 s6, ttmp7, 16
	s_load_b64 s[40:41], s[0:1], 0xb8
	s_mov_b32 s39, 0
	s_mov_b64 s[34:35], 0
	s_wait_kmcnt 0x0
	s_cvt_f32_u32 s4, s23
	s_sub_co_i32 s5, 0, s23
	s_delay_alu instid0(SALU_CYCLE_2) | instskip(NEXT) | instid1(TRANS32_DEP_1)
	v_rcp_iflag_f32_e32 v1, s4
	v_readfirstlane_b32 s4, v1
	s_mul_f32 s4, s4, 0x4f7ffffe
	s_wait_alu 0xfffe
	s_delay_alu instid0(SALU_CYCLE_2) | instskip(SKIP_1) | instid1(SALU_CYCLE_2)
	s_cvt_u32_f32 s4, s4
	s_wait_alu 0xfffe
	s_mul_i32 s5, s5, s4
	s_wait_alu 0xfffe
	s_mul_hi_u32 s5, s4, s5
	s_wait_alu 0xfffe
	s_add_co_i32 s4, s4, s5
	s_wait_alu 0xfffe
	s_mul_hi_u32 s4, s6, s4
	s_wait_alu 0xfffe
	s_mul_i32 s5, s4, s23
	s_add_co_i32 s7, s4, 1
	s_wait_alu 0xfffe
	s_sub_co_i32 s5, s6, s5
	s_wait_alu 0xfffe
	s_sub_co_i32 s8, s5, s23
	s_cmp_ge_u32 s5, s23
	s_cselect_b32 s4, s7, s4
	s_cselect_b32 s5, s8, s5
	s_wait_alu 0xfffe
	s_add_co_i32 s7, s4, 1
	s_cmp_ge_u32 s5, s23
	s_cselect_b32 s28, s7, s4
	s_abs_i32 s4, s3
	s_abs_i32 s9, s23
	s_wait_alu 0xfffe
	s_cvt_f32_u32 s5, s4
	s_sub_co_i32 s7, 0, s4
	s_mul_i32 s8, s28, s23
	s_xor_b32 s3, s23, s3
	s_wait_alu 0xfffe
	v_rcp_iflag_f32_e32 v1, s5
	s_sub_co_i32 s30, s6, s8
	s_ashr_i32 s3, s3, 31
	s_delay_alu instid0(TRANS32_DEP_1) | instskip(SKIP_2) | instid1(SALU_CYCLE_2)
	v_readfirstlane_b32 s5, v1
	s_mul_f32 s5, s5, 0x4f7ffffe
	s_wait_alu 0xfffe
	s_cvt_u32_f32 s5, s5
	s_wait_alu 0xfffe
	s_delay_alu instid0(SALU_CYCLE_2) | instskip(NEXT) | instid1(SALU_CYCLE_1)
	s_mul_i32 s7, s7, s5
	s_mul_hi_u32 s7, s5, s7
	s_delay_alu instid0(SALU_CYCLE_1)
	s_add_co_i32 s5, s5, s7
	s_wait_alu 0xfffe
	s_mul_hi_u32 s5, s9, s5
	s_wait_alu 0xfffe
	s_mul_i32 s6, s5, s4
	s_add_co_i32 s7, s5, 1
	s_sub_co_i32 s6, s9, s6
	s_delay_alu instid0(SALU_CYCLE_1)
	s_sub_co_i32 s8, s6, s4
	s_cmp_ge_u32 s6, s4
	s_cselect_b32 s5, s7, s5
	s_cselect_b32 s6, s8, s6
	s_wait_alu 0xfffe
	s_add_co_i32 s7, s5, 1
	s_cmp_ge_u32 s6, s4
	s_cselect_b32 s4, s7, s5
	s_abs_i32 s38, s30
	s_wait_alu 0xfffe
	s_xor_b32 s4, s4, s3
	s_wait_alu 0xfffe
	s_sub_co_i32 s29, s4, s3
	s_delay_alu instid0(SALU_CYCLE_1) | instskip(NEXT) | instid1(SALU_CYCLE_1)
	s_abs_i32 s3, s29
	s_cvt_f32_u32 s4, s3
	s_sub_co_i32 s25, 0, s3
	s_wait_alu 0xfffe
	s_delay_alu instid0(SALU_CYCLE_1) | instskip(SKIP_1) | instid1(TRANS32_DEP_1)
	v_rcp_iflag_f32_e32 v1, s4
	s_load_b512 s[4:19], s[0:1], 0x0
	v_readfirstlane_b32 s24, v1
	s_mul_f32 s24, s24, 0x4f7ffffe
	s_delay_alu instid0(SALU_CYCLE_3) | instskip(NEXT) | instid1(SALU_CYCLE_3)
	s_cvt_u32_f32 s24, s24
	s_mul_i32 s25, s25, s24
	s_delay_alu instid0(SALU_CYCLE_1) | instskip(NEXT) | instid1(SALU_CYCLE_1)
	s_mul_hi_u32 s25, s24, s25
	s_add_co_i32 s42, s24, s25
	s_wait_kmcnt 0x0
	s_cmp_eq_u64 s[10:11], 0
	s_cbranch_scc1 .LBB90_2
; %bb.1:
	s_abs_i32 s26, s40
	s_delay_alu instid0(SALU_CYCLE_1) | instskip(NEXT) | instid1(SALU_CYCLE_3)
	s_cvt_f32_u32 s24, s26
	v_rcp_iflag_f32_e32 v1, s24
	s_delay_alu instid0(TRANS32_DEP_1) | instskip(SKIP_2) | instid1(SALU_CYCLE_2)
	v_readfirstlane_b32 s24, v1
	s_mul_f32 s24, s24, 0x4f7ffffe
	s_wait_alu 0xfffe
	s_cvt_u32_f32 s27, s24
	s_sub_co_i32 s24, 0, s26
	s_wait_alu 0xfffe
	s_delay_alu instid0(SALU_CYCLE_1) | instskip(SKIP_4) | instid1(SALU_CYCLE_1)
	s_mul_i32 s24, s24, s27
	s_wait_alu 0xfffe
	s_mul_hi_u32 s31, s27, s24
	s_load_b64 s[24:25], s[0:1], 0xc8
	s_add_co_i32 s27, s27, s31
	s_mul_hi_u32 s27, s28, s27
	s_delay_alu instid0(SALU_CYCLE_1) | instskip(NEXT) | instid1(SALU_CYCLE_1)
	s_mul_i32 s27, s27, s26
	s_sub_co_i32 s27, s28, s27
	s_delay_alu instid0(SALU_CYCLE_1) | instskip(SKIP_2) | instid1(SALU_CYCLE_1)
	s_sub_co_i32 s31, s27, s26
	s_cmp_ge_u32 s27, s26
	s_cselect_b32 s27, s31, s27
	s_sub_co_i32 s31, s27, s26
	s_cmp_ge_u32 s27, s26
	s_cselect_b32 s26, s31, s27
	s_delay_alu instid0(SALU_CYCLE_1)
	s_ashr_i32 s27, s26, 31
	s_wait_kmcnt 0x0
	s_mul_u64 s[24:25], s[24:25], s[26:27]
	s_wait_alu 0xfffe
	s_add_nc_u64 s[34:35], s[10:11], s[24:25]
.LBB90_2:
	s_clause 0x1
	s_load_b128 s[24:27], s[0:1], 0x40
	s_load_b64 s[36:37], s[0:1], 0x50
	v_mov_b32_e32 v42, 1.0
	s_mov_b32 s43, s39
	s_wait_kmcnt 0x0
	s_cmp_le_f32 s25, 0
	s_cbranch_scc1 .LBB90_4
; %bb.3:
	v_sub_co_u32 v1, s10, s30, s36
	s_and_b32 s25, s10, exec_lo
	s_cselect_b32 s25, s26, s27
	s_add_co_i32 s26, s30, 1
	v_readfirstlane_b32 s11, v1
	s_lshl_b32 s11, s11, 1
	s_delay_alu instid0(SALU_CYCLE_1)
	s_or_b32 s11, s11, 1
	s_and_b32 s10, s10, exec_lo
	s_cselect_b32 s10, s26, s11
	s_wait_alu 0xfffe
	s_cmp_neq_f32 s25, 1.0
	s_cvt_f32_i32 s10, s10
	s_delay_alu instid0(SALU_CYCLE_3) | instskip(NEXT) | instid1(SALU_CYCLE_1)
	s_cselect_b32 s11, s10, 1.0
	s_cmp_neq_f32 s11, 0
	s_cselect_b32 s10, s25, 1.0
	s_delay_alu instid0(SALU_CYCLE_1) | instskip(NEXT) | instid1(VALU_DEP_1)
	v_frexp_mant_f32_e64 v1, |s10|
	v_readfirstlane_b32 s25, v1
	v_cvt_f64_f32_e64 v[1:2], |s10|
	s_cmp_lt_f32 s25, 0x3f2aaaab
	s_cselect_b32 s26, -1, 0
	s_delay_alu instid0(SALU_CYCLE_1) | instskip(SKIP_1) | instid1(SALU_CYCLE_1)
	s_and_b32 s27, s26, exec_lo
	s_cselect_b32 s27, 2.0, 1.0
	s_mul_f32 s25, s25, s27
	s_wait_alu 0xfffe
	s_delay_alu instid0(SALU_CYCLE_2) | instskip(SKIP_1) | instid1(SALU_CYCLE_2)
	s_add_f32 s27, s25, 1.0
	s_add_f32 s33, s25, -1.0
	v_s_rcp_f32 s31, s27
	s_add_f32 s44, s27, -1.0
	s_delay_alu instid0(SALU_CYCLE_3) | instskip(NEXT) | instid1(TRANS32_DEP_1)
	s_sub_f32 s25, s25, s44
	s_mul_f32 s36, s33, s31
	s_wait_alu 0xfffe
	s_delay_alu instid0(SALU_CYCLE_2) | instskip(NEXT) | instid1(SALU_CYCLE_3)
	s_mul_f32 s40, s27, s36
	s_xor_b32 s45, s40, 0x80000000
	s_delay_alu instid0(VALU_DEP_1) | instskip(SKIP_1) | instid1(SALU_CYCLE_3)
	v_frexp_exp_i32_f64_e32 v1, v[1:2]
	s_fmac_f32 s45, s36, s27
	s_fmac_f32 s45, s36, s25
	s_delay_alu instid0(SALU_CYCLE_3) | instskip(SKIP_1) | instid1(SALU_CYCLE_2)
	s_add_f32 s25, s40, s45
	s_wait_alu 0xfffe
	s_sub_f32 s27, s33, s25
	s_sub_f32 s40, s25, s40
	s_wait_alu 0xfffe
	s_delay_alu instid0(SALU_CYCLE_1) | instskip(NEXT) | instid1(SALU_CYCLE_1)
	s_sub_f32 s33, s33, s27
	s_sub_f32 s40, s40, s45
	s_delay_alu instid0(SALU_CYCLE_2) | instskip(SKIP_1) | instid1(SALU_CYCLE_2)
	s_sub_f32 s25, s33, s25
	s_wait_alu 0xfffe
	s_add_f32 s25, s40, s25
	s_mov_b32 s40, 0x3e76c4e1
	s_wait_alu 0xfffe
	s_delay_alu instid0(SALU_CYCLE_1) | instskip(SKIP_1) | instid1(SALU_CYCLE_2)
	s_add_f32 s25, s27, s25
	s_wait_alu 0xfffe
	s_mul_f32 s25, s31, s25
	s_wait_alu 0xfffe
	s_delay_alu instid0(SALU_CYCLE_2) | instskip(SKIP_1) | instid1(SALU_CYCLE_2)
	s_add_f32 s27, s36, s25
	s_wait_alu 0xfffe
	s_sub_f32 s31, s27, s36
	s_mul_f32 s33, s27, s27
	s_wait_alu 0xfffe
	s_delay_alu instid0(SALU_CYCLE_1) | instskip(NEXT) | instid1(SALU_CYCLE_1)
	s_sub_f32 s25, s25, s31
	s_xor_b32 s31, s33, 0x80000000
	s_wait_alu 0xfffe
	s_fmac_f32 s31, s27, s27
	s_add_f32 s36, s25, s25
	s_wait_alu 0xfffe
	s_delay_alu instid0(SALU_CYCLE_2) | instskip(SKIP_1) | instid1(SALU_CYCLE_2)
	s_fmac_f32 s31, s27, s36
	s_wait_alu 0xfffe
	s_add_f32 s36, s33, s31
	s_wait_alu 0xfffe
	s_delay_alu instid0(SALU_CYCLE_2) | instskip(SKIP_1) | instid1(SALU_CYCLE_2)
	s_fmaak_f32 s40, s36, s40, 0x3e91f4c4
	s_sub_f32 s33, s36, s33
	s_fmaak_f32 s40, s36, s40, 0x3ecccdef
	s_delay_alu instid0(SALU_CYCLE_2) | instskip(SKIP_1) | instid1(SALU_CYCLE_1)
	s_sub_f32 s31, s31, s33
	s_mul_f32 s33, s27, s36
	s_mul_f32 s44, s36, s40
	s_delay_alu instid0(SALU_CYCLE_2) | instskip(NEXT) | instid1(SALU_CYCLE_2)
	s_xor_b32 s46, s33, 0x80000000
	s_xor_b32 s45, s44, 0x80000000
	s_fmac_f32 s46, s36, s27
	s_fmac_f32 s45, s36, s40
	s_delay_alu instid0(SALU_CYCLE_2) | instskip(SKIP_1) | instid1(SALU_CYCLE_1)
	s_fmac_f32 s46, s36, s25
	s_wait_alu 0xfffe
	s_fmac_f32 s45, s31, s40
	s_delay_alu instid0(SALU_CYCLE_1) | instskip(NEXT) | instid1(SALU_CYCLE_2)
	s_fmac_f32 s46, s31, s27
	s_add_f32 s40, s44, s45
	s_delay_alu instid0(SALU_CYCLE_3) | instskip(SKIP_1) | instid1(SALU_CYCLE_2)
	s_sub_f32 s44, s40, s44
	s_add_f32 s47, s40, 0x3f2aaaaa
	s_sub_f32 s44, s45, s44
	s_delay_alu instid0(SALU_CYCLE_2) | instskip(NEXT) | instid1(SALU_CYCLE_2)
	s_add_f32 s45, s47, 0xbf2aaaaa
	s_add_f32 s36, s44, 0x31739010
	s_delay_alu instid0(SALU_CYCLE_2) | instskip(SKIP_1) | instid1(SALU_CYCLE_2)
	s_sub_f32 s40, s40, s45
	s_wait_alu 0xfffe
	s_add_f32 s31, s36, s40
	s_add_f32 s36, s33, s46
	s_wait_alu 0xfffe
	s_delay_alu instid0(SALU_CYCLE_1) | instskip(NEXT) | instid1(SALU_CYCLE_1)
	s_add_f32 s40, s47, s31
	s_sub_f32 s33, s36, s33
	s_delay_alu instid0(SALU_CYCLE_2) | instskip(SKIP_1) | instid1(SALU_CYCLE_1)
	s_mul_f32 s44, s36, s40
	s_sub_f32 s45, s47, s40
	s_sub_f32 s33, s46, s33
	s_delay_alu instid0(SALU_CYCLE_1) | instskip(NEXT) | instid1(SALU_CYCLE_1)
	s_xor_b32 s47, s44, 0x80000000
	s_add_f32 s31, s31, s45
	s_fmac_f32 s47, s36, s40
	v_readfirstlane_b32 s45, v1
	v_ldexp_f32 v1, s27, 1
	s_cmp_lg_u32 s26, 0
	s_wait_alu 0xfffe
	s_fmac_f32 s47, s36, s31
	s_sub_co_ci_u32 s26, s45, 0
	v_readfirstlane_b32 s27, v1
	s_delay_alu instid0(SALU_CYCLE_1)
	s_fmac_f32 s47, s33, s40
	s_wait_alu 0xfffe
	s_cvt_f32_i32 s26, s26
	v_ldexp_f32 v1, s25, 1
	s_add_f32 s31, s44, s47
	s_wait_alu 0xfffe
	s_mul_f32 s25, s26, 0x3f317218
	s_delay_alu instid0(VALU_DEP_1)
	v_readfirstlane_b32 s40, v1
	s_add_f32 s33, s27, s31
	s_sub_f32 s36, s31, s44
	s_wait_alu 0xfffe
	s_xor_b32 s44, s25, 0x80000000
	s_sub_f32 s27, s33, s27
	s_sub_f32 s36, s47, s36
	s_fmamk_f32 s44, s26, 0x3f317218, s44
	s_wait_alu 0xfffe
	s_sub_f32 s27, s31, s27
	s_add_f32 s31, s40, s36
	s_fmamk_f32 s26, s26, 0xb102e308, s44
	s_wait_alu 0xfffe
	s_delay_alu instid0(SALU_CYCLE_1) | instskip(NEXT) | instid1(SALU_CYCLE_1)
	s_add_f32 s27, s31, s27
	s_add_f32 s31, s25, s26
	s_wait_alu 0xfffe
	s_delay_alu instid0(SALU_CYCLE_1) | instskip(NEXT) | instid1(SALU_CYCLE_1)
	s_add_f32 s36, s33, s27
	s_sub_f32 s25, s31, s25
	s_wait_alu 0xfffe
	s_delay_alu instid0(SALU_CYCLE_1) | instskip(SKIP_2) | instid1(SALU_CYCLE_1)
	s_add_f32 s40, s31, s36
	s_sub_f32 s33, s36, s33
	s_sub_f32 s25, s26, s25
	;; [unrolled: 1-line block ×3, first 2 shown]
	s_delay_alu instid0(SALU_CYCLE_1) | instskip(NEXT) | instid1(SALU_CYCLE_2)
	s_sub_f32 s26, s27, s33
	s_sub_f32 s45, s40, s44
	;; [unrolled: 1-line block ×3, first 2 shown]
	s_wait_alu 0xfffe
	s_add_f32 s33, s25, s26
	s_sub_f32 s31, s31, s45
	s_wait_alu 0xfffe
	s_delay_alu instid0(SALU_CYCLE_2) | instskip(SKIP_2) | instid1(SALU_CYCLE_1)
	s_add_f32 s27, s27, s31
	s_sub_f32 s31, s33, s25
	s_wait_alu 0xfffe
	s_add_f32 s27, s33, s27
	s_delay_alu instid0(SALU_CYCLE_1)
	s_sub_f32 s33, s33, s31
	s_sub_f32 s26, s26, s31
	s_wait_alu 0xfffe
	s_add_f32 s36, s40, s27
	s_sub_f32 s25, s25, s33
	s_wait_alu 0xfffe
	s_delay_alu instid0(SALU_CYCLE_1) | instskip(NEXT) | instid1(SALU_CYCLE_1)
	s_sub_f32 s31, s36, s40
	s_add_f32 s25, s26, s25
	s_wait_alu 0xfffe
	s_delay_alu instid0(SALU_CYCLE_1) | instskip(SKIP_1) | instid1(SALU_CYCLE_2)
	s_sub_f32 s26, s27, s31
	s_wait_alu 0xfffe
	s_add_f32 s25, s25, s26
	s_wait_alu 0xfffe
	s_delay_alu instid0(SALU_CYCLE_2) | instskip(SKIP_1) | instid1(SALU_CYCLE_2)
	s_add_f32 s26, s36, s25
	s_wait_alu 0xfffe
	s_mul_f32 s27, s11, s26
	s_sub_f32 s31, s26, s36
	s_wait_alu 0xfffe
	s_delay_alu instid0(SALU_CYCLE_1) | instskip(NEXT) | instid1(SALU_CYCLE_1)
	s_xor_b32 s33, s27, 0x80000000
	s_sub_f32 s25, s25, s31
	s_fmac_f32 s33, s11, s26
	s_wait_alu 0xfffe
	s_delay_alu instid0(SALU_CYCLE_2) | instskip(SKIP_1) | instid1(SALU_CYCLE_2)
	s_fmac_f32 s33, s11, s25
	v_cmp_class_f32_e64 s25, s27, 0x204
	s_add_f32 s26, s27, s33
	s_and_b32 s25, s25, exec_lo
	s_wait_alu 0xfffe
	s_delay_alu instid0(SALU_CYCLE_1)
	s_sub_f32 s25, s26, s27
	s_cselect_b32 s26, s27, s26
	s_wait_alu 0xfffe
	s_and_b32 s27, s26, 0x7fffffff
	s_sub_f32 s25, s33, s25
	s_wait_alu 0xfffe
	s_cmp_neq_f32 s27, 0x7f800000
	s_delay_alu instid0(SALU_CYCLE_1)
	s_cselect_b32 s25, s25, 0
	s_cmp_eq_f32 s26, 0x42b17218
	s_cselect_b32 s27, 0x37000000, 0
	s_wait_alu 0xfffe
	s_sub_f32 s26, s26, s27
	s_add_f32 s25, s27, s25
	s_wait_alu 0xfffe
	s_delay_alu instid0(SALU_CYCLE_1) | instskip(SKIP_1) | instid1(SALU_CYCLE_2)
	s_mul_f32 s31, s26, 0x3fb8aa3b
	s_wait_alu 0xfffe
	s_xor_b32 s33, s31, 0x80000000
	s_rndne_f32 s36, s31
	s_fmamk_f32 s33, s26, 0x3fb8aa3b, s33
	s_cmp_nlt_f32 s26, 0xc2ce8ed0
	s_wait_alu 0xfffe
	s_sub_f32 s31, s31, s36
	s_fmamk_f32 s33, s26, 0x32a5705f, s33
	s_cselect_b32 vcc_lo, -1, 0
	s_cmp_ngt_f32 s26, 0x42b17218
	s_trunc_f32 s26, s11
	s_wait_alu 0xfffe
	s_add_f32 s31, s31, s33
	s_cvt_i32_f32 s33, s36
	s_wait_alu 0xfffe
	s_delay_alu instid0(SALU_CYCLE_1) | instskip(SKIP_1) | instid1(TRANS32_DEP_1)
	v_s_exp_f32 s31, s31
	s_wait_alu 0xf1ff
	v_ldexp_f32 v1, s31, s33
	s_mul_f32 s31, s11, 0.5
	s_delay_alu instid0(VALU_DEP_1)
	v_cndmask_b32_e32 v1, 0, v1, vcc_lo
	s_cselect_b32 vcc_lo, -1, 0
	s_cmp_eq_f32 s26, s11
	s_wait_alu 0xfffe
	s_trunc_f32 s33, s31
	v_cndmask_b32_e32 v1, 0x7f800000, v1, vcc_lo
	s_cselect_b32 s36, -1, 0
	s_wait_alu 0xfffe
	s_cmp_neq_f32 s33, s31
	s_delay_alu instid0(VALU_DEP_1)
	v_fma_f32 v2, s25, v1, v1
	v_cmp_class_f32_e64 vcc_lo, v1, 0x204
	s_cselect_b32 s27, -1, 0
	s_wait_alu 0xfffe
	s_and_b32 s25, s36, s27
	s_wait_alu 0xfffd
	v_cndmask_b32_e32 v1, v2, v1, vcc_lo
	s_wait_alu 0xfffe
	s_and_b32 s27, s25, exec_lo
	s_cselect_b32 s27, s10, 1.0
	s_cmp_eq_f32 s26, s11
	v_cmp_class_f32_e64 s26, s10, 0x204
	s_wait_alu 0xfffe
	v_bfi_b32 v1, 0x7fffffff, v1, s27
	s_cselect_b32 vcc_lo, -1, 0
	s_cmp_lt_f32 s10, 0
	s_wait_alu 0xfffe
	s_delay_alu instid0(VALU_DEP_1) | instskip(SKIP_3) | instid1(VALU_DEP_1)
	v_cndmask_b32_e32 v2, 0x7fc00000, v1, vcc_lo
	s_cselect_b32 vcc_lo, -1, 0
	s_cmp_eq_f32 s10, 0
	s_wait_alu 0xfffe
	v_cndmask_b32_e32 v1, v1, v2, vcc_lo
	s_cselect_b32 s27, -1, 0
	s_wait_alu 0xfffe
	s_or_b32 vcc_lo, s27, s26
	s_cmp_lt_f32 s11, 0
	s_cselect_b32 s11, -1, 0
	s_wait_alu 0xfffe
	s_xor_b32 s11, s11, s27
	s_wait_alu 0xfffe
	s_and_b32 s11, s11, exec_lo
	s_cselect_b32 s11, 0, 0x7f800000
	s_and_b32 s25, s25, exec_lo
	s_cselect_b32 s25, s10, 0
	s_cmp_o_f32 s10, s10
	s_wait_alu 0xfffe
	v_mov_b32_e32 v2, s25
	s_delay_alu instid0(VALU_DEP_1) | instskip(NEXT) | instid1(VALU_DEP_1)
	v_bfi_b32 v2, 0x7fffffff, s11, v2
	v_cndmask_b32_e32 v1, v1, v2, vcc_lo
	s_cselect_b32 vcc_lo, -1, 0
	s_wait_alu 0xfffe
	s_delay_alu instid0(VALU_DEP_1)
	v_cndmask_b32_e32 v42, 0x7fc00000, v1, vcc_lo
.LBB90_4:
	v_bfe_u32 v40, v0, 10, 10
	s_load_b96 s[44:46], s[0:1], 0x70
	v_and_b32_e32 v17, 0x3ff, v0
	s_ashr_i32 s31, s30, 31
	s_delay_alu instid0(VALU_DEP_2) | instskip(SKIP_1) | instid1(VALU_DEP_3)
	v_lshl_add_u32 v16, ttmp9, 2, v40
	v_lshl_add_u32 v46, v40, 8, 0x2400
	v_lshlrev_b32_e32 v38, 3, v17
	s_delay_alu instid0(VALU_DEP_3) | instskip(NEXT) | instid1(VALU_DEP_2)
	v_mul_hi_u32 v1, s20, v16
	v_add_nc_u32_e32 v4, v46, v38
	s_delay_alu instid0(VALU_DEP_2) | instskip(SKIP_3) | instid1(VALU_DEP_1)
	v_add_nc_u32_e32 v1, v16, v1
	s_wait_kmcnt 0x0
	s_mul_i32 s10, s30, s45
	s_ashr_i32 s45, s44, 31
	v_lshrrev_b32_e32 v1, s21, v1
	s_lshr_b64 s[20:21], s[44:45], 2
	s_lshr_b32 s11, s45, 2
	s_delay_alu instid0(VALU_DEP_1) | instskip(NEXT) | instid1(VALU_DEP_1)
	v_mul_lo_u32 v1, v1, s22
	v_sub_nc_u32_e32 v45, v16, v1
	s_wait_alu 0xfffe
	s_delay_alu instid0(VALU_DEP_1)
	v_mad_co_u64_u32 v[1:2], null, s20, v45, 0
	s_mul_i32 s20, s28, s46
	s_wait_alu 0xfffe
	s_ashr_i32 s21, s20, 31
	s_wait_alu 0xfffe
	s_add_nc_u64 s[4:5], s[4:5], s[20:21]
	v_mad_co_u64_u32 v[2:3], null, s11, v45, v[2:3]
	s_ashr_i32 s11, s10, 31
	s_wait_alu 0xfffe
	s_add_nc_u64 s[4:5], s[4:5], s[10:11]
	s_ashr_i32 s10, s29, 31
	s_mov_b32 s29, 0
	s_cmp_eq_u64 s[14:15], 0
	v_lshlrev_b64_e32 v[0:1], 2, v[1:2]
	v_lshlrev_b32_e32 v2, 4, v17
	s_wait_alu 0xfffe
	s_delay_alu instid0(VALU_DEP_2) | instskip(SKIP_1) | instid1(VALU_DEP_3)
	v_add_co_u32 v0, vcc_lo, s4, v0
	s_wait_alu 0xfffd
	v_add_co_ci_u32_e64 v1, null, s5, v1, vcc_lo
	s_mul_u64 s[4:5], s[38:39], s[42:43]
	v_add_co_u32 v0, vcc_lo, v0, v2
	s_wait_alu 0xfffd
	v_add_co_ci_u32_e64 v1, null, 0, v1, vcc_lo
	global_load_b128 v[0:3], v[0:1], off
	s_wait_loadcnt 0x0
	v_fma_mixlo_f16 v1, s24, v1, 0
	v_fma_mixlo_f16 v0, s24, v0, 0
	;; [unrolled: 1-line block ×4, first 2 shown]
	s_delay_alu instid0(VALU_DEP_4) | instskip(NEXT) | instid1(VALU_DEP_4)
	v_lshlrev_b32_e32 v1, 16, v1
	v_and_b32_e32 v0, 0xffff, v0
	s_delay_alu instid0(VALU_DEP_4) | instskip(NEXT) | instid1(VALU_DEP_4)
	v_and_b32_e32 v2, 0xffff, v2
	v_lshlrev_b32_e32 v3, 16, v3
	s_delay_alu instid0(VALU_DEP_3) | instskip(NEXT) | instid1(VALU_DEP_2)
	v_or_b32_e32 v0, v1, v0
	v_or3_b32 v1, v3, v2, 0
	v_mov_b32_e32 v3, 0
	s_delay_alu instid0(VALU_DEP_3)
	v_or3_b32 v0, 0, 0, v0
	ds_store_b64 v4, v[0:1]
	s_wait_dscnt 0x0
	s_barrier_signal -1
	s_barrier_wait -1
	global_inv scope:SCOPE_SE
	s_cbranch_scc1 .LBB90_6
; %bb.5:
	s_load_b32 s2, s[0:1], 0xd0
	s_mov_b32 s21, s29
	s_wait_kmcnt 0x0
	s_mul_i32 s2, s2, s28
	s_delay_alu instid0(SALU_CYCLE_1)
	s_add_co_i32 s20, s2, ttmp9
	s_wait_alu 0xfffe
	s_lshl_b64 s[20:21], s[20:21], 2
	s_wait_alu 0xfffe
	s_add_nc_u64 s[14:15], s[14:15], s[20:21]
	s_load_b32 s2, s[14:15], 0x0
.LBB90_6:
	s_clause 0x2
	s_load_b64 s[14:15], s[0:1], 0x8c
	s_load_b128 s[24:27], s[0:1], 0x98
	s_load_b64 s[20:21], s[0:1], 0xa8
	s_mul_i32 s4, s5, s3
	s_ashr_i32 s33, s41, 1
	s_wait_alu 0xfffe
	s_sub_co_i32 s38, s38, s4
	s_xor_b32 s11, s31, s10
	s_add_co_i32 s36, s5, 1
	s_sub_co_i32 s39, s38, s3
	v_lshlrev_b32_e32 v36, 2, v17
	v_lshrrev_b32_e32 v49, 3, v17
	v_mul_u32_u24_e32 v47, 0x90, v17
	v_lshrrev_b32_e32 v43, 4, v17
	v_mbcnt_lo_u32_b32 v37, -1, 0
	v_and_b32_e32 v48, 28, v36
	v_and_b32_e32 v44, 60, v36
	s_wait_kmcnt 0x0
	s_ashr_i32 s4, s14, 2
	s_ashr_i32 s10, s26, 2
	s_cmp_ge_u32 s38, s3
	s_mul_u64 s[24:25], s[24:25], s[28:29]
	s_wait_alu 0xfffe
	s_cselect_b32 s5, s36, s5
	s_cselect_b32 s14, s39, s38
	s_wait_alu 0xfffe
	s_add_co_i32 s26, s5, 1
	s_cmp_ge_u32 s14, s3
	s_mul_u64 s[20:21], s[20:21], s[28:29]
	s_wait_alu 0xfffe
	s_cselect_b32 s3, s26, s5
	s_add_nc_u64 s[6:7], s[6:7], s[24:25]
	s_xor_b32 s5, s3, s11
	s_add_nc_u64 s[24:25], s[8:9], s[20:21]
	s_wait_alu 0xfffe
	s_sub_co_i32 s5, s5, s11
	s_and_b32 s8, ttmp7, 0xffff
	s_wait_alu 0xfffe
	s_mul_i32 s14, s5, s15
	s_mul_i32 s26, s5, s27
	s_sub_co_i32 s3, s2, 64
	s_lshl_b32 s20, s8, 6
	s_ashr_i32 s15, s14, 31
	s_wait_alu 0xfffe
	s_ashr_i32 s27, s26, 31
	s_cmp_ge_i32 s20, s3
	s_add_nc_u64 s[6:7], s[6:7], s[14:15]
	s_wait_alu 0xfffe
	s_add_nc_u64 s[14:15], s[24:25], s[26:27]
	s_cbranch_scc1 .LBB90_23
; %bb.7:
	v_lshl_add_u32 v1, v40, 2, v49
	v_lshl_add_u32 v5, v40, 1, v43
	s_ashr_i32 s5, s4, 31
	s_lshl_b32 s11, s4, 4
	s_cmp_lg_u64 s[34:35], 0
	v_mul_lo_u32 v0, s4, v1
	v_mul_lo_u32 v2, s10, v5
	s_cselect_b32 s9, -1, 0
	s_lshl_b32 s21, s10, 3
	v_dual_mov_b32 v39, 0 :: v_dual_lshlrev_b32 v6, 2, v44
	v_dual_mov_b32 v64, 0xfeffffff :: v_dual_lshlrev_b32 v3, 2, v48
	s_wait_alu 0xfffe
	s_delay_alu instid0(VALU_DEP_4) | instskip(NEXT) | instid1(VALU_DEP_4)
	v_dual_mov_b32 v41, 0 :: v_dual_add_nc_u32 v4, s11, v0
	v_add_nc_u32_e32 v8, s21, v2
	v_lshl_or_b32 v52, v5, 8, v6
	v_mad_u32_u24 v51, 0x90, v1, v3
	s_delay_alu instid0(VALU_DEP_4) | instskip(NEXT) | instid1(VALU_DEP_4)
	v_dual_mov_b32 v63, 0 :: v_dual_add_nc_u32 v6, s11, v4
	v_add_nc_u32_e32 v12, s21, v8
	v_ashrrev_i32_e32 v1, 31, v0
	v_ashrrev_i32_e32 v5, 31, v4
	s_delay_alu instid0(VALU_DEP_4)
	v_add_nc_u32_e32 v10, s11, v6
	v_ashrrev_i32_e32 v7, 31, v6
	v_add_nc_u32_e32 v14, s21, v12
	v_ashrrev_i32_e32 v3, 31, v2
	v_ashrrev_i32_e32 v9, 31, v8
	;; [unrolled: 1-line block ×5, first 2 shown]
	v_lshl_add_u32 v50, v40, 7, 0x2800
	v_mad_co_u64_u32 v[19:20], null, v45, s33, v[17:18]
	v_lshlrev_b64_e32 v[20:21], 2, v[0:1]
	v_lshlrev_b64_e32 v[22:23], 2, v[4:5]
	;; [unrolled: 1-line block ×8, first 2 shown]
	v_add_nc_u32_e32 v53, 0x900, v51
	v_add_nc_u32_e32 v54, 0x1200, v51
	;; [unrolled: 1-line block ×3, first 2 shown]
	v_lshl_add_u32 v56, v17, 1, v50
	v_add_nc_u32_e32 v57, 0x800, v52
	v_add_nc_u32_e32 v58, 0x1000, v52
	;; [unrolled: 1-line block ×3, first 2 shown]
	v_lshlrev_b32_e32 v60, 2, v48
	v_lshlrev_b32_e32 v61, 2, v44
	v_mbcnt_lo_u32_b32 v62, -1, 0
	s_ashr_i32 s11, s10, 31
	s_add_nc_u64 s[24:25], s[0:1], 0xd0
	s_mov_b32 s26, 0xbbbac73d
.LBB90_8:                               ; =>This Inner Loop Header: Depth=1
	s_ashr_i32 s21, s20, 31
	v_dual_mov_b32 v18, 0 :: v_dual_mov_b32 v65, 0
	s_wait_alu 0xfffe
	s_mul_u64 s[38:39], s[20:21], s[4:5]
	s_wait_alu 0xfffe
	s_lshl_b64 s[38:39], s[38:39], 2
	s_wait_alu 0xfffe
	s_add_nc_u64 s[38:39], s[6:7], s[38:39]
	s_wait_alu 0xfffe
	v_add_co_u32 v0, vcc_lo, s38, v20
	s_wait_alu 0xfffd
	v_add_co_ci_u32_e64 v1, null, s39, v21, vcc_lo
	v_add_co_u32 v2, vcc_lo, s38, v22
	s_wait_alu 0xfffd
	v_add_co_ci_u32_e64 v3, null, s39, v23, vcc_lo
	;; [unrolled: 3-line block ×8, first 2 shown]
	s_clause 0x3
	global_load_b128 v[0:3], v[66:67], off
	global_load_b128 v[4:7], v[68:69], off
	;; [unrolled: 1-line block ×4, first 2 shown]
	s_wait_loadcnt 0x3
	ds_store_b128 v51, v[0:3]
	s_wait_loadcnt 0x2
	ds_store_b128 v53, v[4:7]
	s_wait_loadcnt 0x1
	ds_store_b128 v54, v[8:11]
	s_wait_loadcnt 0x0
	ds_store_b128 v55, v[12:15]
	s_wait_dscnt 0x0
	s_barrier_signal -1
	s_barrier_wait -1
	global_inv scope:SCOPE_SE
	ds_load_b128 v[0:3], v47
	ds_load_b128 v[4:7], v46
	ds_load_b128 v[8:11], v47 offset:4608
	s_wait_dscnt 0x1
	;;#ASMSTART
	v_dot2_f32_f16 v18, v0, v4, v18
	;;#ASMEND
	;;#ASMSTART
	v_dot2_f32_f16 v18, v1, v5, v18
	;;#ASMEND
	;;#ASMSTART
	v_dot2_f32_f16 v18, v2, v6, v18
	;;#ASMEND
	;;#ASMSTART
	v_dot2_f32_f16 v18, v3, v7, v18
	;;#ASMEND
	s_wait_dscnt 0x0
	;;#ASMSTART
	v_dot2_f32_f16 v65, v8, v4, v65
	;;#ASMEND
	;;#ASMSTART
	v_dot2_f32_f16 v65, v9, v5, v65
	;;#ASMEND
	;;#ASMSTART
	v_dot2_f32_f16 v65, v10, v6, v65
	;;#ASMEND
	;;#ASMSTART
	v_dot2_f32_f16 v65, v11, v7, v65
	;;#ASMEND
	ds_load_b128 v[0:3], v47 offset:16
	ds_load_b128 v[4:7], v46 offset:16
	ds_load_b128 v[8:11], v47 offset:4624
	s_wait_dscnt 0x1
	;;#ASMSTART
	v_dot2_f32_f16 v18, v0, v4, v18
	;;#ASMEND
	;;#ASMSTART
	v_dot2_f32_f16 v18, v1, v5, v18
	;;#ASMEND
	;;#ASMSTART
	v_dot2_f32_f16 v18, v2, v6, v18
	;;#ASMEND
	;;#ASMSTART
	v_dot2_f32_f16 v18, v3, v7, v18
	;;#ASMEND
	s_wait_dscnt 0x0
	;;#ASMSTART
	v_dot2_f32_f16 v65, v8, v4, v65
	;;#ASMEND
	;;#ASMSTART
	v_dot2_f32_f16 v65, v9, v5, v65
	;;#ASMEND
	;;#ASMSTART
	v_dot2_f32_f16 v65, v10, v6, v65
	;;#ASMEND
	;;#ASMSTART
	v_dot2_f32_f16 v65, v11, v7, v65
	;;#ASMEND
	ds_load_b128 v[0:3], v47 offset:32
	ds_load_b128 v[4:7], v46 offset:32
	;; [unrolled: 29-line block ×7, first 2 shown]
	ds_load_b128 v[8:11], v47 offset:4720
	s_wait_dscnt 0x1
	;;#ASMSTART
	v_dot2_f32_f16 v18, v0, v4, v18
	;;#ASMEND
	;;#ASMSTART
	v_dot2_f32_f16 v18, v1, v5, v18
	;;#ASMEND
	;; [unrolled: 3-line block ×4, first 2 shown]
	s_wait_dscnt 0x0
	;;#ASMSTART
	v_dot2_f32_f16 v65, v8, v4, v65
	;;#ASMEND
	;;#ASMSTART
	v_dot2_f32_f16 v65, v9, v5, v65
	;;#ASMEND
	;; [unrolled: 3-line block ×4, first 2 shown]
	s_wait_loadcnt 0x0
	s_barrier_signal -1
	s_barrier_wait -1
	global_inv scope:SCOPE_SE
	s_clause 0x3
	global_load_b128 v[0:3], v[66:67], off offset:128
	global_load_b128 v[4:7], v[68:69], off offset:128
	;; [unrolled: 1-line block ×4, first 2 shown]
                                        ; implicit-def: $vgpr68
	s_wait_loadcnt 0x3
	ds_store_b128 v51, v[0:3]
	s_wait_loadcnt 0x2
	ds_store_b128 v53, v[4:7]
	;; [unrolled: 2-line block ×4, first 2 shown]
	s_wait_dscnt 0x0
	s_barrier_signal -1
	s_barrier_wait -1
	global_inv scope:SCOPE_SE
	ds_load_b128 v[0:3], v47
	ds_load_b128 v[4:7], v46 offset:128
	ds_load_b128 v[8:11], v47 offset:4608
	s_wait_dscnt 0x1
	;;#ASMSTART
	v_dot2_f32_f16 v18, v0, v4, v18
	;;#ASMEND
	;;#ASMSTART
	v_dot2_f32_f16 v18, v1, v5, v18
	;;#ASMEND
	;;#ASMSTART
	v_dot2_f32_f16 v18, v2, v6, v18
	;;#ASMEND
	;;#ASMSTART
	v_dot2_f32_f16 v18, v3, v7, v18
	;;#ASMEND
	s_wait_dscnt 0x0
	;;#ASMSTART
	v_dot2_f32_f16 v65, v8, v4, v65
	;;#ASMEND
	;;#ASMSTART
	v_dot2_f32_f16 v65, v9, v5, v65
	;;#ASMEND
	;;#ASMSTART
	v_dot2_f32_f16 v65, v10, v6, v65
	;;#ASMEND
	;;#ASMSTART
	v_dot2_f32_f16 v65, v11, v7, v65
	;;#ASMEND
	ds_load_b128 v[0:3], v47 offset:16
	ds_load_b128 v[4:7], v46 offset:144
	ds_load_b128 v[8:11], v47 offset:4624
	s_wait_dscnt 0x1
	;;#ASMSTART
	v_dot2_f32_f16 v18, v0, v4, v18
	;;#ASMEND
	;;#ASMSTART
	v_dot2_f32_f16 v18, v1, v5, v18
	;;#ASMEND
	;;#ASMSTART
	v_dot2_f32_f16 v18, v2, v6, v18
	;;#ASMEND
	;;#ASMSTART
	v_dot2_f32_f16 v18, v3, v7, v18
	;;#ASMEND
	s_wait_dscnt 0x0
	;;#ASMSTART
	v_dot2_f32_f16 v65, v8, v4, v65
	;;#ASMEND
	;;#ASMSTART
	v_dot2_f32_f16 v65, v9, v5, v65
	;;#ASMEND
	;;#ASMSTART
	v_dot2_f32_f16 v65, v10, v6, v65
	;;#ASMEND
	;;#ASMSTART
	v_dot2_f32_f16 v65, v11, v7, v65
	;;#ASMEND
	ds_load_b128 v[0:3], v47 offset:32
	ds_load_b128 v[4:7], v46 offset:160
	ds_load_b128 v[8:11], v47 offset:4640
	s_wait_dscnt 0x1
	;;#ASMSTART
	v_dot2_f32_f16 v18, v0, v4, v18
	;;#ASMEND
	;;#ASMSTART
	v_dot2_f32_f16 v18, v1, v5, v18
	;;#ASMEND
	;;#ASMSTART
	v_dot2_f32_f16 v18, v2, v6, v18
	;;#ASMEND
	;;#ASMSTART
	v_dot2_f32_f16 v18, v3, v7, v18
	;;#ASMEND
	s_wait_dscnt 0x0
	;;#ASMSTART
	v_dot2_f32_f16 v65, v8, v4, v65
	;;#ASMEND
	;;#ASMSTART
	v_dot2_f32_f16 v65, v9, v5, v65
	;;#ASMEND
	;;#ASMSTART
	v_dot2_f32_f16 v65, v10, v6, v65
	;;#ASMEND
	;;#ASMSTART
	v_dot2_f32_f16 v65, v11, v7, v65
	;;#ASMEND
	ds_load_b128 v[0:3], v47 offset:48
	ds_load_b128 v[4:7], v46 offset:176
	ds_load_b128 v[8:11], v47 offset:4656
	s_wait_dscnt 0x1
	;;#ASMSTART
	v_dot2_f32_f16 v18, v0, v4, v18
	;;#ASMEND
	;;#ASMSTART
	v_dot2_f32_f16 v18, v1, v5, v18
	;;#ASMEND
	;;#ASMSTART
	v_dot2_f32_f16 v18, v2, v6, v18
	;;#ASMEND
	;;#ASMSTART
	v_dot2_f32_f16 v18, v3, v7, v18
	;;#ASMEND
	s_wait_dscnt 0x0
	;;#ASMSTART
	v_dot2_f32_f16 v65, v8, v4, v65
	;;#ASMEND
	;;#ASMSTART
	v_dot2_f32_f16 v65, v9, v5, v65
	;;#ASMEND
	;;#ASMSTART
	v_dot2_f32_f16 v65, v10, v6, v65
	;;#ASMEND
	;;#ASMSTART
	v_dot2_f32_f16 v65, v11, v7, v65
	;;#ASMEND
	ds_load_b128 v[0:3], v47 offset:64
	ds_load_b128 v[4:7], v46 offset:192
	ds_load_b128 v[8:11], v47 offset:4672
	s_wait_dscnt 0x1
	;;#ASMSTART
	v_dot2_f32_f16 v18, v0, v4, v18
	;;#ASMEND
	;;#ASMSTART
	v_dot2_f32_f16 v18, v1, v5, v18
	;;#ASMEND
	;;#ASMSTART
	v_dot2_f32_f16 v18, v2, v6, v18
	;;#ASMEND
	;;#ASMSTART
	v_dot2_f32_f16 v18, v3, v7, v18
	;;#ASMEND
	s_wait_dscnt 0x0
	;;#ASMSTART
	v_dot2_f32_f16 v65, v8, v4, v65
	;;#ASMEND
	;;#ASMSTART
	v_dot2_f32_f16 v65, v9, v5, v65
	;;#ASMEND
	;;#ASMSTART
	v_dot2_f32_f16 v65, v10, v6, v65
	;;#ASMEND
	;;#ASMSTART
	v_dot2_f32_f16 v65, v11, v7, v65
	;;#ASMEND
	ds_load_b128 v[0:3], v47 offset:80
	ds_load_b128 v[4:7], v46 offset:208
	ds_load_b128 v[8:11], v47 offset:4688
	s_wait_dscnt 0x1
	;;#ASMSTART
	v_dot2_f32_f16 v18, v0, v4, v18
	;;#ASMEND
	;;#ASMSTART
	v_dot2_f32_f16 v18, v1, v5, v18
	;;#ASMEND
	;;#ASMSTART
	v_dot2_f32_f16 v18, v2, v6, v18
	;;#ASMEND
	;;#ASMSTART
	v_dot2_f32_f16 v18, v3, v7, v18
	;;#ASMEND
	s_wait_dscnt 0x0
	;;#ASMSTART
	v_dot2_f32_f16 v65, v8, v4, v65
	;;#ASMEND
	;;#ASMSTART
	v_dot2_f32_f16 v65, v9, v5, v65
	;;#ASMEND
	;;#ASMSTART
	v_dot2_f32_f16 v65, v10, v6, v65
	;;#ASMEND
	;;#ASMSTART
	v_dot2_f32_f16 v65, v11, v7, v65
	;;#ASMEND
	ds_load_b128 v[0:3], v47 offset:96
	ds_load_b128 v[4:7], v46 offset:224
	ds_load_b128 v[8:11], v47 offset:4704
	s_wait_dscnt 0x1
	;;#ASMSTART
	v_dot2_f32_f16 v18, v0, v4, v18
	;;#ASMEND
	;;#ASMSTART
	v_dot2_f32_f16 v18, v1, v5, v18
	;;#ASMEND
	;;#ASMSTART
	v_dot2_f32_f16 v18, v2, v6, v18
	;;#ASMEND
	;;#ASMSTART
	v_dot2_f32_f16 v18, v3, v7, v18
	;;#ASMEND
	s_wait_dscnt 0x0
	;;#ASMSTART
	v_dot2_f32_f16 v65, v8, v4, v65
	;;#ASMEND
	;;#ASMSTART
	v_dot2_f32_f16 v65, v9, v5, v65
	;;#ASMEND
	;;#ASMSTART
	v_dot2_f32_f16 v65, v10, v6, v65
	;;#ASMEND
	;;#ASMSTART
	v_dot2_f32_f16 v65, v11, v7, v65
	;;#ASMEND
	ds_load_b128 v[0:3], v47 offset:112
	ds_load_b128 v[4:7], v46 offset:240
	ds_load_b128 v[8:11], v47 offset:4720
	s_wait_dscnt 0x1
	;;#ASMSTART
	v_dot2_f32_f16 v18, v0, v4, v18
	;;#ASMEND
	;;#ASMSTART
	v_dot2_f32_f16 v18, v1, v5, v18
	;;#ASMEND
	;; [unrolled: 3-line block ×4, first 2 shown]
	v_cmp_ngt_f32_e64 s27, 0x3f200000, |v18|
	s_wait_dscnt 0x0
	;;#ASMSTART
	v_dot2_f32_f16 v65, v8, v4, v65
	;;#ASMEND
	;;#ASMSTART
	v_dot2_f32_f16 v65, v9, v5, v65
	;;#ASMEND
	;; [unrolled: 3-line block ×4, first 2 shown]
	s_and_saveexec_b32 s29, s27
	s_delay_alu instid0(SALU_CYCLE_1)
	s_xor_b32 s27, exec_lo, s29
	s_cbranch_execz .LBB90_10
; %bb.9:                                ;   in Loop: Header=BB90_8 Depth=1
	v_add_f32_e64 v0, |v18|, |v18|
	s_delay_alu instid0(VALU_DEP_1) | instskip(SKIP_1) | instid1(VALU_DEP_2)
	v_mul_f32_e32 v1, 0x3fb8aa3b, v0
	v_cmp_ngt_f32_e32 vcc_lo, 0xc2ce8ed0, v0
	v_rndne_f32_e32 v2, v1
	v_fma_f32 v3, 0x3fb8aa3b, v0, -v1
	s_delay_alu instid0(VALU_DEP_2) | instskip(NEXT) | instid1(VALU_DEP_2)
	v_sub_f32_e32 v1, v1, v2
	v_fmac_f32_e32 v3, 0x32a5705f, v0
	v_cvt_i32_f32_e32 v2, v2
	s_delay_alu instid0(VALU_DEP_2) | instskip(NEXT) | instid1(VALU_DEP_1)
	v_add_f32_e32 v1, v1, v3
	v_exp_f32_e32 v1, v1
	s_delay_alu instid0(TRANS32_DEP_1) | instskip(SKIP_1) | instid1(VALU_DEP_1)
	v_ldexp_f32 v1, v1, v2
	s_wait_alu 0xfffd
	v_cndmask_b32_e32 v1, 0, v1, vcc_lo
	v_cmp_nlt_f32_e32 vcc_lo, 0x42b17218, v0
	s_wait_alu 0xfffd
	s_delay_alu instid0(VALU_DEP_2) | instskip(NEXT) | instid1(VALU_DEP_1)
	v_cndmask_b32_e32 v0, 0x7f800000, v1, vcc_lo
	v_add_f32_e32 v0, 1.0, v0
	s_delay_alu instid0(VALU_DEP_1) | instskip(NEXT) | instid1(TRANS32_DEP_1)
	v_rcp_f32_e32 v0, v0
	v_fma_f32 v68, v0, -2.0, 1.0
.LBB90_10:                              ;   in Loop: Header=BB90_8 Depth=1
	s_wait_alu 0xfffe
	s_and_not1_saveexec_b32 s27, s27
	s_cbranch_execz .LBB90_12
; %bb.11:                               ;   in Loop: Header=BB90_8 Depth=1
	v_mul_f32_e32 v0, v18, v18
	s_delay_alu instid0(VALU_DEP_1) | instskip(NEXT) | instid1(VALU_DEP_1)
	v_fmaak_f32 v1, s26, v0, 0x3ca908c9
	v_fmaak_f32 v1, v0, v1, 0xbd5c1c4e
	s_delay_alu instid0(VALU_DEP_1) | instskip(NEXT) | instid1(VALU_DEP_1)
	v_fmaak_f32 v1, v0, v1, 0x3e088382
	v_fmaak_f32 v1, v0, v1, 0xbeaaaa99
	s_delay_alu instid0(VALU_DEP_1) | instskip(NEXT) | instid1(VALU_DEP_1)
	v_mul_f32_e64 v1, |v18|, v1
	v_fma_f32 v68, v0, v1, |v18|
.LBB90_12:                              ;   in Loop: Header=BB90_8 Depth=1
	s_wait_alu 0xfffe
	s_or_b32 exec_lo, exec_lo, s27
	v_add_nc_u32_e32 v0, s20, v19
	s_and_not1_b32 vcc_lo, exec_lo, s9
	s_delay_alu instid0(VALU_DEP_1)
	v_ashrrev_i32_e32 v1, 31, v0
	s_wait_alu 0xfffe
	s_cbranch_vccnz .LBB90_22
; %bb.13:                               ;   in Loop: Header=BB90_8 Depth=1
	s_delay_alu instid0(VALU_DEP_1) | instskip(NEXT) | instid1(VALU_DEP_1)
	v_lshlrev_b64_e32 v[2:3], 1, v[0:1]
	v_add_co_u32 v2, vcc_lo, s34, v2
	s_wait_alu 0xfffd
	s_delay_alu instid0(VALU_DEP_2) | instskip(SKIP_3) | instid1(VALU_DEP_1)
	v_add_co_ci_u32_e64 v3, null, s35, v3, vcc_lo
	global_load_u16 v2, v[2:3], off
	s_wait_loadcnt 0x0
	v_cvt_f32_f16_e32 v2, v2
	v_mul_f32_e32 v66, v42, v2
	v_cmp_ngt_f32_e64 s27, 0x3f200000, |v65|
                                        ; implicit-def: $vgpr69
	s_and_saveexec_b32 s29, s27
	s_delay_alu instid0(SALU_CYCLE_1)
	s_xor_b32 s27, exec_lo, s29
	s_cbranch_execz .LBB90_15
.LBB90_14:                              ;   in Loop: Header=BB90_8 Depth=1
	v_add_f32_e64 v2, |v65|, |v65|
	s_delay_alu instid0(VALU_DEP_1) | instskip(SKIP_1) | instid1(VALU_DEP_2)
	v_mul_f32_e32 v3, 0x3fb8aa3b, v2
	v_cmp_ngt_f32_e32 vcc_lo, 0xc2ce8ed0, v2
	v_rndne_f32_e32 v4, v3
	v_fma_f32 v5, 0x3fb8aa3b, v2, -v3
	s_delay_alu instid0(VALU_DEP_2) | instskip(NEXT) | instid1(VALU_DEP_2)
	v_sub_f32_e32 v3, v3, v4
	v_fmac_f32_e32 v5, 0x32a5705f, v2
	v_cvt_i32_f32_e32 v4, v4
	s_delay_alu instid0(VALU_DEP_2) | instskip(NEXT) | instid1(VALU_DEP_1)
	v_add_f32_e32 v3, v3, v5
	v_exp_f32_e32 v3, v3
	s_delay_alu instid0(TRANS32_DEP_1) | instskip(SKIP_1) | instid1(VALU_DEP_1)
	v_ldexp_f32 v3, v3, v4
	s_wait_alu 0xfffd
	v_cndmask_b32_e32 v3, 0, v3, vcc_lo
	v_cmp_nlt_f32_e32 vcc_lo, 0x42b17218, v2
	s_wait_alu 0xfffd
	s_delay_alu instid0(VALU_DEP_2) | instskip(NEXT) | instid1(VALU_DEP_1)
	v_cndmask_b32_e32 v2, 0x7f800000, v3, vcc_lo
	v_add_f32_e32 v2, 1.0, v2
	s_delay_alu instid0(VALU_DEP_1) | instskip(NEXT) | instid1(TRANS32_DEP_1)
	v_rcp_f32_e32 v2, v2
	v_fma_f32 v69, v2, -2.0, 1.0
.LBB90_15:                              ;   in Loop: Header=BB90_8 Depth=1
	s_wait_alu 0xfffe
	s_and_not1_saveexec_b32 s27, s27
	s_cbranch_execz .LBB90_18
; %bb.16:                               ;   in Loop: Header=BB90_8 Depth=1
	v_mul_f32_e32 v2, v65, v65
	s_delay_alu instid0(VALU_DEP_1) | instskip(NEXT) | instid1(VALU_DEP_1)
	v_fmaak_f32 v3, s26, v2, 0x3ca908c9
	v_fmaak_f32 v3, v2, v3, 0xbd5c1c4e
	s_delay_alu instid0(VALU_DEP_1) | instskip(NEXT) | instid1(VALU_DEP_1)
	v_fmaak_f32 v3, v2, v3, 0x3e088382
	v_fmaak_f32 v3, v2, v3, 0xbeaaaa99
	s_delay_alu instid0(VALU_DEP_1) | instskip(NEXT) | instid1(VALU_DEP_1)
	v_mul_f32_e64 v3, |v65|, v3
	v_fma_f32 v69, v2, v3, |v65|
	s_wait_alu 0xfffe
	s_or_b32 exec_lo, exec_lo, s27
	s_delay_alu instid0(SALU_CYCLE_1)
	s_and_not1_b32 vcc_lo, exec_lo, s9
	s_wait_alu 0xfffe
	s_cbranch_vccz .LBB90_19
.LBB90_17:                              ;   in Loop: Header=BB90_8 Depth=1
	v_mov_b32_e32 v67, 0
	s_branch .LBB90_20
.LBB90_18:                              ;   in Loop: Header=BB90_8 Depth=1
	s_wait_alu 0xfffe
	s_or_b32 exec_lo, exec_lo, s27
	s_delay_alu instid0(SALU_CYCLE_1)
	s_and_not1_b32 vcc_lo, exec_lo, s9
	s_wait_alu 0xfffe
	s_cbranch_vccnz .LBB90_17
.LBB90_19:                              ;   in Loop: Header=BB90_8 Depth=1
	v_lshlrev_b64_e32 v[0:1], 1, v[0:1]
	s_delay_alu instid0(VALU_DEP_1) | instskip(SKIP_1) | instid1(VALU_DEP_2)
	v_add_co_u32 v0, vcc_lo, s34, v0
	s_wait_alu 0xfffd
	v_add_co_ci_u32_e64 v1, null, s35, v1, vcc_lo
	global_load_u16 v0, v[0:1], off offset:64
	s_wait_loadcnt 0x0
	v_cvt_f32_f16_e32 v0, v0
	s_delay_alu instid0(VALU_DEP_1)
	v_mul_f32_e32 v67, v42, v0
.LBB90_20:                              ;   in Loop: Header=BB90_8 Depth=1
	s_mul_u64 s[38:39], s[20:21], s[10:11]
	s_wait_loadcnt 0x0
	s_wait_alu 0xfffe
	s_lshl_b64 s[38:39], s[38:39], 2
	s_barrier_signal -1
	s_wait_alu 0xfffe
	s_add_nc_u64 s[38:39], s[14:15], s[38:39]
	s_barrier_wait -1
	s_wait_alu 0xfffe
	v_add_co_u32 v0, vcc_lo, s38, v28
	s_wait_alu 0xfffd
	v_add_co_ci_u32_e64 v1, null, s39, v29, vcc_lo
	v_add_co_u32 v2, vcc_lo, s38, v30
	s_wait_alu 0xfffd
	v_add_co_ci_u32_e64 v3, null, s39, v31, vcc_lo
	;; [unrolled: 3-line block ×8, first 2 shown]
	global_inv scope:SCOPE_SE
	s_clause 0x3
	global_load_b128 v[0:3], v[0:1], off
	global_load_b128 v[4:7], v[4:5], off
	;; [unrolled: 1-line block ×4, first 2 shown]
	v_bfi_b32 v18, 0x7fffffff, v68, v18
	v_bfi_b32 v65, 0x7fffffff, v69, v65
	v_xor_b32_e32 v68, 16, v62
	s_or_b32 s38, s20, 32
	v_add_nc_u32_e32 v69, 0x800, v38
	s_delay_alu instid0(VALU_DEP_3) | instskip(NEXT) | instid1(VALU_DEP_3)
	v_dual_fmac_f32 v66, s37, v18 :: v_dual_fmac_f32 v67, s37, v65
	v_cmp_gt_i32_e32 vcc_lo, 32, v68
	s_wait_alu 0xfffe
	s_ashr_i32 s39, s38, 31
	s_delay_alu instid0(VALU_DEP_2)
	v_add_f32_e32 v65, 0x40051340, v66
	s_wait_alu 0xfffe
	s_mul_u64 s[38:39], s[38:39], s[10:11]
	s_wait_alu 0xfffd
	v_cndmask_b32_e32 v18, v62, v68, vcc_lo
	v_add_f32_e32 v68, 0x40051340, v67
	s_wait_alu 0xfffe
	s_lshl_b64 s[38:39], s[38:39], 2
	s_wait_alu 0xfffe
	s_add_nc_u64 s[38:39], s[14:15], s[38:39]
	v_lshlrev_b32_e32 v18, 2, v18
	v_max3_num_f32 v65, v64, v65, v68
	v_xor_b32_e32 v68, 8, v62
	ds_bpermute_b32 v18, v18, v65
	v_cmp_gt_i32_e32 vcc_lo, 32, v68
	s_wait_alu 0xfffd
	v_cndmask_b32_e32 v68, v62, v68, vcc_lo
	s_delay_alu instid0(VALU_DEP_1) | instskip(SKIP_2) | instid1(VALU_DEP_1)
	v_lshlrev_b32_e32 v68, 2, v68
	s_wait_dscnt 0x0
	v_max_num_f32_e32 v18, v18, v18
	v_max_num_f32_e32 v18, v65, v18
	ds_bpermute_b32 v65, v68, v18
	v_xor_b32_e32 v68, 4, v62
	s_delay_alu instid0(VALU_DEP_1) | instskip(SKIP_3) | instid1(VALU_DEP_1)
	v_cmp_gt_i32_e32 vcc_lo, 32, v68
	s_wait_alu 0xfffd
	v_cndmask_b32_e32 v68, v62, v68, vcc_lo
	s_wait_dscnt 0x0
	v_dual_max_num_f32 v65, v65, v65 :: v_dual_lshlrev_b32 v68, 2, v68
	s_delay_alu instid0(VALU_DEP_1) | instskip(SKIP_2) | instid1(VALU_DEP_1)
	v_max_num_f32_e32 v18, v18, v65
	ds_bpermute_b32 v65, v68, v18
	v_xor_b32_e32 v68, 2, v62
	v_cmp_gt_i32_e32 vcc_lo, 32, v68
	s_wait_alu 0xfffd
	v_cndmask_b32_e32 v68, v62, v68, vcc_lo
	s_wait_dscnt 0x0
	s_delay_alu instid0(VALU_DEP_1) | instskip(NEXT) | instid1(VALU_DEP_1)
	v_dual_max_num_f32 v65, v65, v65 :: v_dual_lshlrev_b32 v68, 2, v68
	v_max_num_f32_e32 v18, v18, v65
	ds_bpermute_b32 v65, v68, v18
	v_xor_b32_e32 v68, 1, v62
	s_delay_alu instid0(VALU_DEP_1)
	v_cmp_gt_i32_e32 vcc_lo, 32, v68
	s_wait_alu 0xfffd
	v_cndmask_b32_e32 v68, v62, v68, vcc_lo
	s_wait_alu 0xfffe
	v_add_co_u32 v76, vcc_lo, s38, v28
	s_wait_alu 0xfffd
	v_add_co_ci_u32_e64 v77, null, s39, v29, vcc_lo
	s_wait_dscnt 0x0
	v_dual_max_num_f32 v65, v65, v65 :: v_dual_lshlrev_b32 v68, 2, v68
	s_delay_alu instid0(VALU_DEP_1) | instskip(SKIP_3) | instid1(VALU_DEP_1)
	v_max_num_f32_e32 v18, v18, v65
	ds_bpermute_b32 v65, v68, v18
	s_wait_dscnt 0x0
	v_max_num_f32_e32 v65, v65, v65
	v_dual_max_num_f32 v18, v18, v65 :: v_dual_add_nc_u32 v65, 0x1800, v38
	s_delay_alu instid0(VALU_DEP_1) | instskip(NEXT) | instid1(VALU_DEP_1)
	v_sub_f32_e32 v68, v66, v18
	v_dual_sub_f32 v70, v67, v18 :: v_dual_mul_f32 v67, 0x3fb8aa3b, v68
	s_delay_alu instid0(VALU_DEP_1) | instskip(NEXT) | instid1(VALU_DEP_2)
	v_mul_f32_e32 v71, 0x3fb8aa3b, v70
	v_fma_f32 v72, 0x3fb8aa3b, v68, -v67
	v_rndne_f32_e32 v73, v67
	s_delay_alu instid0(VALU_DEP_3) | instskip(SKIP_1) | instid1(VALU_DEP_3)
	v_fma_f32 v74, 0x3fb8aa3b, v70, -v71
	v_rndne_f32_e32 v75, v71
	v_dual_fmac_f32 v72, 0x32a5705f, v68 :: v_dual_sub_f32 v67, v67, v73
	s_delay_alu instid0(VALU_DEP_2) | instskip(SKIP_2) | instid1(VALU_DEP_4)
	v_dual_fmac_f32 v74, 0x32a5705f, v70 :: v_dual_sub_f32 v71, v71, v75
	v_cvt_i32_f32_e32 v73, v73
	v_cvt_i32_f32_e32 v75, v75
	v_add_f32_e32 v67, v67, v72
	v_add_co_u32 v72, vcc_lo, s38, v30
	v_add_f32_e32 v71, v71, v74
	s_wait_alu 0xfffd
	v_add_co_ci_u32_e64 v74, null, s39, v31, vcc_lo
	v_exp_f32_e32 v67, v67
	v_add_co_u32 v78, vcc_lo, s38, v32
	v_exp_f32_e32 v71, v71
	s_wait_alu 0xfffd
	v_add_co_ci_u32_e64 v79, null, s39, v33, vcc_lo
	v_add_co_u32 v80, vcc_lo, s38, v34
	s_wait_alu 0xfffd
	v_add_co_ci_u32_e64 v81, null, s39, v35, vcc_lo
	v_add_co_u32 v138, vcc_lo, v76, v61
	s_delay_alu instid0(TRANS32_DEP_2)
	v_ldexp_f32 v67, v67, v73
	s_wait_alu 0xfffd
	v_add_co_ci_u32_e64 v139, null, 0, v77, vcc_lo
	v_cmp_ngt_f32_e32 vcc_lo, 0xc2ce8ed0, v68
	v_ldexp_f32 v71, v71, v75
	s_wait_alu 0xfffd
	v_cndmask_b32_e32 v67, 0, v67, vcc_lo
	v_cmp_ngt_f32_e32 vcc_lo, 0xc2ce8ed0, v70
	s_wait_alu 0xfffd
	v_cndmask_b32_e32 v71, 0, v71, vcc_lo
	v_add_co_u32 v142, vcc_lo, v72, v61
	s_wait_alu 0xfffd
	v_add_co_ci_u32_e64 v143, null, 0, v74, vcc_lo
	v_cmp_nlt_f32_e32 vcc_lo, 0x42b17218, v68
	s_wait_alu 0xfffd
	v_cndmask_b32_e32 v67, 0x7f800000, v67, vcc_lo
	v_cmp_nlt_f32_e32 vcc_lo, 0x42b17218, v70
	s_delay_alu instid0(VALU_DEP_2)
	v_cvt_f16_f32_e32 v70, v67
	s_wait_alu 0xfffd
	v_cndmask_b32_e32 v68, 0x7f800000, v71, vcc_lo
	v_add_co_u32 v146, vcc_lo, v78, v61
	s_wait_alu 0xfffd
	v_add_co_ci_u32_e64 v147, null, 0, v79, vcc_lo
	s_delay_alu instid0(VALU_DEP_3)
	v_cvt_f16_f32_e32 v71, v68
	v_add_co_u32 v150, vcc_lo, v80, v61
	s_wait_alu 0xfffd
	v_add_co_ci_u32_e64 v151, null, 0, v81, vcc_lo
	v_add_nc_u32_e32 v66, 0x1000, v38
	ds_store_b16 v56, v70
	ds_store_b16 v56, v71 offset:64
	s_wait_loadcnt 0x3
	ds_store_b128 v52, v[0:3]
	s_wait_loadcnt 0x2
	ds_store_b128 v57, v[4:7]
	;; [unrolled: 2-line block ×4, first 2 shown]
	s_wait_dscnt 0x0
	s_barrier_signal -1
	s_barrier_wait -1
	global_inv scope:SCOPE_SE
	ds_load_2addr_b64 v[1:4], v38 offset1:32
	ds_load_b128 v[5:8], v50
	ds_load_b128 v[9:12], v50 offset:16
	ds_load_b128 v[70:73], v50 offset:32
	;; [unrolled: 1-line block ×3, first 2 shown]
	ds_load_2addr_b64 v[78:81], v38 offset0:64 offset1:96
	ds_load_2addr_b64 v[82:85], v38 offset0:128 offset1:160
	ds_load_2addr_b64 v[86:89], v38 offset0:192 offset1:224
	ds_load_2addr_b64 v[90:93], v69 offset1:32
	ds_load_2addr_b64 v[94:97], v69 offset0:64 offset1:96
	ds_load_2addr_b64 v[98:101], v69 offset0:128 offset1:160
	ds_load_2addr_b64 v[102:105], v69 offset0:192 offset1:224
	ds_load_2addr_b64 v[106:109], v66 offset1:32
	;; [unrolled: 4-line block ×3, first 2 shown]
	ds_load_2addr_b64 v[126:129], v65 offset0:64 offset1:96
	ds_load_2addr_b64 v[130:133], v65 offset0:128 offset1:160
	;; [unrolled: 1-line block ×3, first 2 shown]
	s_wait_loadcnt_dscnt 0x0
	s_barrier_signal -1
	s_barrier_wait -1
	global_inv scope:SCOPE_SE
	s_clause 0x3
	global_load_b128 v[138:141], v[138:139], off
	global_load_b128 v[142:145], v[142:143], off
	;; [unrolled: 1-line block ×4, first 2 shown]
	v_sub_f32_e32 v0, v64, v18
	s_wait_loadcnt 0x3
	ds_store_b128 v52, v[138:141]
	s_wait_loadcnt 0x2
	ds_store_b128 v57, v[142:145]
	;; [unrolled: 2-line block ×4, first 2 shown]
	v_mul_f32_e32 v13, 0x3fb8aa3b, v0
	v_cmp_ngt_f32_e32 vcc_lo, 0xc2ce8ed0, v0
	s_wait_dscnt 0x0
	s_barrier_signal -1
	s_barrier_wait -1
	v_fma_f32 v14, 0x3fb8aa3b, v0, -v13
	v_rndne_f32_e32 v15, v13
	global_inv scope:SCOPE_SE
	v_dual_fmac_f32 v14, 0x32a5705f, v0 :: v_dual_sub_f32 v13, v13, v15
	s_delay_alu instid0(VALU_DEP_1) | instskip(SKIP_3) | instid1(VALU_DEP_4)
	v_add_f32_e32 v13, v13, v14
	v_cvt_i32_f32_e32 v14, v15
	v_and_b32_e32 v15, 0xffff, v6
	v_lshrrev_b32_e32 v6, 16, v6
	v_exp_f32_e32 v13, v13
	s_delay_alu instid0(VALU_DEP_1) | instskip(NEXT) | instid1(TRANS32_DEP_1)
	v_mul_u32_u24_e32 v6, 0x10001, v6
	v_ldexp_f32 v13, v13, v14
	v_and_b32_e32 v14, 0xffff, v5
	v_lshrrev_b32_e32 v5, 16, v5
	s_wait_alu 0xfffd
	s_delay_alu instid0(VALU_DEP_3)
	v_cndmask_b32_e32 v13, 0, v13, vcc_lo
	v_cmp_nlt_f32_e32 vcc_lo, 0x42b17218, v0
	v_mul_u32_u24_e32 v14, 0x10001, v14
	v_mul_u32_u24_e32 v5, 0x10001, v5
	s_wait_alu 0xfffd
	v_cndmask_b32_e32 v0, 0x7f800000, v13, vcc_lo
	s_delay_alu instid0(VALU_DEP_3) | instskip(SKIP_2) | instid1(VALU_DEP_4)
	v_pk_mul_f16 v1, v1, v14
	v_pk_mul_f16 v2, v2, v14
	v_mul_u32_u24_e32 v14, 0x10001, v15
	v_cvt_f16_f32_e32 v13, v0
	s_delay_alu instid0(VALU_DEP_1) | instskip(NEXT) | instid1(VALU_DEP_1)
	v_and_b32_e32 v13, 0xffff, v13
	v_mul_u32_u24_e32 v13, 0x10001, v13
	s_delay_alu instid0(VALU_DEP_1) | instskip(SKIP_1) | instid1(VALU_DEP_2)
	v_pk_fma_f16 v1, v39, v13, v1
	v_pk_fma_f16 v2, v41, v13, v2
	;; [unrolled: 1-line block ×3, first 2 shown]
	s_delay_alu instid0(VALU_DEP_2)
	v_pk_fma_f16 v2, v4, v5, v2
	v_and_b32_e32 v3, 0xffff, v7
	v_lshrrev_b32_e32 v4, 16, v7
	v_and_b32_e32 v5, 0xffff, v8
	v_pk_fma_f16 v1, v78, v14, v1
	v_pk_fma_f16 v2, v79, v14, v2
	v_mul_u32_u24_e32 v3, 0x10001, v3
	v_mul_u32_u24_e32 v4, 0x10001, v4
	;; [unrolled: 1-line block ×3, first 2 shown]
	v_pk_fma_f16 v1, v80, v6, v1
	v_pk_fma_f16 v2, v81, v6, v2
	v_lshrrev_b32_e32 v6, 16, v8
	v_and_b32_e32 v7, 0xffff, v76
	v_lshrrev_b32_e32 v8, 16, v76
	v_pk_fma_f16 v1, v82, v3, v1
	v_pk_fma_f16 v2, v83, v3, v2
	v_and_b32_e32 v3, 0xffff, v9
	v_mul_u32_u24_e32 v6, 0x10001, v6
	v_lshrrev_b32_e32 v14, 16, v77
	v_pk_fma_f16 v1, v84, v4, v1
	v_pk_fma_f16 v2, v85, v4, v2
	v_lshrrev_b32_e32 v4, 16, v9
	v_mul_u32_u24_e32 v3, 0x10001, v3
	v_mul_u32_u24_e32 v9, 0x10001, v7
	v_pk_fma_f16 v1, v86, v5, v1
	v_pk_fma_f16 v2, v87, v5, v2
	v_and_b32_e32 v5, 0xffff, v10
	v_mul_u32_u24_e32 v4, 0x10001, v4
	s_delay_alu instid0(VALU_DEP_4) | instskip(NEXT) | instid1(VALU_DEP_4)
	v_pk_fma_f16 v1, v88, v6, v1
	v_pk_fma_f16 v2, v89, v6, v2
	v_lshrrev_b32_e32 v6, 16, v10
	v_mul_u32_u24_e32 v5, 0x10001, v5
	s_delay_alu instid0(VALU_DEP_4) | instskip(NEXT) | instid1(VALU_DEP_4)
	v_pk_fma_f16 v1, v90, v3, v1
	v_pk_fma_f16 v2, v91, v3, v2
	v_and_b32_e32 v3, 0xffff, v11
	v_mul_u32_u24_e32 v6, 0x10001, v6
	s_delay_alu instid0(VALU_DEP_4) | instskip(NEXT) | instid1(VALU_DEP_4)
	v_pk_fma_f16 v1, v92, v4, v1
	v_pk_fma_f16 v2, v93, v4, v2
	v_lshrrev_b32_e32 v4, 16, v11
	v_mul_u32_u24_e32 v3, 0x10001, v3
	v_mul_u32_u24_e32 v11, 0x10001, v8
	v_pk_fma_f16 v1, v94, v5, v1
	v_pk_fma_f16 v2, v95, v5, v2
	v_and_b32_e32 v5, 0xffff, v12
	v_mul_u32_u24_e32 v4, 0x10001, v4
	s_delay_alu instid0(VALU_DEP_4) | instskip(NEXT) | instid1(VALU_DEP_4)
	v_pk_fma_f16 v1, v96, v6, v1
	v_pk_fma_f16 v2, v97, v6, v2
	v_lshrrev_b32_e32 v6, 16, v12
	v_mul_u32_u24_e32 v5, 0x10001, v5
	s_delay_alu instid0(VALU_DEP_4) | instskip(NEXT) | instid1(VALU_DEP_4)
	v_pk_fma_f16 v1, v98, v3, v1
	v_pk_fma_f16 v2, v99, v3, v2
	v_and_b32_e32 v3, 0xffff, v70
	v_mul_u32_u24_e32 v6, 0x10001, v6
	s_delay_alu instid0(VALU_DEP_4) | instskip(NEXT) | instid1(VALU_DEP_4)
	v_pk_fma_f16 v1, v100, v4, v1
	v_pk_fma_f16 v2, v101, v4, v2
	v_lshrrev_b32_e32 v4, 16, v70
	v_mul_u32_u24_e32 v3, 0x10001, v3
	s_delay_alu instid0(VALU_DEP_4) | instskip(NEXT) | instid1(VALU_DEP_4)
	;; [unrolled: 10-line block ×7, first 2 shown]
	v_pk_fma_f16 v1, v122, v3, v1
	v_pk_fma_f16 v2, v123, v3, v2
	s_delay_alu instid0(VALU_DEP_4) | instskip(NEXT) | instid1(VALU_DEP_3)
	v_mul_u32_u24_e32 v6, 0x10001, v6
	v_pk_fma_f16 v1, v124, v4, v1
	s_delay_alu instid0(VALU_DEP_3) | instskip(NEXT) | instid1(VALU_DEP_2)
	v_pk_fma_f16 v7, v125, v4, v2
	v_pk_fma_f16 v10, v126, v5, v1
	ds_load_b128 v[1:4], v50 offset:64
	v_pk_fma_f16 v5, v127, v5, v7
	v_pk_fma_f16 v7, v128, v6, v10
	v_and_b32_e32 v10, 0xffff, v77
	s_delay_alu instid0(VALU_DEP_3) | instskip(NEXT) | instid1(VALU_DEP_3)
	v_pk_fma_f16 v12, v129, v6, v5
	v_pk_fma_f16 v13, v130, v9, v7
	ds_load_2addr_b64 v[5:8], v38 offset1:32
	v_pk_fma_f16 v9, v131, v9, v12
	v_mul_u32_u24_e32 v15, 0x10001, v10
	v_pk_fma_f16 v10, v132, v11, v13
	v_mul_u32_u24_e32 v13, 0x10001, v14
	s_delay_alu instid0(VALU_DEP_4) | instskip(NEXT) | instid1(VALU_DEP_3)
	v_pk_fma_f16 v14, v133, v11, v9
	v_pk_fma_f16 v39, v134, v15, v10
	s_wait_dscnt 0x1
	v_and_b32_e32 v41, 0xffff, v1
	s_delay_alu instid0(VALU_DEP_3)
	v_pk_fma_f16 v14, v135, v15, v14
	ds_load_2addr_b64 v[9:12], v38 offset0:64 offset1:96
	ds_load_b128 v[70:73], v50 offset:80
	v_lshrrev_b32_e32 v1, 16, v1
	v_pk_fma_f16 v15, v136, v13, v39
	v_mul_u32_u24_e32 v39, 0x10001, v41
	v_pk_fma_f16 v13, v137, v13, v14
	ds_load_2addr_b64 v[74:77], v38 offset0:128 offset1:160
	v_and_b32_e32 v14, 0xffff, v2
	v_mul_u32_u24_e32 v1, 0x10001, v1
	s_wait_dscnt 0x3
	v_pk_fma_f16 v5, v5, v39, v15
	v_pk_fma_f16 v6, v6, v39, v13
	v_lshrrev_b32_e32 v2, 16, v2
	v_mul_u32_u24_e32 v13, 0x10001, v14
	v_and_b32_e32 v15, 0xffff, v3
	v_pk_fma_f16 v14, v7, v1, v5
	v_pk_fma_f16 v1, v8, v1, v6
	ds_load_2addr_b64 v[5:8], v38 offset0:192 offset1:224
	v_mul_u32_u24_e32 v2, 0x10001, v2
	v_lshrrev_b32_e32 v3, 16, v3
	ds_load_2addr_b64 v[78:81], v65 offset1:32
	s_wait_dscnt 0x4
	v_pk_fma_f16 v9, v9, v13, v14
	v_pk_fma_f16 v1, v10, v13, v1
	v_mul_u32_u24_e32 v13, 0x10001, v15
	v_mul_u32_u24_e32 v3, 0x10001, v3
	s_wait_dscnt 0x3
	v_and_b32_e32 v41, 0xffff, v70
	v_pk_fma_f16 v14, v11, v2, v9
	v_pk_fma_f16 v1, v12, v2, v1
	ds_load_2addr_b64 v[9:12], v69 offset1:32
	v_and_b32_e32 v2, 0xffff, v4
	s_wait_dscnt 0x3
	v_pk_fma_f16 v14, v74, v13, v14
	v_pk_fma_f16 v1, v75, v13, v1
	v_lshrrev_b32_e32 v13, 16, v4
	v_mul_u32_u24_e32 v15, 0x10001, v2
	s_delay_alu instid0(VALU_DEP_4) | instskip(NEXT) | instid1(VALU_DEP_4)
	v_pk_fma_f16 v14, v76, v3, v14
	v_pk_fma_f16 v39, v77, v3, v1
	ds_load_2addr_b64 v[1:4], v69 offset0:64 offset1:96
	v_mul_u32_u24_e32 v13, 0x10001, v13
	ds_load_b128 v[74:77], v50 offset:96
	s_wait_dscnt 0x4
	v_pk_fma_f16 v5, v5, v15, v14
	v_pk_fma_f16 v6, v6, v15, v39
	v_lshrrev_b32_e32 v14, 16, v70
	v_mul_u32_u24_e32 v15, 0x10001, v41
	v_and_b32_e32 v41, 0xffff, v71
	v_pk_fma_f16 v39, v7, v13, v5
	v_pk_fma_f16 v13, v8, v13, v6
	ds_load_2addr_b64 v[5:8], v69 offset0:128 offset1:160
	v_mul_u32_u24_e32 v14, 0x10001, v14
	s_wait_dscnt 0x3
	v_pk_fma_f16 v9, v9, v15, v39
	v_pk_fma_f16 v10, v10, v15, v13
	v_lshrrev_b32_e32 v13, 16, v71
	v_mul_u32_u24_e32 v15, 0x10001, v41
	v_and_b32_e32 v41, 0xffff, v72
	v_pk_fma_f16 v39, v11, v14, v9
	v_pk_fma_f16 v14, v12, v14, v10
	ds_load_2addr_b64 v[9:12], v69 offset0:192 offset1:224
	v_mul_u32_u24_e32 v13, 0x10001, v13
	s_wait_dscnt 0x3
	v_pk_fma_f16 v1, v1, v15, v39
	v_pk_fma_f16 v2, v2, v15, v14
	v_lshrrev_b32_e32 v14, 16, v72
	v_mul_u32_u24_e32 v15, 0x10001, v41
	v_and_b32_e32 v41, 0xffff, v73
	v_pk_fma_f16 v39, v3, v13, v1
	v_pk_fma_f16 v13, v4, v13, v2
	ds_load_2addr_b64 v[1:4], v66 offset1:32
	v_mul_u32_u24_e32 v14, 0x10001, v14
	ds_load_2addr_b64 v[69:72], v66 offset0:64 offset1:96
	s_wait_dscnt 0x3
	v_pk_fma_f16 v5, v5, v15, v39
	v_pk_fma_f16 v6, v6, v15, v13
	v_lshrrev_b32_e32 v13, 16, v73
	v_mul_u32_u24_e32 v15, 0x10001, v41
	s_delay_alu instid0(VALU_DEP_4) | instskip(NEXT) | instid1(VALU_DEP_4)
	v_pk_fma_f16 v39, v7, v14, v5
	v_pk_fma_f16 v14, v8, v14, v6
	ds_load_b128 v[5:8], v50 offset:112
	v_and_b32_e32 v41, 0xffff, v74
	v_mul_u32_u24_e32 v13, 0x10001, v13
	s_wait_dscnt 0x3
	v_pk_fma_f16 v9, v9, v15, v39
	v_pk_fma_f16 v10, v10, v15, v14
	v_lshrrev_b32_e32 v14, 16, v74
	v_mul_u32_u24_e32 v15, 0x10001, v41
	v_and_b32_e32 v41, 0xffff, v75
	v_pk_fma_f16 v39, v11, v13, v9
	v_pk_fma_f16 v13, v12, v13, v10
	ds_load_2addr_b64 v[9:12], v66 offset0:128 offset1:160
	v_mul_u32_u24_e32 v14, 0x10001, v14
	s_wait_dscnt 0x3
	v_pk_fma_f16 v1, v1, v15, v39
	v_pk_fma_f16 v2, v2, v15, v13
	v_lshrrev_b32_e32 v13, 16, v75
	v_mul_u32_u24_e32 v15, 0x10001, v41
	v_and_b32_e32 v41, 0xffff, v76
	v_pk_fma_f16 v39, v3, v14, v1
	v_pk_fma_f16 v14, v4, v14, v2
	ds_load_2addr_b64 v[1:4], v66 offset0:192 offset1:224
	v_mul_u32_u24_e32 v13, 0x10001, v13
	v_mul_u32_u24_e32 v41, 0x10001, v41
	s_wait_dscnt 0x3
	v_pk_fma_f16 v39, v69, v15, v39
	v_pk_fma_f16 v14, v70, v15, v14
	v_lshrrev_b32_e32 v15, 16, v76
	ds_load_2addr_b64 v[73:76], v65 offset0:128 offset1:160
	v_pk_fma_f16 v39, v71, v13, v39
	v_pk_fma_f16 v13, v72, v13, v14
	v_and_b32_e32 v14, 0xffff, v77
	v_mul_u32_u24_e32 v15, 0x10001, v15
	ds_load_2addr_b64 v[69:72], v65 offset0:64 offset1:96
	s_wait_dscnt 0x3
	v_pk_fma_f16 v9, v9, v41, v39
	v_pk_fma_f16 v10, v10, v41, v13
	v_lshrrev_b32_e32 v13, 16, v77
	v_mul_u32_u24_e32 v14, 0x10001, v14
	v_and_b32_e32 v41, 0xffff, v5
	v_pk_fma_f16 v39, v11, v15, v9
	v_pk_fma_f16 v15, v12, v15, v10
	v_mul_u32_u24_e32 v13, 0x10001, v13
	v_lshrrev_b32_e32 v5, 16, v5
	ds_load_2addr_b64 v[9:12], v65 offset0:192 offset1:224
	s_wait_dscnt 0x3
	v_pk_fma_f16 v1, v1, v14, v39
	v_pk_fma_f16 v2, v2, v14, v15
	v_mul_u32_u24_e32 v14, 0x10001, v41
	s_wait_loadcnt_dscnt 0x0
	s_barrier_signal -1
	v_pk_fma_f16 v1, v3, v13, v1
	v_pk_fma_f16 v2, v4, v13, v2
	v_and_b32_e32 v3, 0xffff, v6
	v_mul_u32_u24_e32 v4, 0x10001, v5
	v_lshrrev_b32_e32 v5, 16, v6
	v_pk_fma_f16 v1, v78, v14, v1
	v_pk_fma_f16 v2, v79, v14, v2
	v_mul_u32_u24_e32 v3, 0x10001, v3
	s_barrier_wait -1
	v_mul_u32_u24_e32 v5, 0x10001, v5
	v_pk_fma_f16 v1, v80, v4, v1
	v_pk_fma_f16 v2, v81, v4, v2
	v_and_b32_e32 v4, 0xffff, v7
	global_inv scope:SCOPE_SE
	s_load_b32 s21, s[24:25], 0x4
	v_pk_fma_f16 v1, v69, v3, v1
	v_pk_fma_f16 v2, v70, v3, v2
	v_lshrrev_b32_e32 v3, 16, v7
	v_mul_u32_u24_e32 v4, 0x10001, v4
	s_delay_alu instid0(VALU_DEP_4) | instskip(NEXT) | instid1(VALU_DEP_4)
	v_pk_fma_f16 v1, v71, v5, v1
	v_pk_fma_f16 v2, v72, v5, v2
	v_and_b32_e32 v5, 0xffff, v8
	v_mul_u32_u24_e32 v3, 0x10001, v3
	s_delay_alu instid0(VALU_DEP_4) | instskip(NEXT) | instid1(VALU_DEP_4)
	v_pk_fma_f16 v1, v73, v4, v1
	v_pk_fma_f16 v2, v74, v4, v2
	v_lshrrev_b32_e32 v4, 16, v8
	v_mul_u32_u24_e32 v5, 0x10001, v5
	s_delay_alu instid0(VALU_DEP_4) | instskip(NEXT) | instid1(VALU_DEP_4)
	v_pk_fma_f16 v1, v75, v3, v1
	v_pk_fma_f16 v2, v76, v3, v2
	v_add_f32_e32 v3, v67, v68
	v_mul_u32_u24_e32 v4, 0x10001, v4
	s_wait_kmcnt 0x0
	s_lshl_b32 s21, s21, 6
	v_pk_fma_f16 v1, v9, v5, v1
	v_pk_fma_f16 v2, v10, v5, v2
	v_fmac_f32_e32 v3, v63, v0
	s_wait_alu 0xfffe
	s_add_co_i32 s20, s21, s20
	v_pk_fma_f16 v39, v11, v4, v1
	v_pk_fma_f16 v41, v12, v4, v2
	s_wait_alu 0xfffe
	s_cmp_lt_i32 s20, s3
	s_cbranch_scc0 .LBB90_24
; %bb.21:                               ;   in Loop: Header=BB90_8 Depth=1
	v_dual_mov_b32 v64, v18 :: v_dual_mov_b32 v63, v3
	s_branch .LBB90_8
.LBB90_22:                              ;   in Loop: Header=BB90_8 Depth=1
	v_mov_b32_e32 v66, 0
	v_cmp_ngt_f32_e64 s27, 0x3f200000, |v65|
                                        ; implicit-def: $vgpr69
	s_and_saveexec_b32 s29, s27
	s_delay_alu instid0(SALU_CYCLE_1)
	s_xor_b32 s27, exec_lo, s29
	s_cbranch_execz .LBB90_15
	s_branch .LBB90_14
.LBB90_23:
	v_dual_mov_b32 v41, 0 :: v_dual_mov_b32 v18, 0xfeffffff
	v_mov_b32_e32 v39, 0
.LBB90_24:
	s_cmp_gt_i32 s2, s20
	s_cbranch_scc1 .LBB90_27
; %bb.25:
	v_mbcnt_lo_u32_b32 v1, -1, 0
	v_mov_b32_e32 v0, 32
	s_delay_alu instid0(VALU_DEP_2)
	v_xor_b32_e32 v5, 16, v1
	v_xor_b32_e32 v4, 8, v1
	v_xor_b32_e32 v6, 4, v1
	v_xor_b32_e32 v7, 2, v1
	v_xor_b32_e32 v8, 1, v1
	s_cbranch_execz .LBB90_28
; %bb.26:
	v_mov_b32_e32 v37, v1
	s_branch .LBB90_47
.LBB90_27:
                                        ; implicit-def: $vgpr1
                                        ; implicit-def: $vgpr0
                                        ; implicit-def: $vgpr5
                                        ; implicit-def: $vgpr4
                                        ; implicit-def: $vgpr6
                                        ; implicit-def: $vgpr7
                                        ; implicit-def: $vgpr8
.LBB90_28:
	v_lshl_add_u32 v14, v40, 2, v49
	s_ashr_i32 s21, s20, 31
	s_ashr_i32 s5, s4, 31
	s_sub_co_i32 s9, s2, s20
	s_wait_alu 0xfffe
	s_mul_u64 s[26:27], s[20:21], s[4:5]
	v_mul_lo_u32 v4, s4, v14
	s_wait_alu 0xfffe
	s_lshl_b64 s[2:3], s[26:27], 2
	v_dual_mov_b32 v6, 0 :: v_dual_lshlrev_b32 v15, 2, v48
	s_add_nc_u64 s[6:7], s[6:7], s[2:3]
	v_cmp_gt_i32_e64 s2, s9, v14
	s_mov_b32 s40, 0
	s_mov_b64 s[24:25], src_private_base
	v_ashrrev_i32_e32 v5, 31, v4
	s_mov_b32 s41, s40
	s_mov_b32 s42, s40
	s_lshl_b32 s4, s4, 4
	s_delay_alu instid0(VALU_DEP_1) | instskip(SKIP_2) | instid1(VALU_DEP_1)
	v_lshlrev_b64_e32 v[0:1], 2, v[4:5]
	s_wait_alu 0xfffe
	v_add_nc_u32_e32 v4, s4, v4
	v_ashrrev_i32_e32 v5, 31, v4
	s_delay_alu instid0(VALU_DEP_3) | instskip(SKIP_2) | instid1(VALU_DEP_3)
	v_add_co_u32 v0, vcc_lo, s6, v0
	s_wait_alu 0xfffd
	v_add_co_ci_u32_e64 v1, null, s7, v1, vcc_lo
	v_lshlrev_b64_e32 v[12:13], 2, v[4:5]
	s_delay_alu instid0(VALU_DEP_3) | instskip(SKIP_1) | instid1(VALU_DEP_3)
	v_add_co_u32 v23, vcc_lo, v0, v15
	s_wait_alu 0xfffd
	v_add_co_ci_u32_e64 v24, null, 0, v1, vcc_lo
	v_dual_mov_b32 v0, s40 :: v_dual_mov_b32 v1, s41
	v_mov_b32_e32 v2, s42
	s_delay_alu instid0(VALU_DEP_3)
	v_cndmask_b32_e64 v8, s25, v24, s2
	v_cndmask_b32_e64 v7, 0, v23, s2
	s_clause 0x1
	scratch_store_b32 off, v6, off
	scratch_store_b96 off, v[0:2], off offset:4
	v_add_co_u32 v5, vcc_lo, s6, v12
	flat_load_b128 v[8:11], v[7:8]
	s_wait_alu 0xfffd
	v_add_co_ci_u32_e64 v7, null, s7, v13, vcc_lo
	v_add_nc_u32_e32 v12, 16, v14
	v_add_co_u32 v25, vcc_lo, v5, v15
	s_wait_alu 0xfffd
	s_delay_alu instid0(VALU_DEP_3) | instskip(NEXT) | instid1(VALU_DEP_3)
	v_add_co_ci_u32_e64 v26, null, 0, v7, vcc_lo
	v_cmp_gt_i32_e32 vcc_lo, s9, v12
	v_mad_u32_u24 v7, 0x90, v14, v15
	s_clause 0x1
	scratch_store_b32 off, v6, off
	scratch_store_b96 off, v[0:2], off offset:4
	v_add_nc_u32_e32 v4, s4, v4
	v_add_co_u32 v23, s5, 0x80, v23
	s_wait_alu 0xfffd
	v_cndmask_b32_e32 v13, s25, v26, vcc_lo
	v_cndmask_b32_e32 v12, 0, v25, vcc_lo
	v_ashrrev_i32_e32 v5, 31, v4
	s_wait_alu 0xf1ff
	v_add_co_ci_u32_e64 v24, null, 0, v24, s5
	v_cndmask_b32_e64 v23, 0, v23, s2
	s_delay_alu instid0(VALU_DEP_2)
	v_cndmask_b32_e64 v24, s25, v24, s2
	s_wait_loadcnt_dscnt 0x0
	ds_store_b128 v7, v[8:11]
	flat_load_b128 v[8:11], v[12:13]
	v_lshlrev_b64_e32 v[12:13], 2, v[4:5]
	v_add_nc_u32_e32 v4, s4, v4
	s_delay_alu instid0(VALU_DEP_2) | instskip(SKIP_1) | instid1(VALU_DEP_3)
	v_add_co_u32 v5, s3, s6, v12
	s_wait_alu 0xf1ff
	v_add_co_ci_u32_e64 v12, null, s7, v13, s3
	v_add_nc_u32_e32 v13, 32, v14
	s_delay_alu instid0(VALU_DEP_3) | instskip(SKIP_1) | instid1(VALU_DEP_3)
	v_add_co_u32 v27, s3, v5, v15
	s_wait_alu 0xf1ff
	v_add_co_ci_u32_e64 v28, null, 0, v12, s3
	s_delay_alu instid0(VALU_DEP_3)
	v_cmp_gt_i32_e64 s3, s9, v13
	s_clause 0x1
	scratch_store_b32 off, v6, off
	scratch_store_b96 off, v[0:2], off offset:4
	v_ashrrev_i32_e32 v5, 31, v4
	s_wait_alu 0xf1ff
	v_cndmask_b32_e64 v13, s25, v28, s3
	v_cndmask_b32_e64 v12, 0, v27, s3
	s_delay_alu instid0(VALU_DEP_3) | instskip(NEXT) | instid1(VALU_DEP_1)
	v_lshlrev_b64_e32 v[4:5], 2, v[4:5]
	v_add_co_u32 v4, s4, s6, v4
	s_wait_alu 0xf1ff
	s_delay_alu instid0(VALU_DEP_2) | instskip(NEXT) | instid1(VALU_DEP_2)
	v_add_co_ci_u32_e64 v5, null, s7, v5, s4
	v_add_co_u32 v29, s4, v4, v15
	s_wait_alu 0xf1ff
	s_delay_alu instid0(VALU_DEP_2)
	v_add_co_ci_u32_e64 v30, null, 0, v5, s4
	s_wait_loadcnt_dscnt 0x0
	ds_store_b128 v7, v[8:11] offset:2304
	flat_load_b128 v[8:11], v[12:13]
	v_add_nc_u32_e32 v12, 48, v14
	s_clause 0x1
	scratch_store_b32 off, v6, off
	scratch_store_b96 off, v[0:2], off offset:4
	v_cmp_gt_i32_e64 s4, s9, v12
	s_wait_alu 0xf1ff
	s_delay_alu instid0(VALU_DEP_1)
	v_cndmask_b32_e64 v5, s25, v30, s4
	v_cndmask_b32_e64 v4, 0, v29, s4
	s_wait_loadcnt_dscnt 0x0
	ds_store_b128 v7, v[8:11] offset:4608
	flat_load_b128 v[8:11], v[4:5]
	v_dual_mov_b32 v5, 0 :: v_dual_mov_b32 v4, 0
	s_wait_loadcnt_dscnt 0x0
	ds_store_b128 v7, v[8:11] offset:6912
	s_wait_storecnt_dscnt 0x0
	s_barrier_signal -1
	s_barrier_wait -1
	global_inv scope:SCOPE_SE
	ds_load_b128 v[8:11], v47
	ds_load_b128 v[12:15], v46
	ds_load_b128 v[19:22], v47 offset:4608
	s_wait_dscnt 0x1
	;;#ASMSTART
	v_dot2_f32_f16 v5, v8, v12, v5
	;;#ASMEND
	;;#ASMSTART
	v_dot2_f32_f16 v5, v9, v13, v5
	;;#ASMEND
	;;#ASMSTART
	v_dot2_f32_f16 v5, v10, v14, v5
	;;#ASMEND
	;;#ASMSTART
	v_dot2_f32_f16 v5, v11, v15, v5
	;;#ASMEND
	s_wait_dscnt 0x0
	;;#ASMSTART
	v_dot2_f32_f16 v4, v19, v12, v4
	;;#ASMEND
	;;#ASMSTART
	v_dot2_f32_f16 v4, v20, v13, v4
	;;#ASMEND
	;;#ASMSTART
	v_dot2_f32_f16 v4, v21, v14, v4
	;;#ASMEND
	;;#ASMSTART
	v_dot2_f32_f16 v4, v22, v15, v4
	;;#ASMEND
	ds_load_b128 v[8:11], v47 offset:16
	ds_load_b128 v[12:15], v46 offset:16
	ds_load_b128 v[19:22], v47 offset:4624
	s_wait_dscnt 0x1
	;;#ASMSTART
	v_dot2_f32_f16 v5, v8, v12, v5
	;;#ASMEND
	;;#ASMSTART
	v_dot2_f32_f16 v5, v9, v13, v5
	;;#ASMEND
	;;#ASMSTART
	v_dot2_f32_f16 v5, v10, v14, v5
	;;#ASMEND
	;;#ASMSTART
	v_dot2_f32_f16 v5, v11, v15, v5
	;;#ASMEND
	s_wait_dscnt 0x0
	;;#ASMSTART
	v_dot2_f32_f16 v4, v19, v12, v4
	;;#ASMEND
	;;#ASMSTART
	v_dot2_f32_f16 v4, v20, v13, v4
	;;#ASMEND
	;;#ASMSTART
	v_dot2_f32_f16 v4, v21, v14, v4
	;;#ASMEND
	;;#ASMSTART
	v_dot2_f32_f16 v4, v22, v15, v4
	;;#ASMEND
	ds_load_b128 v[8:11], v47 offset:32
	ds_load_b128 v[12:15], v46 offset:32
	ds_load_b128 v[19:22], v47 offset:4640
	s_wait_dscnt 0x1
	;;#ASMSTART
	v_dot2_f32_f16 v5, v8, v12, v5
	;;#ASMEND
	;;#ASMSTART
	v_dot2_f32_f16 v5, v9, v13, v5
	;;#ASMEND
	;;#ASMSTART
	v_dot2_f32_f16 v5, v10, v14, v5
	;;#ASMEND
	;;#ASMSTART
	v_dot2_f32_f16 v5, v11, v15, v5
	;;#ASMEND
	s_wait_dscnt 0x0
	;;#ASMSTART
	v_dot2_f32_f16 v4, v19, v12, v4
	;;#ASMEND
	;;#ASMSTART
	v_dot2_f32_f16 v4, v20, v13, v4
	;;#ASMEND
	;;#ASMSTART
	v_dot2_f32_f16 v4, v21, v14, v4
	;;#ASMEND
	;;#ASMSTART
	v_dot2_f32_f16 v4, v22, v15, v4
	;;#ASMEND
	ds_load_b128 v[8:11], v47 offset:48
	ds_load_b128 v[12:15], v46 offset:48
	ds_load_b128 v[19:22], v47 offset:4656
	s_wait_dscnt 0x1
	;;#ASMSTART
	v_dot2_f32_f16 v5, v8, v12, v5
	;;#ASMEND
	;;#ASMSTART
	v_dot2_f32_f16 v5, v9, v13, v5
	;;#ASMEND
	;;#ASMSTART
	v_dot2_f32_f16 v5, v10, v14, v5
	;;#ASMEND
	;;#ASMSTART
	v_dot2_f32_f16 v5, v11, v15, v5
	;;#ASMEND
	s_wait_dscnt 0x0
	;;#ASMSTART
	v_dot2_f32_f16 v4, v19, v12, v4
	;;#ASMEND
	;;#ASMSTART
	v_dot2_f32_f16 v4, v20, v13, v4
	;;#ASMEND
	;;#ASMSTART
	v_dot2_f32_f16 v4, v21, v14, v4
	;;#ASMEND
	;;#ASMSTART
	v_dot2_f32_f16 v4, v22, v15, v4
	;;#ASMEND
	ds_load_b128 v[8:11], v47 offset:64
	ds_load_b128 v[12:15], v46 offset:64
	ds_load_b128 v[19:22], v47 offset:4672
	s_wait_dscnt 0x1
	;;#ASMSTART
	v_dot2_f32_f16 v5, v8, v12, v5
	;;#ASMEND
	;;#ASMSTART
	v_dot2_f32_f16 v5, v9, v13, v5
	;;#ASMEND
	;;#ASMSTART
	v_dot2_f32_f16 v5, v10, v14, v5
	;;#ASMEND
	;;#ASMSTART
	v_dot2_f32_f16 v5, v11, v15, v5
	;;#ASMEND
	s_wait_dscnt 0x0
	;;#ASMSTART
	v_dot2_f32_f16 v4, v19, v12, v4
	;;#ASMEND
	;;#ASMSTART
	v_dot2_f32_f16 v4, v20, v13, v4
	;;#ASMEND
	;;#ASMSTART
	v_dot2_f32_f16 v4, v21, v14, v4
	;;#ASMEND
	;;#ASMSTART
	v_dot2_f32_f16 v4, v22, v15, v4
	;;#ASMEND
	ds_load_b128 v[8:11], v47 offset:80
	ds_load_b128 v[12:15], v46 offset:80
	ds_load_b128 v[19:22], v47 offset:4688
	s_wait_dscnt 0x1
	;;#ASMSTART
	v_dot2_f32_f16 v5, v8, v12, v5
	;;#ASMEND
	;;#ASMSTART
	v_dot2_f32_f16 v5, v9, v13, v5
	;;#ASMEND
	;;#ASMSTART
	v_dot2_f32_f16 v5, v10, v14, v5
	;;#ASMEND
	;;#ASMSTART
	v_dot2_f32_f16 v5, v11, v15, v5
	;;#ASMEND
	s_wait_dscnt 0x0
	;;#ASMSTART
	v_dot2_f32_f16 v4, v19, v12, v4
	;;#ASMEND
	;;#ASMSTART
	v_dot2_f32_f16 v4, v20, v13, v4
	;;#ASMEND
	;;#ASMSTART
	v_dot2_f32_f16 v4, v21, v14, v4
	;;#ASMEND
	;;#ASMSTART
	v_dot2_f32_f16 v4, v22, v15, v4
	;;#ASMEND
	ds_load_b128 v[8:11], v47 offset:96
	ds_load_b128 v[12:15], v46 offset:96
	ds_load_b128 v[19:22], v47 offset:4704
	s_wait_dscnt 0x1
	;;#ASMSTART
	v_dot2_f32_f16 v5, v8, v12, v5
	;;#ASMEND
	;;#ASMSTART
	v_dot2_f32_f16 v5, v9, v13, v5
	;;#ASMEND
	;;#ASMSTART
	v_dot2_f32_f16 v5, v10, v14, v5
	;;#ASMEND
	;;#ASMSTART
	v_dot2_f32_f16 v5, v11, v15, v5
	;;#ASMEND
	s_wait_dscnt 0x0
	;;#ASMSTART
	v_dot2_f32_f16 v4, v19, v12, v4
	;;#ASMEND
	;;#ASMSTART
	v_dot2_f32_f16 v4, v20, v13, v4
	;;#ASMEND
	;;#ASMSTART
	v_dot2_f32_f16 v4, v21, v14, v4
	;;#ASMEND
	;;#ASMSTART
	v_dot2_f32_f16 v4, v22, v15, v4
	;;#ASMEND
	ds_load_b128 v[8:11], v47 offset:112
	ds_load_b128 v[12:15], v46 offset:112
	ds_load_b128 v[19:22], v47 offset:4720
	s_wait_dscnt 0x1
	;;#ASMSTART
	v_dot2_f32_f16 v5, v8, v12, v5
	;;#ASMEND
	;;#ASMSTART
	v_dot2_f32_f16 v5, v9, v13, v5
	;;#ASMEND
	;; [unrolled: 3-line block ×4, first 2 shown]
	s_wait_dscnt 0x0
	;;#ASMSTART
	v_dot2_f32_f16 v4, v19, v12, v4
	;;#ASMEND
	;;#ASMSTART
	v_dot2_f32_f16 v4, v20, v13, v4
	;;#ASMEND
	;;#ASMSTART
	v_dot2_f32_f16 v4, v21, v14, v4
	;;#ASMEND
	;;#ASMSTART
	v_dot2_f32_f16 v4, v22, v15, v4
	;;#ASMEND
	s_wait_loadcnt 0x0
	s_barrier_signal -1
	s_barrier_wait -1
	global_inv scope:SCOPE_SE
	s_clause 0x1
	scratch_store_b32 off, v6, off
	scratch_store_b96 off, v[0:2], off offset:4
	flat_load_b128 v[8:11], v[23:24]
	v_add_co_u32 v12, s2, 0x80, v25
	s_wait_alu 0xf1ff
	v_add_co_ci_u32_e64 v13, null, 0, v26, s2
	s_clause 0x1
	scratch_store_b32 off, v6, off
	scratch_store_b96 off, v[0:2], off offset:4
	v_cndmask_b32_e32 v12, 0, v12, vcc_lo
	v_cndmask_b32_e32 v13, s25, v13, vcc_lo
	s_wait_loadcnt_dscnt 0x0
	ds_store_b128 v7, v[8:11]
	flat_load_b128 v[8:11], v[12:13]
	v_add_co_u32 v12, vcc_lo, 0x80, v27
	s_wait_alu 0xfffd
	v_add_co_ci_u32_e64 v13, null, 0, v28, vcc_lo
	s_clause 0x1
	scratch_store_b32 off, v6, off
	scratch_store_b96 off, v[0:2], off offset:4
	v_cndmask_b32_e64 v12, 0, v12, s3
	v_cndmask_b32_e64 v13, s25, v13, s3
	s_wait_loadcnt_dscnt 0x0
	ds_store_b128 v7, v[8:11] offset:2304
	flat_load_b128 v[8:11], v[12:13]
	v_add_co_u32 v12, vcc_lo, 0x80, v29
	s_wait_alu 0xfffd
	v_add_co_ci_u32_e64 v13, null, 0, v30, vcc_lo
	s_clause 0x1
	scratch_store_b32 off, v6, off
	scratch_store_b96 off, v[0:2], off offset:4
	v_cndmask_b32_e64 v12, 0, v12, s4
                                        ; implicit-def: $vgpr0
	v_cndmask_b32_e64 v13, s25, v13, s4
	s_wait_loadcnt_dscnt 0x0
	ds_store_b128 v7, v[8:11] offset:4608
	flat_load_b128 v[8:11], v[12:13]
	s_wait_loadcnt_dscnt 0x0
	ds_store_b128 v7, v[8:11] offset:6912
	s_wait_storecnt_dscnt 0x0
	s_barrier_signal -1
	s_barrier_wait -1
	global_inv scope:SCOPE_SE
	ds_load_b128 v[6:9], v47
	ds_load_b128 v[10:13], v46 offset:128
	ds_load_b128 v[19:22], v47 offset:4608
	s_wait_dscnt 0x1
	;;#ASMSTART
	v_dot2_f32_f16 v5, v6, v10, v5
	;;#ASMEND
	;;#ASMSTART
	v_dot2_f32_f16 v5, v7, v11, v5
	;;#ASMEND
	;;#ASMSTART
	v_dot2_f32_f16 v5, v8, v12, v5
	;;#ASMEND
	;;#ASMSTART
	v_dot2_f32_f16 v5, v9, v13, v5
	;;#ASMEND
	s_wait_dscnt 0x0
	;;#ASMSTART
	v_dot2_f32_f16 v4, v19, v10, v4
	;;#ASMEND
	;;#ASMSTART
	v_dot2_f32_f16 v4, v20, v11, v4
	;;#ASMEND
	;;#ASMSTART
	v_dot2_f32_f16 v4, v21, v12, v4
	;;#ASMEND
	;;#ASMSTART
	v_dot2_f32_f16 v4, v22, v13, v4
	;;#ASMEND
	ds_load_b128 v[6:9], v47 offset:16
	ds_load_b128 v[10:13], v46 offset:144
	ds_load_b128 v[19:22], v47 offset:4624
	s_wait_dscnt 0x1
	;;#ASMSTART
	v_dot2_f32_f16 v5, v6, v10, v5
	;;#ASMEND
	;;#ASMSTART
	v_dot2_f32_f16 v5, v7, v11, v5
	;;#ASMEND
	;;#ASMSTART
	v_dot2_f32_f16 v5, v8, v12, v5
	;;#ASMEND
	;;#ASMSTART
	v_dot2_f32_f16 v5, v9, v13, v5
	;;#ASMEND
	s_wait_dscnt 0x0
	;;#ASMSTART
	v_dot2_f32_f16 v4, v19, v10, v4
	;;#ASMEND
	;;#ASMSTART
	v_dot2_f32_f16 v4, v20, v11, v4
	;;#ASMEND
	;;#ASMSTART
	v_dot2_f32_f16 v4, v21, v12, v4
	;;#ASMEND
	;;#ASMSTART
	v_dot2_f32_f16 v4, v22, v13, v4
	;;#ASMEND
	ds_load_b128 v[6:9], v47 offset:32
	;; [unrolled: 29-line block ×7, first 2 shown]
	ds_load_b128 v[10:13], v46 offset:240
	ds_load_b128 v[19:22], v47 offset:4720
	s_wait_dscnt 0x1
	;;#ASMSTART
	v_dot2_f32_f16 v5, v6, v10, v5
	;;#ASMEND
	;;#ASMSTART
	v_dot2_f32_f16 v5, v7, v11, v5
	;;#ASMEND
	;; [unrolled: 3-line block ×4, first 2 shown]
	v_cmp_ngt_f32_e64 s2, 0x3f200000, |v5|
	s_wait_dscnt 0x0
	;;#ASMSTART
	v_dot2_f32_f16 v4, v19, v10, v4
	;;#ASMEND
	;;#ASMSTART
	v_dot2_f32_f16 v4, v20, v11, v4
	;;#ASMEND
	;; [unrolled: 3-line block ×4, first 2 shown]
	s_and_saveexec_b32 s3, s2
	s_wait_alu 0xfffe
	s_xor_b32 s2, exec_lo, s3
	s_cbranch_execz .LBB90_30
; %bb.29:
	v_add_f32_e64 v0, |v5|, |v5|
	s_delay_alu instid0(VALU_DEP_1) | instskip(SKIP_1) | instid1(VALU_DEP_2)
	v_mul_f32_e32 v1, 0x3fb8aa3b, v0
	v_cmp_ngt_f32_e32 vcc_lo, 0xc2ce8ed0, v0
	v_rndne_f32_e32 v2, v1
	v_fma_f32 v6, 0x3fb8aa3b, v0, -v1
	s_delay_alu instid0(VALU_DEP_1) | instskip(SKIP_1) | instid1(VALU_DEP_2)
	v_dual_sub_f32 v1, v1, v2 :: v_dual_fmamk_f32 v6, v0, 0x32a5705f, v6
	v_cvt_i32_f32_e32 v2, v2
	v_add_f32_e32 v1, v1, v6
	s_delay_alu instid0(VALU_DEP_1) | instskip(NEXT) | instid1(TRANS32_DEP_1)
	v_exp_f32_e32 v1, v1
	v_ldexp_f32 v1, v1, v2
	s_wait_alu 0xfffd
	s_delay_alu instid0(VALU_DEP_1) | instskip(SKIP_2) | instid1(VALU_DEP_2)
	v_cndmask_b32_e32 v1, 0, v1, vcc_lo
	v_cmp_nlt_f32_e32 vcc_lo, 0x42b17218, v0
	s_wait_alu 0xfffd
	v_cndmask_b32_e32 v0, 0x7f800000, v1, vcc_lo
	s_delay_alu instid0(VALU_DEP_1) | instskip(NEXT) | instid1(VALU_DEP_1)
	v_add_f32_e32 v0, 1.0, v0
	v_rcp_f32_e32 v0, v0
	s_delay_alu instid0(TRANS32_DEP_1)
	v_fma_f32 v0, v0, -2.0, 1.0
.LBB90_30:
	s_wait_alu 0xfffe
	s_and_not1_saveexec_b32 s2, s2
	s_cbranch_execz .LBB90_32
; %bb.31:
	v_mul_f32_e32 v0, v5, v5
	s_mov_b32 s3, 0xbbbac73d
	s_wait_alu 0xfffe
	s_delay_alu instid0(VALU_DEP_1) | instskip(NEXT) | instid1(VALU_DEP_1)
	v_fmaak_f32 v1, s3, v0, 0x3ca908c9
	v_fmaak_f32 v1, v0, v1, 0xbd5c1c4e
	s_delay_alu instid0(VALU_DEP_1) | instskip(NEXT) | instid1(VALU_DEP_1)
	v_fmaak_f32 v1, v0, v1, 0x3e088382
	v_fmaak_f32 v1, v0, v1, 0xbeaaaa99
	s_delay_alu instid0(VALU_DEP_1) | instskip(NEXT) | instid1(VALU_DEP_1)
	v_mul_f32_e64 v1, |v5|, v1
	v_fma_f32 v0, v0, v1, |v5|
.LBB90_32:
	s_wait_alu 0xfffe
	s_or_b32 exec_lo, exec_lo, s2
	s_delay_alu instid0(VALU_DEP_1)
	v_bfi_b32 v2, 0x7fffffff, v0, v5
	s_cmp_lg_u64 s[34:35], 0
	v_mad_co_u64_u32 v[0:1], null, v45, s33, s[20:21]
	s_cselect_b32 s3, -1, 0
	v_dual_mul_f32 v1, s37, v2 :: v_dual_mov_b32 v2, v18
	s_wait_alu 0xfffe
	v_cndmask_b32_e64 v5, 0, 1, s3
	s_mov_b32 s2, exec_lo
	v_cmpx_gt_i32_e64 s9, v17
	s_cbranch_execz .LBB90_37
; %bb.33:
	s_and_not1_b32 vcc_lo, exec_lo, s3
	s_wait_alu 0xfffe
	s_cbranch_vccnz .LBB90_35
; %bb.34:
	v_add_nc_u32_e32 v6, v0, v17
	s_delay_alu instid0(VALU_DEP_1) | instskip(NEXT) | instid1(VALU_DEP_1)
	v_ashrrev_i32_e32 v7, 31, v6
	v_lshlrev_b64_e32 v[6:7], 1, v[6:7]
	s_delay_alu instid0(VALU_DEP_1) | instskip(SKIP_1) | instid1(VALU_DEP_2)
	v_add_co_u32 v6, vcc_lo, s34, v6
	s_wait_alu 0xfffd
	v_add_co_ci_u32_e64 v7, null, s35, v7, vcc_lo
	global_load_u16 v2, v[6:7], off
	s_wait_loadcnt 0x0
	v_cvt_f32_f16_e32 v2, v2
	s_delay_alu instid0(VALU_DEP_1)
	v_mul_f32_e32 v2, v42, v2
	s_branch .LBB90_36
.LBB90_35:
	v_mov_b32_e32 v2, 0
.LBB90_36:
	s_delay_alu instid0(VALU_DEP_1) | instskip(SKIP_1) | instid1(VALU_DEP_2)
	v_add_f32_e32 v1, v1, v2
	v_max_num_f32_e32 v6, v18, v18
	v_add_f32_e32 v2, 0x40051340, v1
	s_delay_alu instid0(VALU_DEP_1)
	v_max_num_f32_e32 v2, v6, v2
.LBB90_37:
	s_wait_alu 0xfffe
	s_or_b32 exec_lo, exec_lo, s2
	v_cmp_ngt_f32_e64 s2, 0x3f200000, |v4|
                                        ; implicit-def: $vgpr6
	s_and_saveexec_b32 s3, s2
	s_wait_alu 0xfffe
	s_xor_b32 s2, exec_lo, s3
	s_cbranch_execz .LBB90_39
; %bb.38:
	v_add_f32_e64 v6, |v4|, |v4|
	s_delay_alu instid0(VALU_DEP_1) | instskip(SKIP_1) | instid1(VALU_DEP_2)
	v_mul_f32_e32 v7, 0x3fb8aa3b, v6
	v_cmp_ngt_f32_e32 vcc_lo, 0xc2ce8ed0, v6
	v_rndne_f32_e32 v8, v7
	v_fma_f32 v9, 0x3fb8aa3b, v6, -v7
	s_delay_alu instid0(VALU_DEP_2) | instskip(NEXT) | instid1(VALU_DEP_2)
	v_sub_f32_e32 v7, v7, v8
	v_fmamk_f32 v9, v6, 0x32a5705f, v9
	v_cvt_i32_f32_e32 v8, v8
	s_delay_alu instid0(VALU_DEP_2) | instskip(NEXT) | instid1(VALU_DEP_1)
	v_add_f32_e32 v7, v7, v9
	v_exp_f32_e32 v7, v7
	s_delay_alu instid0(TRANS32_DEP_1) | instskip(SKIP_1) | instid1(VALU_DEP_1)
	v_ldexp_f32 v7, v7, v8
	s_wait_alu 0xfffd
	v_cndmask_b32_e32 v7, 0, v7, vcc_lo
	v_cmp_nlt_f32_e32 vcc_lo, 0x42b17218, v6
	s_wait_alu 0xfffd
	s_delay_alu instid0(VALU_DEP_2) | instskip(NEXT) | instid1(VALU_DEP_1)
	v_cndmask_b32_e32 v6, 0x7f800000, v7, vcc_lo
	v_add_f32_e32 v6, 1.0, v6
	s_delay_alu instid0(VALU_DEP_1) | instskip(NEXT) | instid1(TRANS32_DEP_1)
	v_rcp_f32_e32 v6, v6
	v_fma_f32 v6, v6, -2.0, 1.0
.LBB90_39:
	s_wait_alu 0xfffe
	s_and_not1_saveexec_b32 s2, s2
	s_cbranch_execz .LBB90_41
; %bb.40:
	v_mul_f32_e32 v6, v4, v4
	s_mov_b32 s3, 0xbbbac73d
	s_wait_alu 0xfffe
	s_delay_alu instid0(VALU_DEP_1) | instskip(NEXT) | instid1(VALU_DEP_1)
	v_fmaak_f32 v7, s3, v6, 0x3ca908c9
	v_fmaak_f32 v7, v6, v7, 0xbd5c1c4e
	s_delay_alu instid0(VALU_DEP_1) | instskip(NEXT) | instid1(VALU_DEP_1)
	v_fmaak_f32 v7, v6, v7, 0x3e088382
	v_fmaak_f32 v7, v6, v7, 0xbeaaaa99
	s_delay_alu instid0(VALU_DEP_1) | instskip(NEXT) | instid1(VALU_DEP_1)
	v_mul_f32_e64 v7, |v4|, v7
	v_fma_f32 v6, v6, v7, |v4|
.LBB90_41:
	s_wait_alu 0xfffe
	s_or_b32 exec_lo, exec_lo, s2
	s_delay_alu instid0(VALU_DEP_1) | instskip(SKIP_2) | instid1(VALU_DEP_2)
	v_bfi_b32 v4, 0x7fffffff, v6, v4
	v_add_nc_u32_e32 v11, 32, v17
	s_mov_b32 s2, exec_lo
	v_mul_f32_e32 v10, s37, v4
	s_delay_alu instid0(VALU_DEP_2)
	v_cmpx_gt_i32_e64 s9, v11
	s_cbranch_execz .LBB90_46
; %bb.42:
	v_cmp_ne_u32_e32 vcc_lo, 1, v5
	s_cbranch_vccnz .LBB90_44
; %bb.43:
	v_ashrrev_i32_e32 v5, 31, v0
	v_add_co_u32 v4, vcc_lo, v0, v17
	s_wait_alu 0xfffd
	s_delay_alu instid0(VALU_DEP_2) | instskip(NEXT) | instid1(VALU_DEP_1)
	v_add_co_ci_u32_e64 v5, null, 0, v5, vcc_lo
	v_lshlrev_b64_e32 v[4:5], 1, v[4:5]
	s_delay_alu instid0(VALU_DEP_1) | instskip(SKIP_1) | instid1(VALU_DEP_2)
	v_add_co_u32 v4, vcc_lo, s34, v4
	s_wait_alu 0xfffd
	v_add_co_ci_u32_e64 v5, null, s35, v5, vcc_lo
	global_load_u16 v0, v[4:5], off offset:64
	s_wait_loadcnt 0x0
	v_cvt_f32_f16_e32 v0, v0
	s_delay_alu instid0(VALU_DEP_1)
	v_mul_f32_e32 v0, v42, v0
	s_branch .LBB90_45
.LBB90_44:
	v_mov_b32_e32 v0, 0
.LBB90_45:
	s_delay_alu instid0(VALU_DEP_1) | instskip(SKIP_1) | instid1(VALU_DEP_2)
	v_add_f32_e32 v10, v10, v0
	v_max_num_f32_e32 v2, v2, v2
	v_add_f32_e32 v0, 0x40051340, v10
	s_delay_alu instid0(VALU_DEP_1)
	v_max_num_f32_e32 v2, v2, v0
.LBB90_46:
	s_wait_alu 0xfffe
	s_or_b32 exec_lo, exec_lo, s2
	v_xor_b32_e32 v5, 16, v37
	v_xor_b32_e32 v4, 8, v37
	s_mov_b32 s4, 0
	s_mov_b64 s[2:3], src_private_base
	s_wait_alu 0xfffe
	s_mov_b32 s5, s4
	v_cmp_gt_i32_e32 vcc_lo, 32, v5
	s_mov_b32 s6, s4
	s_lshl_b32 s2, s10, 3
	v_lshl_add_u32 v28, v40, 1, v43
	s_ashr_i32 s11, s10, 31
	s_wait_alu 0xfffd
	v_cndmask_b32_e32 v0, v37, v5, vcc_lo
	v_cmp_gt_i32_e32 vcc_lo, 32, v4
	s_wait_alu 0xfffe
	s_mul_u64 s[24:25], s[20:21], s[10:11]
	v_lshlrev_b32_e32 v12, 7, v40
	v_lshlrev_b32_e32 v22, 1, v17
	;; [unrolled: 1-line block ×3, first 2 shown]
	s_wait_alu 0xfffd
	v_cndmask_b32_e32 v6, v37, v4, vcc_lo
	s_wait_loadcnt 0x0
	s_barrier_signal -1
	s_barrier_wait -1
	ds_bpermute_b32 v0, v0, v2
	v_max_num_f32_e32 v2, v2, v2
	v_lshlrev_b32_e32 v6, 2, v6
	s_wait_dscnt 0x0
	global_inv scope:SCOPE_SE
	v_add_nc_u32_e32 v40, 8, v28
	v_lshlrev_b32_e32 v15, 2, v44
	v_mov_b32_e32 v19, 0
	v_add_nc_u32_e32 v117, 16, v28
	v_add_nc_u32_e32 v119, 24, v28
	v_add_nc_u32_e32 v121, 0x800, v38
	v_lshl_or_b32 v116, v28, 8, v15
	v_lshl_or_b32 v118, v40, 8, v15
	;; [unrolled: 1-line block ×4, first 2 shown]
	v_max_num_f32_e32 v0, v0, v0
	s_delay_alu instid0(VALU_DEP_1) | instskip(SKIP_2) | instid1(VALU_DEP_1)
	v_max_num_f32_e32 v0, v2, v0
	ds_bpermute_b32 v2, v6, v0
	v_xor_b32_e32 v6, 4, v37
	v_cmp_gt_i32_e32 vcc_lo, 32, v6
	s_wait_alu 0xfffd
	v_cndmask_b32_e32 v7, v37, v6, vcc_lo
	s_wait_dscnt 0x0
	s_delay_alu instid0(VALU_DEP_1) | instskip(NEXT) | instid1(VALU_DEP_1)
	v_dual_max_num_f32 v2, v2, v2 :: v_dual_lshlrev_b32 v7, 2, v7
	v_max_num_f32_e32 v0, v0, v2
	ds_bpermute_b32 v2, v7, v0
	v_xor_b32_e32 v7, 2, v37
	s_delay_alu instid0(VALU_DEP_1) | instskip(SKIP_2) | instid1(VALU_DEP_1)
	v_cmp_gt_i32_e32 vcc_lo, 32, v7
	s_wait_alu 0xfffd
	v_cndmask_b32_e32 v8, v37, v7, vcc_lo
	v_lshlrev_b32_e32 v8, 2, v8
	s_wait_dscnt 0x0
	v_max_num_f32_e32 v2, v2, v2
	s_delay_alu instid0(VALU_DEP_1) | instskip(SKIP_2) | instid1(VALU_DEP_1)
	v_max_num_f32_e32 v0, v0, v2
	ds_bpermute_b32 v2, v8, v0
	v_xor_b32_e32 v8, 1, v37
	v_cmp_gt_i32_e32 vcc_lo, 32, v8
	s_wait_alu 0xfffd
	v_cndmask_b32_e32 v9, v37, v8, vcc_lo
	s_wait_dscnt 0x0
	s_delay_alu instid0(VALU_DEP_1) | instskip(NEXT) | instid1(VALU_DEP_1)
	v_dual_max_num_f32 v2, v2, v2 :: v_dual_lshlrev_b32 v9, 2, v9
	v_max_num_f32_e32 v0, v0, v2
	ds_bpermute_b32 v2, v9, v0
	s_wait_dscnt 0x0
	v_max_num_f32_e32 v2, v2, v2
	s_delay_alu instid0(VALU_DEP_1) | instskip(NEXT) | instid1(VALU_DEP_1)
	v_max_num_f32_e32 v9, v0, v2
	v_sub_f32_e32 v20, v1, v9
	v_sub_f32_e32 v10, v10, v9
	s_delay_alu instid0(VALU_DEP_1) | instskip(SKIP_1) | instid1(VALU_DEP_2)
	v_dual_mul_f32 v0, 0x3fb8aa3b, v20 :: v_dual_mul_f32 v1, 0x3fb8aa3b, v10
	v_cmp_ngt_f32_e32 vcc_lo, 0xc2ce8ed0, v20
	v_fma_f32 v2, 0x3fb8aa3b, v20, -v0
	v_rndne_f32_e32 v14, v0
	s_delay_alu instid0(VALU_DEP_4) | instskip(SKIP_1) | instid1(VALU_DEP_4)
	v_fma_f32 v13, 0x3fb8aa3b, v10, -v1
	v_rndne_f32_e32 v21, v1
	v_fmac_f32_e32 v2, 0x32a5705f, v20
	s_delay_alu instid0(VALU_DEP_4) | instskip(NEXT) | instid1(VALU_DEP_4)
	v_sub_f32_e32 v0, v0, v14
	v_fmac_f32_e32 v13, 0x32a5705f, v10
	s_delay_alu instid0(VALU_DEP_4) | instskip(SKIP_2) | instid1(VALU_DEP_3)
	v_sub_f32_e32 v1, v1, v21
	v_cvt_i32_f32_e32 v25, v14
	v_cvt_i32_f32_e32 v21, v21
	v_dual_add_f32 v0, v0, v2 :: v_dual_add_f32 v1, v1, v13
	v_mul_lo_u32 v13, s10, v28
	s_delay_alu instid0(VALU_DEP_2) | instskip(NEXT) | instid1(VALU_DEP_2)
	v_exp_f32_e32 v23, v0
	v_exp_f32_e32 v24, v1
	v_dual_mov_b32 v0, s4 :: v_dual_mov_b32 v1, s5
	v_mov_b32_e32 v2, s6
	s_delay_alu instid0(VALU_DEP_3)
	v_ashrrev_i32_e32 v14, 31, v13
	s_wait_alu 0xfffe
	s_lshl_b64 s[4:5], s[24:25], 2
	s_clause 0x1
	scratch_store_b32 off, v19, off
	scratch_store_b96 off, v[0:2], off offset:4
	v_ldexp_f32 v23, v23, v25
	s_wait_alu 0xfffe
	s_add_nc_u64 s[4:5], s[14:15], s[4:5]
	v_ldexp_f32 v21, v24, v21
	v_lshlrev_b64_e32 v[24:25], 2, v[13:14]
	s_wait_alu 0xfffd
	v_dual_cndmask_b32 v14, 0, v23 :: v_dual_add_nc_u32 v13, s2, v13
	v_cmp_ngt_f32_e32 vcc_lo, 0xc2ce8ed0, v10
	s_wait_alu 0xfffd
	v_cndmask_b32_e32 v21, 0, v21, vcc_lo
	s_wait_alu 0xfffe
	v_add_co_u32 v23, vcc_lo, s4, v24
	s_wait_alu 0xfffd
	v_add_co_ci_u32_e64 v26, null, s5, v25, vcc_lo
	v_cmp_nlt_f32_e32 vcc_lo, 0x42b17218, v20
	s_wait_alu 0xfffd
	v_cndmask_b32_e32 v14, 0x7f800000, v14, vcc_lo
	v_cmp_nlt_f32_e32 vcc_lo, 0x42b17218, v10
	s_wait_alu 0xfffd
	v_cndmask_b32_e32 v20, 0x7f800000, v21, vcc_lo
	v_add_co_u32 v23, vcc_lo, v23, v15
	s_wait_alu 0xfffd
	v_add_co_ci_u32_e64 v21, null, 0, v26, vcc_lo
	v_cmp_gt_u32_e32 vcc_lo, s9, v17
	s_wait_alu 0xfffd
	v_cndmask_b32_e32 v10, 0, v14, vcc_lo
	v_cmp_gt_u32_e32 vcc_lo, s9, v11
	v_add3_u32 v14, 0x2800, v12, v22
	s_delay_alu instid0(VALU_DEP_3) | instskip(SKIP_3) | instid1(VALU_DEP_2)
	v_cvt_f16_f32_e32 v22, v10
	s_wait_alu 0xfffd
	v_cndmask_b32_e32 v11, 0, v20, vcc_lo
	v_cmp_gt_i32_e32 vcc_lo, s9, v28
	v_cvt_f16_f32_e32 v26, v11
	s_wait_alu 0xfffd
	v_cndmask_b32_e32 v21, s3, v21, vcc_lo
	v_cndmask_b32_e32 v20, 0, v23, vcc_lo
	ds_store_b16 v14, v22
	ds_store_b16 v14, v26 offset:64
	v_ashrrev_i32_e32 v14, 31, v13
	flat_load_b128 v[20:23], v[20:21]
	s_clause 0x1
	scratch_store_b32 off, v19, off
	scratch_store_b96 off, v[0:2], off offset:4
	v_lshlrev_b64_e32 v[110:111], 2, v[13:14]
	v_add_nc_u32_e32 v13, s2, v13
	s_delay_alu instid0(VALU_DEP_2) | instskip(SKIP_1) | instid1(VALU_DEP_3)
	v_add_co_u32 v14, vcc_lo, s4, v110
	s_wait_alu 0xfffd
	v_add_co_ci_u32_e64 v26, null, s5, v111, vcc_lo
	s_delay_alu instid0(VALU_DEP_2) | instskip(SKIP_1) | instid1(VALU_DEP_2)
	v_add_co_u32 v14, vcc_lo, v14, v15
	s_wait_alu 0xfffd
	v_add_co_ci_u32_e64 v26, null, 0, v26, vcc_lo
	v_cmp_gt_i32_e32 vcc_lo, s9, v40
	s_wait_alu 0xfffd
	s_delay_alu instid0(VALU_DEP_2) | instskip(SKIP_2) | instid1(VALU_DEP_1)
	v_cndmask_b32_e32 v27, s3, v26, vcc_lo
	v_cndmask_b32_e32 v26, 0, v14, vcc_lo
	v_ashrrev_i32_e32 v14, 31, v13
	v_lshlrev_b64_e32 v[112:113], 2, v[13:14]
	v_add_nc_u32_e32 v13, s2, v13
	s_sub_co_i32 s2, s9, 32
	s_delay_alu instid0(VALU_DEP_2)
	v_add_co_u32 v14, vcc_lo, s4, v112
	s_wait_loadcnt_dscnt 0x0
	ds_store_b128 v116, v[20:23]
	flat_load_b128 v[20:23], v[26:27]
	s_wait_alu 0xfffd
	v_add_co_ci_u32_e64 v26, null, s5, v113, vcc_lo
	v_add_co_u32 v14, vcc_lo, v14, v15
	s_clause 0x1
	scratch_store_b32 off, v19, off
	scratch_store_b96 off, v[0:2], off offset:4
	s_wait_alu 0xfffd
	v_add_co_ci_u32_e64 v26, null, 0, v26, vcc_lo
	v_cmp_gt_i32_e32 vcc_lo, s9, v117
	s_wait_alu 0xfffd
	s_delay_alu instid0(VALU_DEP_2) | instskip(SKIP_2) | instid1(VALU_DEP_1)
	v_cndmask_b32_e32 v27, s3, v26, vcc_lo
	v_cndmask_b32_e32 v26, 0, v14, vcc_lo
	v_ashrrev_i32_e32 v14, 31, v13
	v_lshlrev_b64_e32 v[114:115], 2, v[13:14]
	s_delay_alu instid0(VALU_DEP_1) | instskip(SKIP_1) | instid1(VALU_DEP_2)
	v_add_co_u32 v13, vcc_lo, s4, v114
	s_wait_alu 0xfffd
	v_add_co_ci_u32_e64 v14, null, s5, v115, vcc_lo
	s_or_b32 s4, s20, 32
	v_add_co_u32 v13, vcc_lo, v13, v15
	s_wait_alu 0xfffd
	v_add_co_ci_u32_e64 v14, null, 0, v14, vcc_lo
	v_cmp_gt_i32_e32 vcc_lo, s9, v119
	s_wait_alu 0xfffe
	s_ashr_i32 s5, s4, 31
	s_wait_alu 0xfffe
	s_mul_u64 s[4:5], s[4:5], s[10:11]
	s_wait_alu 0xfffd
	v_cndmask_b32_e32 v14, s3, v14, vcc_lo
	v_cndmask_b32_e32 v13, 0, v13, vcc_lo
	s_wait_alu 0xfffe
	s_lshl_b64 s[4:5], s[4:5], 2
	s_wait_alu 0xfffe
	s_add_nc_u64 s[4:5], s[14:15], s[4:5]
	s_wait_loadcnt_dscnt 0x0
	ds_store_b128 v118, v[20:23]
	flat_load_b128 v[20:23], v[26:27]
	s_clause 0x1
	scratch_store_b32 off, v19, off
	scratch_store_b96 off, v[0:2], off offset:4
	s_wait_loadcnt_dscnt 0x0
	ds_store_b128 v120, v[20:23]
	flat_load_b128 v[20:23], v[13:14]
	s_wait_alu 0xfffe
	v_add_co_u32 v13, vcc_lo, s4, v24
	s_wait_alu 0xfffd
	v_add_co_ci_u32_e64 v14, null, s5, v25, vcc_lo
	s_delay_alu instid0(VALU_DEP_2) | instskip(SKIP_1) | instid1(VALU_DEP_2)
	v_add_co_u32 v24, vcc_lo, v13, v15
	s_wait_alu 0xfffd
	v_add_co_ci_u32_e64 v25, null, 0, v14, vcc_lo
	v_cmp_gt_i32_e32 vcc_lo, s2, v28
	v_add_nc_u32_e32 v14, 0x1000, v38
	v_add_nc_u32_e32 v13, 0x1800, v38
	s_wait_alu 0xfffd
	v_cndmask_b32_e32 v107, s3, v25, vcc_lo
	v_cndmask_b32_e32 v106, 0, v24, vcc_lo
	v_add_co_u32 v110, vcc_lo, s4, v110
	s_wait_alu 0xfffd
	v_add_co_ci_u32_e64 v111, null, s5, v111, vcc_lo
	s_delay_alu instid0(VALU_DEP_2) | instskip(SKIP_1) | instid1(VALU_DEP_2)
	v_add_co_u32 v110, vcc_lo, v110, v15
	s_wait_alu 0xfffd
	v_add_co_ci_u32_e64 v111, null, 0, v111, vcc_lo
	v_cmp_gt_i32_e32 vcc_lo, s2, v40
	s_wait_alu 0xfffd
	s_delay_alu instid0(VALU_DEP_2)
	v_cndmask_b32_e32 v111, s3, v111, vcc_lo
	s_wait_loadcnt_dscnt 0x0
	ds_store_b128 v122, v[20:23]
	s_wait_storecnt_dscnt 0x0
	s_barrier_signal -1
	s_barrier_wait -1
	global_inv scope:SCOPE_SE
	ds_load_2addr_b64 v[20:23], v38 offset1:32
	ds_load_b128 v[24:27], v12 offset:10240
	ds_load_b128 v[28:31], v12 offset:10256
	;; [unrolled: 1-line block ×4, first 2 shown]
	ds_load_2addr_b64 v[46:49], v38 offset0:64 offset1:96
	ds_load_2addr_b64 v[50:53], v38 offset0:128 offset1:160
	ds_load_2addr_b64 v[54:57], v38 offset0:192 offset1:224
	ds_load_2addr_b64 v[58:61], v121 offset1:32
	ds_load_2addr_b64 v[62:65], v121 offset0:64 offset1:96
	ds_load_2addr_b64 v[66:69], v121 offset0:128 offset1:160
	ds_load_2addr_b64 v[70:73], v121 offset0:192 offset1:224
	ds_load_2addr_b64 v[74:77], v14 offset1:32
	;; [unrolled: 4-line block ×3, first 2 shown]
	ds_load_2addr_b64 v[94:97], v13 offset0:64 offset1:96
	ds_load_2addr_b64 v[98:101], v13 offset0:128 offset1:160
	;; [unrolled: 1-line block ×3, first 2 shown]
	s_wait_loadcnt_dscnt 0x0
	s_barrier_signal -1
	s_barrier_wait -1
	global_inv scope:SCOPE_SE
	s_clause 0x1
	scratch_store_b32 off, v19, off
	scratch_store_b96 off, v[0:2], off offset:4
	flat_load_b128 v[106:109], v[106:107]
	v_cndmask_b32_e32 v110, 0, v110, vcc_lo
	s_clause 0x1
	scratch_store_b32 off, v19, off
	scratch_store_b96 off, v[0:2], off offset:4
	v_add_co_u32 v40, vcc_lo, s4, v112
	s_wait_loadcnt_dscnt 0x0
	ds_store_b128 v116, v[106:109]
	flat_load_b128 v[106:109], v[110:111]
	s_wait_alu 0xfffd
	v_add_co_ci_u32_e64 v110, null, s5, v113, vcc_lo
	v_add_co_u32 v40, vcc_lo, v40, v15
	s_clause 0x1
	scratch_store_b32 off, v19, off
	scratch_store_b96 off, v[0:2], off offset:4
	s_wait_alu 0xfffd
	v_add_co_ci_u32_e64 v110, null, 0, v110, vcc_lo
	v_cmp_gt_i32_e32 vcc_lo, s2, v117
	s_wait_alu 0xfffd
	s_delay_alu instid0(VALU_DEP_2)
	v_cndmask_b32_e32 v111, s3, v110, vcc_lo
	v_cndmask_b32_e32 v110, 0, v40, vcc_lo
	v_add_co_u32 v40, vcc_lo, s4, v114
	s_wait_loadcnt_dscnt 0x0
	ds_store_b128 v118, v[106:109]
	flat_load_b128 v[106:109], v[110:111]
	s_wait_alu 0xfffd
	v_add_co_ci_u32_e64 v110, null, s5, v115, vcc_lo
	s_clause 0x1
	scratch_store_b32 off, v19, off
	scratch_store_b96 off, v[0:2], off offset:4
	v_sub_f32_e32 v0, v18, v9
	v_add_co_u32 v15, vcc_lo, v40, v15
	s_wait_alu 0xfffd
	v_add_co_ci_u32_e64 v40, null, 0, v110, vcc_lo
	v_cmp_gt_i32_e32 vcc_lo, s2, v119
	v_mul_f32_e32 v1, 0x3fb8aa3b, v0
	s_wait_alu 0xfffd
	v_dual_cndmask_b32 v110, 0, v15 :: v_dual_and_b32 v19, 0xffff, v25
	s_delay_alu instid0(VALU_DEP_2) | instskip(SKIP_4) | instid1(VALU_DEP_4)
	v_fma_f32 v2, 0x3fb8aa3b, v0, -v1
	v_rndne_f32_e32 v15, v1
	v_cndmask_b32_e32 v111, s3, v40, vcc_lo
	v_cmp_ngt_f32_e32 vcc_lo, 0xc2ce8ed0, v0
	v_mul_u32_u24_e32 v19, 0x10001, v19
	v_dual_fmac_f32 v2, 0x32a5705f, v0 :: v_dual_sub_f32 v1, v1, v15
	s_delay_alu instid0(VALU_DEP_1) | instskip(SKIP_2) | instid1(VALU_DEP_3)
	v_add_f32_e32 v1, v1, v2
	v_cvt_i32_f32_e32 v2, v15
	v_lshrrev_b32_e32 v15, 16, v24
	v_exp_f32_e32 v1, v1
	s_delay_alu instid0(VALU_DEP_1) | instskip(NEXT) | instid1(TRANS32_DEP_1)
	v_mul_u32_u24_e32 v15, 0x10001, v15
	v_ldexp_f32 v1, v1, v2
	s_wait_alu 0xfffd
	s_delay_alu instid0(VALU_DEP_1) | instskip(NEXT) | instid1(VALU_DEP_1)
	v_dual_cndmask_b32 v1, 0, v1 :: v_dual_and_b32 v2, 0xffff, v24
	v_mul_u32_u24_e32 v2, 0x10001, v2
	v_add_f32_e32 v10, v10, v11
	v_cmp_nlt_f32_e32 vcc_lo, 0x42b17218, v0
	s_delay_alu instid0(VALU_DEP_3)
	v_pk_mul_f16 v18, v20, v2
	v_pk_mul_f16 v2, v21, v2
	v_and_b32_e32 v21, 0xffff, v44
	s_wait_alu 0xfffd
	v_cndmask_b32_e32 v0, 0x7f800000, v1, vcc_lo
	v_lshrrev_b32_e32 v20, 16, v25
	s_delay_alu instid0(VALU_DEP_2) | instskip(NEXT) | instid1(VALU_DEP_2)
	v_cvt_f16_f32_e32 v1, v0
	v_mul_u32_u24_e32 v20, 0x10001, v20
	v_fmac_f32_e32 v10, v3, v0
	s_delay_alu instid0(VALU_DEP_3) | instskip(NEXT) | instid1(VALU_DEP_2)
	v_dual_mov_b32 v0, 32 :: v_dual_and_b32 v1, 0xffff, v1
	v_mov_b32_e32 v3, v10
	s_delay_alu instid0(VALU_DEP_2) | instskip(NEXT) | instid1(VALU_DEP_1)
	v_mul_u32_u24_e32 v1, 0x10001, v1
	v_pk_fma_f16 v18, v39, v1, v18
	v_pk_fma_f16 v1, v41, v1, v2
	s_delay_alu instid0(VALU_DEP_2) | instskip(NEXT) | instid1(VALU_DEP_2)
	v_pk_fma_f16 v2, v22, v15, v18
	v_pk_fma_f16 v1, v23, v15, v1
	v_and_b32_e32 v18, 0xffff, v26
	v_lshrrev_b32_e32 v15, 16, v26
	v_mul_u32_u24_e32 v26, 0x10001, v21
	v_pk_fma_f16 v2, v46, v19, v2
	v_pk_fma_f16 v1, v47, v19, v1
	v_mul_u32_u24_e32 v18, 0x10001, v18
	v_and_b32_e32 v19, 0xffff, v27
	v_mul_u32_u24_e32 v15, 0x10001, v15
	v_pk_fma_f16 v2, v48, v20, v2
	v_pk_fma_f16 v1, v49, v20, v1
	v_lshrrev_b32_e32 v20, 16, v27
	v_mul_u32_u24_e32 v19, 0x10001, v19
	v_lshrrev_b32_e32 v23, 16, v44
	v_pk_fma_f16 v2, v50, v18, v2
	v_pk_fma_f16 v1, v51, v18, v1
	v_and_b32_e32 v18, 0xffff, v28
	v_mul_u32_u24_e32 v20, 0x10001, v20
	v_mul_u32_u24_e32 v27, 0x10001, v23
	v_pk_fma_f16 v2, v52, v15, v2
	v_pk_fma_f16 v1, v53, v15, v1
	v_lshrrev_b32_e32 v15, 16, v28
	v_mul_u32_u24_e32 v18, 0x10001, v18
	v_lshrrev_b32_e32 v28, 16, v45
	v_pk_fma_f16 v2, v54, v19, v2
	v_pk_fma_f16 v1, v55, v19, v1
	v_and_b32_e32 v19, 0xffff, v29
	v_mul_u32_u24_e32 v15, 0x10001, v15
	s_delay_alu instid0(VALU_DEP_4) | instskip(NEXT) | instid1(VALU_DEP_4)
	v_pk_fma_f16 v2, v56, v20, v2
	v_pk_fma_f16 v1, v57, v20, v1
	v_lshrrev_b32_e32 v20, 16, v29
	v_mul_u32_u24_e32 v19, 0x10001, v19
	s_delay_alu instid0(VALU_DEP_4) | instskip(NEXT) | instid1(VALU_DEP_4)
	v_pk_fma_f16 v2, v58, v18, v2
	v_pk_fma_f16 v1, v59, v18, v1
	v_and_b32_e32 v18, 0xffff, v30
	v_mul_u32_u24_e32 v20, 0x10001, v20
	s_delay_alu instid0(VALU_DEP_4) | instskip(NEXT) | instid1(VALU_DEP_4)
	v_pk_fma_f16 v2, v60, v15, v2
	v_pk_fma_f16 v1, v61, v15, v1
	v_lshrrev_b32_e32 v15, 16, v30
	v_mul_u32_u24_e32 v18, 0x10001, v18
	s_delay_alu instid0(VALU_DEP_4) | instskip(NEXT) | instid1(VALU_DEP_4)
	;; [unrolled: 10-line block ×5, first 2 shown]
	v_pk_fma_f16 v2, v74, v18, v2
	v_pk_fma_f16 v1, v75, v18, v1
	v_and_b32_e32 v18, 0xffff, v34
	v_mul_u32_u24_e32 v20, 0x10001, v20
	s_delay_alu instid0(VALU_DEP_4) | instskip(NEXT) | instid1(VALU_DEP_4)
	v_pk_fma_f16 v2, v76, v15, v2
	v_pk_fma_f16 v1, v77, v15, v1
	v_lshrrev_b32_e32 v15, 16, v34
	v_mul_u32_u24_e32 v18, 0x10001, v18
	v_mul_u32_u24_e32 v34, 0x10001, v28
	v_pk_fma_f16 v2, v78, v19, v2
	v_pk_fma_f16 v1, v79, v19, v1
	v_and_b32_e32 v19, 0xffff, v35
	v_mul_u32_u24_e32 v15, 0x10001, v15
	s_delay_alu instid0(VALU_DEP_4) | instskip(NEXT) | instid1(VALU_DEP_4)
	v_pk_fma_f16 v2, v80, v20, v2
	v_pk_fma_f16 v1, v81, v20, v1
	v_lshrrev_b32_e32 v20, 16, v35
	v_mul_u32_u24_e32 v19, 0x10001, v19
	s_delay_alu instid0(VALU_DEP_4) | instskip(NEXT) | instid1(VALU_DEP_4)
	v_pk_fma_f16 v2, v82, v18, v2
	v_pk_fma_f16 v1, v83, v18, v1
	v_and_b32_e32 v18, 0xffff, v42
	v_mul_u32_u24_e32 v20, 0x10001, v20
	s_delay_alu instid0(VALU_DEP_4) | instskip(NEXT) | instid1(VALU_DEP_4)
	v_pk_fma_f16 v2, v84, v15, v2
	v_pk_fma_f16 v1, v85, v15, v1
	v_lshrrev_b32_e32 v15, 16, v42
	v_mul_u32_u24_e32 v18, 0x10001, v18
	s_delay_alu instid0(VALU_DEP_4) | instskip(NEXT) | instid1(VALU_DEP_4)
	;; [unrolled: 10-line block ×3, first 2 shown]
	v_pk_fma_f16 v2, v90, v18, v2
	v_pk_fma_f16 v1, v91, v18, v1
	s_delay_alu instid0(VALU_DEP_4) | instskip(NEXT) | instid1(VALU_DEP_3)
	v_mul_u32_u24_e32 v24, 0x10001, v20
	v_pk_fma_f16 v2, v92, v15, v2
	s_delay_alu instid0(VALU_DEP_3) | instskip(SKIP_1) | instid1(VALU_DEP_3)
	v_pk_fma_f16 v1, v93, v15, v1
	v_and_b32_e32 v15, 0xffff, v45
	v_pk_fma_f16 v2, v94, v22, v2
	s_delay_alu instid0(VALU_DEP_3) | instskip(NEXT) | instid1(VALU_DEP_3)
	v_pk_fma_f16 v1, v95, v22, v1
	v_mul_u32_u24_e32 v15, 0x10001, v15
	s_delay_alu instid0(VALU_DEP_3) | instskip(NEXT) | instid1(VALU_DEP_3)
	v_pk_fma_f16 v2, v96, v24, v2
	v_pk_fma_f16 v1, v97, v24, v1
	s_delay_alu instid0(VALU_DEP_2) | instskip(NEXT) | instid1(VALU_DEP_2)
	v_pk_fma_f16 v2, v98, v26, v2
	v_pk_fma_f16 v1, v99, v26, v1
	s_delay_alu instid0(VALU_DEP_2) | instskip(NEXT) | instid1(VALU_DEP_2)
	;; [unrolled: 3-line block ×4, first 2 shown]
	v_pk_fma_f16 v2, v104, v34, v2
	v_pk_fma_f16 v1, v105, v34, v1
	s_wait_loadcnt_dscnt 0x0
	ds_store_b128 v120, v[106:109]
	flat_load_b128 v[106:109], v[110:111]
	s_wait_loadcnt_dscnt 0x0
	ds_store_b128 v122, v[106:109]
	s_wait_storecnt_dscnt 0x0
	s_barrier_signal -1
	s_barrier_wait -1
	global_inv scope:SCOPE_SE
	ds_load_b128 v[18:21], v12 offset:10304
	ds_load_2addr_b64 v[22:25], v38 offset1:32
	ds_load_b128 v[26:29], v12 offset:10320
	ds_load_2addr_b64 v[30:33], v38 offset0:64 offset1:96
	ds_load_2addr_b64 v[39:42], v38 offset0:128 offset1:160
	s_wait_dscnt 0x4
	v_and_b32_e32 v35, 0xffff, v18
	v_lshrrev_b32_e32 v15, 16, v18
	v_and_b32_e32 v34, 0xffff, v19
	s_delay_alu instid0(VALU_DEP_3) | instskip(NEXT) | instid1(VALU_DEP_3)
	v_mul_u32_u24_e32 v18, 0x10001, v35
	v_mul_u32_u24_e32 v15, 0x10001, v15
	s_wait_dscnt 0x2
	v_and_b32_e32 v35, 0xffff, v26
	v_lshrrev_b32_e32 v26, 16, v26
	v_pk_fma_f16 v2, v22, v18, v2
	v_pk_fma_f16 v1, v23, v18, v1
	v_lshrrev_b32_e32 v18, 16, v19
	v_mul_u32_u24_e32 v19, 0x10001, v34
	v_mul_u32_u24_e32 v26, 0x10001, v26
	v_pk_fma_f16 v2, v24, v15, v2
	v_pk_fma_f16 v1, v25, v15, v1
	ds_load_2addr_b64 v[22:25], v38 offset0:192 offset1:224
	v_and_b32_e32 v15, 0xffff, v20
	v_mul_u32_u24_e32 v18, 0x10001, v18
	s_wait_dscnt 0x2
	v_pk_fma_f16 v2, v30, v19, v2
	v_pk_fma_f16 v1, v31, v19, v1
	v_lshrrev_b32_e32 v19, 16, v20
	v_mul_u32_u24_e32 v15, 0x10001, v15
	s_delay_alu instid0(VALU_DEP_4) | instskip(NEXT) | instid1(VALU_DEP_4)
	v_pk_fma_f16 v2, v32, v18, v2
	v_pk_fma_f16 v1, v33, v18, v1
	ds_load_2addr_b64 v[30:33], v121 offset1:32
	v_and_b32_e32 v18, 0xffff, v21
	v_mul_u32_u24_e32 v19, 0x10001, v19
	s_wait_dscnt 0x2
	v_pk_fma_f16 v2, v39, v15, v2
	v_pk_fma_f16 v1, v40, v15, v1
	v_lshrrev_b32_e32 v15, 16, v21
	v_mul_u32_u24_e32 v34, 0x10001, v18
	s_delay_alu instid0(VALU_DEP_4) | instskip(NEXT) | instid1(VALU_DEP_4)
	v_pk_fma_f16 v2, v41, v19, v2
	v_pk_fma_f16 v1, v42, v19, v1
	ds_load_2addr_b64 v[18:21], v121 offset0:64 offset1:96
	v_mul_u32_u24_e32 v15, 0x10001, v15
	ds_load_b128 v[38:41], v12 offset:10336
	ds_load_b128 v[42:45], v12 offset:10352
	s_wait_dscnt 0x4
	v_pk_fma_f16 v2, v22, v34, v2
	v_pk_fma_f16 v1, v23, v34, v1
	v_mul_u32_u24_e32 v34, 0x10001, v35
	v_lshrrev_b32_e32 v12, 16, v29
	s_delay_alu instid0(VALU_DEP_4) | instskip(NEXT) | instid1(VALU_DEP_4)
	v_pk_fma_f16 v2, v24, v15, v2
	v_pk_fma_f16 v1, v25, v15, v1
	ds_load_2addr_b64 v[22:25], v121 offset0:128 offset1:160
	v_and_b32_e32 v15, 0xffff, v27
	v_lshrrev_b32_e32 v27, 16, v27
	s_wait_dscnt 0x4
	v_pk_fma_f16 v2, v30, v34, v2
	v_pk_fma_f16 v1, v31, v34, v1
	v_mul_u32_u24_e32 v12, 0x10001, v12
	v_mul_u32_u24_e32 v15, 0x10001, v15
	;; [unrolled: 1-line block ×3, first 2 shown]
	v_pk_fma_f16 v2, v32, v26, v2
	v_pk_fma_f16 v1, v33, v26, v1
	ds_load_2addr_b64 v[30:33], v121 offset0:192 offset1:224
	v_and_b32_e32 v26, 0xffff, v28
	s_wait_dscnt 0x4
	v_pk_fma_f16 v2, v18, v15, v2
	v_pk_fma_f16 v1, v19, v15, v1
	v_lshrrev_b32_e32 v15, 16, v28
	v_mul_u32_u24_e32 v26, 0x10001, v26
	s_delay_alu instid0(VALU_DEP_4) | instskip(NEXT) | instid1(VALU_DEP_4)
	v_pk_fma_f16 v2, v20, v27, v2
	v_pk_fma_f16 v1, v21, v27, v1
	ds_load_2addr_b64 v[18:21], v14 offset1:32
	v_and_b32_e32 v27, 0xffff, v29
	v_mul_u32_u24_e32 v15, 0x10001, v15
	s_wait_dscnt 0x2
	v_pk_fma_f16 v2, v22, v26, v2
	v_pk_fma_f16 v1, v23, v26, v1
	v_mul_u32_u24_e32 v26, 0x10001, v27
	s_delay_alu instid0(VALU_DEP_3) | instskip(NEXT) | instid1(VALU_DEP_3)
	v_pk_fma_f16 v2, v24, v15, v2
	v_pk_fma_f16 v1, v25, v15, v1
	ds_load_2addr_b64 v[22:25], v14 offset0:64 offset1:96
	v_and_b32_e32 v15, 0xffff, v38
	s_wait_dscnt 0x2
	v_pk_fma_f16 v2, v30, v26, v2
	v_pk_fma_f16 v1, v31, v26, v1
	v_lshrrev_b32_e32 v30, 16, v38
	v_mul_u32_u24_e32 v15, 0x10001, v15
	ds_load_2addr_b64 v[26:29], v14 offset0:128 offset1:160
	v_pk_fma_f16 v2, v32, v12, v2
	v_pk_fma_f16 v1, v33, v12, v1
	v_and_b32_e32 v12, 0xffff, v39
	v_mul_u32_u24_e32 v30, 0x10001, v30
	s_wait_dscnt 0x2
	v_pk_fma_f16 v2, v18, v15, v2
	v_pk_fma_f16 v1, v19, v15, v1
	v_lshrrev_b32_e32 v15, 16, v39
	v_mul_u32_u24_e32 v12, 0x10001, v12
	s_delay_alu instid0(VALU_DEP_4) | instskip(NEXT) | instid1(VALU_DEP_4)
	v_pk_fma_f16 v2, v20, v30, v2
	v_pk_fma_f16 v1, v21, v30, v1
	ds_load_2addr_b64 v[18:21], v14 offset0:192 offset1:224
	v_and_b32_e32 v14, 0xffff, v40
	v_mul_u32_u24_e32 v15, 0x10001, v15
	s_wait_dscnt 0x2
	v_pk_fma_f16 v2, v22, v12, v2
	v_pk_fma_f16 v1, v23, v12, v1
	v_lshrrev_b32_e32 v12, 16, v40
	v_mul_u32_u24_e32 v14, 0x10001, v14
	s_delay_alu instid0(VALU_DEP_4) | instskip(NEXT) | instid1(VALU_DEP_4)
	v_pk_fma_f16 v2, v24, v15, v2
	v_pk_fma_f16 v1, v25, v15, v1
	ds_load_2addr_b64 v[22:25], v13 offset1:32
	v_and_b32_e32 v15, 0xffff, v41
	v_mul_u32_u24_e32 v12, 0x10001, v12
	s_wait_dscnt 0x2
	v_pk_fma_f16 v2, v26, v14, v2
	v_pk_fma_f16 v1, v27, v14, v1
	v_lshrrev_b32_e32 v14, 16, v41
	v_mul_u32_u24_e32 v15, 0x10001, v15
	s_delay_alu instid0(VALU_DEP_4) | instskip(NEXT) | instid1(VALU_DEP_4)
	v_pk_fma_f16 v2, v28, v12, v2
	v_pk_fma_f16 v1, v29, v12, v1
	ds_load_2addr_b64 v[26:29], v13 offset0:64 offset1:96
	v_and_b32_e32 v12, 0xffff, v42
	v_mul_u32_u24_e32 v14, 0x10001, v14
	s_wait_dscnt 0x2
	v_pk_fma_f16 v2, v18, v15, v2
	v_pk_fma_f16 v1, v19, v15, v1
	v_lshrrev_b32_e32 v15, 16, v42
	v_mul_u32_u24_e32 v12, 0x10001, v12
	s_delay_alu instid0(VALU_DEP_4) | instskip(NEXT) | instid1(VALU_DEP_4)
	v_pk_fma_f16 v2, v20, v14, v2
	v_pk_fma_f16 v1, v21, v14, v1
	ds_load_2addr_b64 v[18:21], v13 offset0:128 offset1:160
	;; [unrolled: 11-line block ×3, first 2 shown]
	v_and_b32_e32 v24, 0xffff, v44
	v_mul_u32_u24_e32 v22, 0x10001, v22
	s_wait_dscnt 0x2
	v_pk_fma_f16 v2, v26, v23, v2
	v_pk_fma_f16 v1, v27, v23, v1
	v_lshrrev_b32_e32 v23, 16, v44
	v_mul_u32_u24_e32 v24, 0x10001, v24
	s_wait_loadcnt_dscnt 0x0
	v_pk_fma_f16 v2, v28, v22, v2
	v_pk_fma_f16 v1, v29, v22, v1
	v_and_b32_e32 v22, 0xffff, v45
	v_mul_u32_u24_e32 v23, 0x10001, v23
	s_barrier_signal -1
	v_pk_fma_f16 v2, v18, v24, v2
	v_pk_fma_f16 v1, v19, v24, v1
	v_lshrrev_b32_e32 v18, 16, v45
	v_mul_u32_u24_e32 v19, 0x10001, v22
	s_barrier_wait -1
	v_pk_fma_f16 v2, v20, v23, v2
	v_pk_fma_f16 v1, v21, v23, v1
	v_mul_u32_u24_e32 v11, 0x10001, v18
	v_mov_b32_e32 v18, v9
	global_inv scope:SCOPE_SE
	v_pk_fma_f16 v2, v12, v19, v2
	v_pk_fma_f16 v1, v13, v19, v1
	s_delay_alu instid0(VALU_DEP_2) | instskip(NEXT) | instid1(VALU_DEP_2)
	v_pk_fma_f16 v39, v14, v11, v2
	v_pk_fma_f16 v41, v15, v11, v1
.LBB90_47:
	v_cmp_lt_i32_e32 vcc_lo, v5, v0
	s_cmp_eq_u64 s[12:13], 0
	s_cselect_b32 s2, -1, 0
	s_cmp_lg_u32 s8, 0
	s_wait_alu 0xfffd
	v_cndmask_b32_e32 v1, v37, v5, vcc_lo
	v_cmp_lt_i32_e32 vcc_lo, v4, v0
	s_cselect_b32 s3, -1, 0
	s_wait_alu 0xfffe
	s_or_b32 s2, s3, s2
	s_wait_alu 0xfffd
	v_cndmask_b32_e32 v2, v37, v4, vcc_lo
	v_cmp_lt_i32_e32 vcc_lo, v6, v0
	s_delay_alu instid0(VALU_DEP_2)
	v_lshlrev_b32_e32 v2, 2, v2
	v_lshlrev_b32_e32 v1, 2, v1
	ds_bpermute_b32 v1, v1, v3
	s_wait_dscnt 0x0
	v_add_f32_e32 v1, v3, v1
	s_wait_alu 0xfffd
	v_cndmask_b32_e32 v3, v37, v6, vcc_lo
	v_cmp_lt_i32_e32 vcc_lo, v7, v0
	ds_bpermute_b32 v2, v2, v1
	v_lshlrev_b32_e32 v3, 2, v3
	s_wait_dscnt 0x0
	v_add_f32_e32 v1, v1, v2
	ds_bpermute_b32 v2, v3, v1
	s_wait_alu 0xfffd
	v_cndmask_b32_e32 v3, v37, v7, vcc_lo
	v_cmp_lt_i32_e32 vcc_lo, v8, v0
	s_wait_alu 0xfffd
	s_delay_alu instid0(VALU_DEP_2) | instskip(SKIP_3) | instid1(VALU_DEP_1)
	v_dual_cndmask_b32 v0, v37, v8 :: v_dual_lshlrev_b32 v3, 2, v3
	s_wait_alu 0xfffe
	s_and_b32 vcc_lo, exec_lo, s2
	s_wait_dscnt 0x0
	v_dual_add_f32 v1, v1, v2 :: v_dual_lshlrev_b32 v0, 2, v0
	ds_bpermute_b32 v2, v3, v1
	s_wait_dscnt 0x0
	v_add_f32_e32 v1, v1, v2
	ds_bpermute_b32 v0, v0, v1
	s_wait_dscnt 0x0
	v_add_f32_e32 v19, v1, v0
	s_wait_alu 0xfffe
	s_cbranch_vccnz .LBB90_49
; %bb.48:
	v_dual_mov_b32 v0, 0 :: v_dual_max_num_f32 v1, v18, v18
	s_lshl_b64 s[2:3], s[30:31], 2
	s_wait_alu 0xfffe
	s_add_nc_u64 s[2:3], s[12:13], s[2:3]
	global_load_b32 v0, v0, s[2:3]
	s_wait_loadcnt 0x0
	v_max_num_f32_e32 v2, v0, v0
	s_delay_alu instid0(VALU_DEP_1) | instskip(NEXT) | instid1(VALU_DEP_1)
	v_max_num_f32_e32 v1, v1, v2
	v_sub_f32_e32 v0, v0, v1
	s_delay_alu instid0(VALU_DEP_1) | instskip(SKIP_2) | instid1(VALU_DEP_3)
	v_mul_f32_e32 v6, 0x3fb8aa3b, v0
	v_sub_f32_e32 v2, v18, v1
	v_mov_b32_e32 v18, v1
	v_rndne_f32_e32 v8, v6
	s_delay_alu instid0(VALU_DEP_3) | instskip(NEXT) | instid1(VALU_DEP_1)
	v_mul_f32_e32 v3, 0x3fb8aa3b, v2
	v_fma_f32 v4, 0x3fb8aa3b, v2, -v3
	v_rndne_f32_e32 v5, v3
	s_delay_alu instid0(VALU_DEP_1) | instskip(SKIP_1) | instid1(VALU_DEP_2)
	v_dual_fmac_f32 v4, 0x32a5705f, v2 :: v_dual_sub_f32 v3, v3, v5
	v_cvt_i32_f32_e32 v5, v5
	v_add_f32_e32 v3, v3, v4
	v_cmp_ngt_f32_e32 vcc_lo, 0xc2ce8ed0, v2
	v_sub_f32_e32 v4, v6, v8
	s_delay_alu instid0(VALU_DEP_3) | instskip(NEXT) | instid1(TRANS32_DEP_1)
	v_exp_f32_e32 v3, v3
	v_ldexp_f32 v3, v3, v5
	v_cvt_i32_f32_e32 v5, v8
	s_wait_alu 0xfffd
	s_delay_alu instid0(VALU_DEP_2) | instskip(SKIP_2) | instid1(VALU_DEP_2)
	v_cndmask_b32_e32 v3, 0, v3, vcc_lo
	v_fma_f32 v7, 0x3fb8aa3b, v0, -v6
	v_cmp_nlt_f32_e32 vcc_lo, 0x42b17218, v2
	v_fmac_f32_e32 v7, 0x32a5705f, v0
	s_wait_alu 0xfffd
	v_cndmask_b32_e32 v2, 0x7f800000, v3, vcc_lo
	v_cmp_ngt_f32_e32 vcc_lo, 0xc2ce8ed0, v0
	s_delay_alu instid0(VALU_DEP_3) | instskip(NEXT) | instid1(VALU_DEP_1)
	v_add_f32_e32 v4, v4, v7
	v_exp_f32_e32 v4, v4
	s_delay_alu instid0(TRANS32_DEP_1) | instskip(SKIP_1) | instid1(VALU_DEP_1)
	v_ldexp_f32 v4, v4, v5
	s_wait_alu 0xfffd
	v_cndmask_b32_e32 v3, 0, v4, vcc_lo
	v_cmp_nlt_f32_e32 vcc_lo, 0x42b17218, v0
	s_wait_alu 0xfffd
	s_delay_alu instid0(VALU_DEP_2) | instskip(NEXT) | instid1(VALU_DEP_1)
	v_cndmask_b32_e32 v0, 0x7f800000, v3, vcc_lo
	v_fmac_f32_e32 v0, v19, v2
	s_delay_alu instid0(VALU_DEP_1) | instskip(SKIP_1) | instid1(VALU_DEP_1)
	v_mov_b32_e32 v19, v0
	v_cvt_f16_f32_e32 v4, v2
	v_and_b32_e32 v3, 0xffff, v4
	s_delay_alu instid0(VALU_DEP_1) | instskip(NEXT) | instid1(VALU_DEP_1)
	v_mul_u32_u24_e32 v2, 0x10001, v3
	v_pk_mul_f16 v39, v39, v2
	v_pk_mul_f16 v41, v41, v2
.LBB90_49:
	s_mov_b32 s2, exec_lo
	v_cmpx_gt_i32_e64 s22, v16
	s_cbranch_execz .LBB90_52
; %bb.50:
	v_div_scale_f32 v3, null, v19, v19, 1.0
	s_load_b32 s1, s[0:1], 0xd4
	v_div_scale_f32 v5, vcc_lo, 1.0, v19, 1.0
	v_rcp_f32_e32 v4, v3
	v_cvt_f32_f16_e32 v7, v41
	v_cmp_eq_u32_e64 s0, 0, v17
	s_delay_alu instid0(TRANS32_DEP_1) | instskip(NEXT) | instid1(VALU_DEP_1)
	v_fma_f32 v0, -v3, v4, 1.0
	v_fmac_f32_e32 v4, v0, v4
	v_mad_co_u64_u32 v[0:1], null, s28, s22, v[16:17]
	s_wait_kmcnt 0x0
	s_cmp_lg_u32 s1, 1
	s_delay_alu instid0(VALU_DEP_2) | instskip(NEXT) | instid1(VALU_DEP_2)
	v_mul_f32_e32 v6, v5, v4
	v_mad_co_u64_u32 v[0:1], null, v0, s23, s[30:31]
	s_delay_alu instid0(VALU_DEP_2) | instskip(NEXT) | instid1(VALU_DEP_1)
	v_fma_f32 v2, -v3, v6, v5
	v_fmac_f32_e32 v6, v2, v4
	s_delay_alu instid0(VALU_DEP_3) | instskip(SKIP_2) | instid1(VALU_DEP_3)
	v_mad_co_u64_u32 v[0:1], null, s1, v0, s[8:9]
	v_mov_b32_e32 v2, 0
	s_cselect_b32 s1, -1, 0
	v_fma_f32 v1, -v3, v6, v5
	v_lshrrev_b32_e32 v5, 16, v39
	v_cvt_f32_f16_e32 v3, v39
	s_wait_alu 0xfffe
	s_and_b32 s0, s0, s1
	s_wait_alu 0xfffd
	v_div_fmas_f32 v4, v1, v4, v6
	v_lshl_add_u32 v1, v0, 7, v36
	v_lshrrev_b32_e32 v6, 16, v41
	v_cvt_f32_f16_e32 v8, v5
	s_delay_alu instid0(VALU_DEP_4) | instskip(NEXT) | instid1(VALU_DEP_4)
	v_div_fixup_f32 v4, v4, v19, 1.0
	v_lshlrev_b64_e32 v[1:2], 2, v[1:2]
	s_delay_alu instid0(VALU_DEP_4) | instskip(NEXT) | instid1(VALU_DEP_3)
	v_cvt_f32_f16_e32 v9, v6
	v_cndmask_b32_e64 v4, v4, 1.0, s1
	s_delay_alu instid0(VALU_DEP_3) | instskip(SKIP_1) | instid1(VALU_DEP_4)
	v_add_co_u32 v5, vcc_lo, s16, v1
	s_wait_alu 0xfffd
	v_add_co_ci_u32_e64 v6, null, s17, v2, vcc_lo
	s_delay_alu instid0(VALU_DEP_3)
	v_mul_f32_e32 v1, v4, v3
	v_mul_f32_e32 v2, v4, v8
	;; [unrolled: 1-line block ×4, first 2 shown]
	global_store_b128 v[5:6], v[1:4], off
	s_wait_alu 0xfffe
	s_and_b32 exec_lo, exec_lo, s0
	s_cbranch_execz .LBB90_52
; %bb.51:
	v_ashrrev_i32_e32 v1, 31, v0
	s_delay_alu instid0(VALU_DEP_1) | instskip(NEXT) | instid1(VALU_DEP_1)
	v_lshlrev_b64_e32 v[0:1], 3, v[0:1]
	v_add_co_u32 v0, vcc_lo, s18, v0
	s_wait_alu 0xfffd
	s_delay_alu instid0(VALU_DEP_2)
	v_add_co_ci_u32_e64 v1, null, s19, v1, vcc_lo
	global_store_b64 v[0:1], v[18:19], off
.LBB90_52:
	s_nop 0
	s_sendmsg sendmsg(MSG_DEALLOC_VGPRS)
	s_endpgm
	.section	.rodata,"a",@progbits
	.p2align	6, 0x0
	.amdhsa_kernel _ZL15flash_attn_tileILi128ELi128ELi4ELi1ELb1EEvPKcS1_S1_S1_S1_PKiPfP15HIP_vector_typeIfLj2EEffffjfiS5_IjLj3EEiiiiiiiiiiiliiliiiiil
		.amdhsa_group_segment_fixed_size 10752
		.amdhsa_private_segment_fixed_size 32
		.amdhsa_kernarg_size 464
		.amdhsa_user_sgpr_count 2
		.amdhsa_user_sgpr_dispatch_ptr 0
		.amdhsa_user_sgpr_queue_ptr 0
		.amdhsa_user_sgpr_kernarg_segment_ptr 1
		.amdhsa_user_sgpr_dispatch_id 0
		.amdhsa_user_sgpr_private_segment_size 0
		.amdhsa_wavefront_size32 1
		.amdhsa_uses_dynamic_stack 0
		.amdhsa_enable_private_segment 1
		.amdhsa_system_sgpr_workgroup_id_x 1
		.amdhsa_system_sgpr_workgroup_id_y 1
		.amdhsa_system_sgpr_workgroup_id_z 1
		.amdhsa_system_sgpr_workgroup_info 0
		.amdhsa_system_vgpr_workitem_id 1
		.amdhsa_next_free_vgpr 154
		.amdhsa_next_free_sgpr 48
		.amdhsa_reserve_vcc 1
		.amdhsa_float_round_mode_32 0
		.amdhsa_float_round_mode_16_64 0
		.amdhsa_float_denorm_mode_32 3
		.amdhsa_float_denorm_mode_16_64 3
		.amdhsa_fp16_overflow 0
		.amdhsa_workgroup_processor_mode 1
		.amdhsa_memory_ordered 1
		.amdhsa_forward_progress 1
		.amdhsa_inst_pref_size 130
		.amdhsa_round_robin_scheduling 0
		.amdhsa_exception_fp_ieee_invalid_op 0
		.amdhsa_exception_fp_denorm_src 0
		.amdhsa_exception_fp_ieee_div_zero 0
		.amdhsa_exception_fp_ieee_overflow 0
		.amdhsa_exception_fp_ieee_underflow 0
		.amdhsa_exception_fp_ieee_inexact 0
		.amdhsa_exception_int_div_zero 0
	.end_amdhsa_kernel
	.section	.text._ZL15flash_attn_tileILi128ELi128ELi4ELi1ELb1EEvPKcS1_S1_S1_S1_PKiPfP15HIP_vector_typeIfLj2EEffffjfiS5_IjLj3EEiiiiiiiiiiiliiliiiiil,"axG",@progbits,_ZL15flash_attn_tileILi128ELi128ELi4ELi1ELb1EEvPKcS1_S1_S1_S1_PKiPfP15HIP_vector_typeIfLj2EEffffjfiS5_IjLj3EEiiiiiiiiiiiliiliiiiil,comdat
.Lfunc_end90:
	.size	_ZL15flash_attn_tileILi128ELi128ELi4ELi1ELb1EEvPKcS1_S1_S1_S1_PKiPfP15HIP_vector_typeIfLj2EEffffjfiS5_IjLj3EEiiiiiiiiiiiliiliiiiil, .Lfunc_end90-_ZL15flash_attn_tileILi128ELi128ELi4ELi1ELb1EEvPKcS1_S1_S1_S1_PKiPfP15HIP_vector_typeIfLj2EEffffjfiS5_IjLj3EEiiiiiiiiiiiliiliiiiil
                                        ; -- End function
	.set _ZL15flash_attn_tileILi128ELi128ELi4ELi1ELb1EEvPKcS1_S1_S1_S1_PKiPfP15HIP_vector_typeIfLj2EEffffjfiS5_IjLj3EEiiiiiiiiiiiliiliiiiil.num_vgpr, 154
	.set _ZL15flash_attn_tileILi128ELi128ELi4ELi1ELb1EEvPKcS1_S1_S1_S1_PKiPfP15HIP_vector_typeIfLj2EEffffjfiS5_IjLj3EEiiiiiiiiiiiliiliiiiil.num_agpr, 0
	.set _ZL15flash_attn_tileILi128ELi128ELi4ELi1ELb1EEvPKcS1_S1_S1_S1_PKiPfP15HIP_vector_typeIfLj2EEffffjfiS5_IjLj3EEiiiiiiiiiiiliiliiiiil.numbered_sgpr, 48
	.set _ZL15flash_attn_tileILi128ELi128ELi4ELi1ELb1EEvPKcS1_S1_S1_S1_PKiPfP15HIP_vector_typeIfLj2EEffffjfiS5_IjLj3EEiiiiiiiiiiiliiliiiiil.num_named_barrier, 0
	.set _ZL15flash_attn_tileILi128ELi128ELi4ELi1ELb1EEvPKcS1_S1_S1_S1_PKiPfP15HIP_vector_typeIfLj2EEffffjfiS5_IjLj3EEiiiiiiiiiiiliiliiiiil.private_seg_size, 32
	.set _ZL15flash_attn_tileILi128ELi128ELi4ELi1ELb1EEvPKcS1_S1_S1_S1_PKiPfP15HIP_vector_typeIfLj2EEffffjfiS5_IjLj3EEiiiiiiiiiiiliiliiiiil.uses_vcc, 1
	.set _ZL15flash_attn_tileILi128ELi128ELi4ELi1ELb1EEvPKcS1_S1_S1_S1_PKiPfP15HIP_vector_typeIfLj2EEffffjfiS5_IjLj3EEiiiiiiiiiiiliiliiiiil.uses_flat_scratch, 1
	.set _ZL15flash_attn_tileILi128ELi128ELi4ELi1ELb1EEvPKcS1_S1_S1_S1_PKiPfP15HIP_vector_typeIfLj2EEffffjfiS5_IjLj3EEiiiiiiiiiiiliiliiiiil.has_dyn_sized_stack, 0
	.set _ZL15flash_attn_tileILi128ELi128ELi4ELi1ELb1EEvPKcS1_S1_S1_S1_PKiPfP15HIP_vector_typeIfLj2EEffffjfiS5_IjLj3EEiiiiiiiiiiiliiliiiiil.has_recursion, 0
	.set _ZL15flash_attn_tileILi128ELi128ELi4ELi1ELb1EEvPKcS1_S1_S1_S1_PKiPfP15HIP_vector_typeIfLj2EEffffjfiS5_IjLj3EEiiiiiiiiiiiliiliiiiil.has_indirect_call, 0
	.section	.AMDGPU.csdata,"",@progbits
; Kernel info:
; codeLenInByte = 16532
; TotalNumSgprs: 50
; NumVgprs: 154
; ScratchSize: 32
; MemoryBound: 0
; FloatMode: 240
; IeeeMode: 1
; LDSByteSize: 10752 bytes/workgroup (compile time only)
; SGPRBlocks: 0
; VGPRBlocks: 19
; NumSGPRsForWavesPerEU: 50
; NumVGPRsForWavesPerEU: 154
; Occupancy: 9
; WaveLimiterHint : 1
; COMPUTE_PGM_RSRC2:SCRATCH_EN: 1
; COMPUTE_PGM_RSRC2:USER_SGPR: 2
; COMPUTE_PGM_RSRC2:TRAP_HANDLER: 0
; COMPUTE_PGM_RSRC2:TGID_X_EN: 1
; COMPUTE_PGM_RSRC2:TGID_Y_EN: 1
; COMPUTE_PGM_RSRC2:TGID_Z_EN: 1
; COMPUTE_PGM_RSRC2:TIDIG_COMP_CNT: 1
	.section	.text._ZL15flash_attn_tileILi128ELi128ELi2ELi1ELb1EEvPKcS1_S1_S1_S1_PKiPfP15HIP_vector_typeIfLj2EEffffjfiS5_IjLj3EEiiiiiiiiiiiliiliiiiil,"axG",@progbits,_ZL15flash_attn_tileILi128ELi128ELi2ELi1ELb1EEvPKcS1_S1_S1_S1_PKiPfP15HIP_vector_typeIfLj2EEffffjfiS5_IjLj3EEiiiiiiiiiiiliiliiiiil,comdat
	.globl	_ZL15flash_attn_tileILi128ELi128ELi2ELi1ELb1EEvPKcS1_S1_S1_S1_PKiPfP15HIP_vector_typeIfLj2EEffffjfiS5_IjLj3EEiiiiiiiiiiiliiliiiiil ; -- Begin function _ZL15flash_attn_tileILi128ELi128ELi2ELi1ELb1EEvPKcS1_S1_S1_S1_PKiPfP15HIP_vector_typeIfLj2EEffffjfiS5_IjLj3EEiiiiiiiiiiiliiliiiiil
	.p2align	8
	.type	_ZL15flash_attn_tileILi128ELi128ELi2ELi1ELb1EEvPKcS1_S1_S1_S1_PKiPfP15HIP_vector_typeIfLj2EEffffjfiS5_IjLj3EEiiiiiiiiiiiliiliiiiil,@function
_ZL15flash_attn_tileILi128ELi128ELi2ELi1ELb1EEvPKcS1_S1_S1_S1_PKiPfP15HIP_vector_typeIfLj2EEffffjfiS5_IjLj3EEiiiiiiiiiiiliiliiiiil: ; @_ZL15flash_attn_tileILi128ELi128ELi2ELi1ELb1EEvPKcS1_S1_S1_S1_PKiPfP15HIP_vector_typeIfLj2EEffffjfiS5_IjLj3EEiiiiiiiiiiiliiliiiiil
; %bb.0:
	s_clause 0x1
	s_load_b128 s[20:23], s[0:1], 0x5c
	s_load_b64 s[2:3], s[0:1], 0x80
	s_lshr_b32 s6, ttmp7, 16
	s_load_b64 s[38:39], s[0:1], 0xb8
	s_mov_b32 s37, 0
	s_mov_b64 s[34:35], 0
	s_wait_kmcnt 0x0
	s_cvt_f32_u32 s4, s23
	s_sub_co_i32 s5, 0, s23
	s_delay_alu instid0(SALU_CYCLE_2) | instskip(NEXT) | instid1(TRANS32_DEP_1)
	v_rcp_iflag_f32_e32 v1, s4
	v_readfirstlane_b32 s4, v1
	s_mul_f32 s4, s4, 0x4f7ffffe
	s_wait_alu 0xfffe
	s_delay_alu instid0(SALU_CYCLE_2) | instskip(SKIP_1) | instid1(SALU_CYCLE_2)
	s_cvt_u32_f32 s4, s4
	s_wait_alu 0xfffe
	s_mul_i32 s5, s5, s4
	s_wait_alu 0xfffe
	s_mul_hi_u32 s5, s4, s5
	s_wait_alu 0xfffe
	s_add_co_i32 s4, s4, s5
	s_wait_alu 0xfffe
	s_mul_hi_u32 s4, s6, s4
	s_wait_alu 0xfffe
	s_mul_i32 s5, s4, s23
	s_add_co_i32 s7, s4, 1
	s_wait_alu 0xfffe
	s_sub_co_i32 s5, s6, s5
	s_wait_alu 0xfffe
	s_sub_co_i32 s8, s5, s23
	s_cmp_ge_u32 s5, s23
	s_cselect_b32 s4, s7, s4
	s_cselect_b32 s5, s8, s5
	s_wait_alu 0xfffe
	s_add_co_i32 s7, s4, 1
	s_cmp_ge_u32 s5, s23
	s_cselect_b32 s28, s7, s4
	s_abs_i32 s4, s3
	s_abs_i32 s9, s23
	s_wait_alu 0xfffe
	s_cvt_f32_u32 s5, s4
	s_sub_co_i32 s7, 0, s4
	s_mul_i32 s8, s28, s23
	s_xor_b32 s3, s23, s3
	s_wait_alu 0xfffe
	v_rcp_iflag_f32_e32 v1, s5
	s_sub_co_i32 s30, s6, s8
	s_ashr_i32 s3, s3, 31
	s_delay_alu instid0(TRANS32_DEP_1) | instskip(SKIP_2) | instid1(SALU_CYCLE_2)
	v_readfirstlane_b32 s5, v1
	s_mul_f32 s5, s5, 0x4f7ffffe
	s_wait_alu 0xfffe
	s_cvt_u32_f32 s5, s5
	s_wait_alu 0xfffe
	s_delay_alu instid0(SALU_CYCLE_2) | instskip(NEXT) | instid1(SALU_CYCLE_1)
	s_mul_i32 s7, s7, s5
	s_mul_hi_u32 s7, s5, s7
	s_delay_alu instid0(SALU_CYCLE_1)
	s_add_co_i32 s5, s5, s7
	s_wait_alu 0xfffe
	s_mul_hi_u32 s5, s9, s5
	s_wait_alu 0xfffe
	s_mul_i32 s6, s5, s4
	s_add_co_i32 s7, s5, 1
	s_sub_co_i32 s6, s9, s6
	s_delay_alu instid0(SALU_CYCLE_1)
	s_sub_co_i32 s8, s6, s4
	s_cmp_ge_u32 s6, s4
	s_cselect_b32 s5, s7, s5
	s_cselect_b32 s6, s8, s6
	s_wait_alu 0xfffe
	s_add_co_i32 s7, s5, 1
	s_cmp_ge_u32 s6, s4
	s_cselect_b32 s4, s7, s5
	s_abs_i32 s36, s30
	s_wait_alu 0xfffe
	s_xor_b32 s4, s4, s3
	s_wait_alu 0xfffe
	s_sub_co_i32 s29, s4, s3
	s_delay_alu instid0(SALU_CYCLE_1) | instskip(NEXT) | instid1(SALU_CYCLE_1)
	s_abs_i32 s3, s29
	s_cvt_f32_u32 s4, s3
	s_sub_co_i32 s25, 0, s3
	s_wait_alu 0xfffe
	s_delay_alu instid0(SALU_CYCLE_1) | instskip(SKIP_1) | instid1(TRANS32_DEP_1)
	v_rcp_iflag_f32_e32 v1, s4
	s_load_b512 s[4:19], s[0:1], 0x0
	v_readfirstlane_b32 s24, v1
	s_mul_f32 s24, s24, 0x4f7ffffe
	s_delay_alu instid0(SALU_CYCLE_3) | instskip(NEXT) | instid1(SALU_CYCLE_3)
	s_cvt_u32_f32 s24, s24
	s_mul_i32 s25, s25, s24
	s_delay_alu instid0(SALU_CYCLE_1) | instskip(NEXT) | instid1(SALU_CYCLE_1)
	s_mul_hi_u32 s25, s24, s25
	s_add_co_i32 s40, s24, s25
	s_wait_kmcnt 0x0
	s_cmp_eq_u64 s[10:11], 0
	s_cbranch_scc1 .LBB91_2
; %bb.1:
	s_abs_i32 s26, s38
	s_delay_alu instid0(SALU_CYCLE_1) | instskip(NEXT) | instid1(SALU_CYCLE_3)
	s_cvt_f32_u32 s24, s26
	v_rcp_iflag_f32_e32 v1, s24
	s_delay_alu instid0(TRANS32_DEP_1) | instskip(SKIP_2) | instid1(SALU_CYCLE_2)
	v_readfirstlane_b32 s24, v1
	s_mul_f32 s24, s24, 0x4f7ffffe
	s_wait_alu 0xfffe
	s_cvt_u32_f32 s27, s24
	s_sub_co_i32 s24, 0, s26
	s_wait_alu 0xfffe
	s_delay_alu instid0(SALU_CYCLE_1) | instskip(SKIP_4) | instid1(SALU_CYCLE_1)
	s_mul_i32 s24, s24, s27
	s_wait_alu 0xfffe
	s_mul_hi_u32 s31, s27, s24
	s_load_b64 s[24:25], s[0:1], 0xc8
	s_add_co_i32 s27, s27, s31
	s_mul_hi_u32 s27, s28, s27
	s_delay_alu instid0(SALU_CYCLE_1) | instskip(NEXT) | instid1(SALU_CYCLE_1)
	s_mul_i32 s27, s27, s26
	s_sub_co_i32 s27, s28, s27
	s_delay_alu instid0(SALU_CYCLE_1) | instskip(SKIP_2) | instid1(SALU_CYCLE_1)
	s_sub_co_i32 s31, s27, s26
	s_cmp_ge_u32 s27, s26
	s_cselect_b32 s27, s31, s27
	s_sub_co_i32 s31, s27, s26
	s_cmp_ge_u32 s27, s26
	s_cselect_b32 s26, s31, s27
	s_delay_alu instid0(SALU_CYCLE_1)
	s_ashr_i32 s27, s26, 31
	s_wait_kmcnt 0x0
	s_mul_u64 s[24:25], s[24:25], s[26:27]
	s_wait_alu 0xfffe
	s_add_nc_u64 s[34:35], s[10:11], s[24:25]
.LBB91_2:
	s_clause 0x1
	s_load_b128 s[24:27], s[0:1], 0x40
	s_load_b64 s[10:11], s[0:1], 0x50
	v_mov_b32_e32 v26, 1.0
	s_mov_b32 s41, s37
	s_wait_kmcnt 0x0
	s_cmp_le_f32 s25, 0
	s_cbranch_scc1 .LBB91_4
; %bb.3:
	v_sub_co_u32 v1, s10, s30, s10
	s_and_b32 s31, s10, exec_lo
	s_cselect_b32 s26, s26, s27
	s_add_co_i32 s27, s30, 1
	v_readfirstlane_b32 s25, v1
	s_lshl_b32 s25, s25, 1
	s_wait_alu 0xfffe
	s_or_b32 s25, s25, 1
	s_and_b32 s10, s10, exec_lo
	s_wait_alu 0xfffe
	s_cselect_b32 s10, s27, s25
	s_cmp_neq_f32 s26, 1.0
	s_wait_alu 0xfffe
	s_cvt_f32_i32 s10, s10
	s_wait_alu 0xfffe
	s_delay_alu instid0(SALU_CYCLE_2)
	s_cselect_b32 s25, s10, 1.0
	s_wait_alu 0xfffe
	s_cmp_neq_f32 s25, 0
	s_cselect_b32 s10, s26, 1.0
	s_wait_alu 0xfffe
	v_frexp_mant_f32_e64 v1, |s10|
	s_delay_alu instid0(VALU_DEP_1) | instskip(SKIP_3) | instid1(SALU_CYCLE_1)
	v_readfirstlane_b32 s26, v1
	v_cvt_f64_f32_e64 v[1:2], |s10|
	s_cmp_lt_f32 s26, 0x3f2aaaab
	s_cselect_b32 s27, -1, 0
	s_and_b32 s31, s27, exec_lo
	s_cselect_b32 s31, 2.0, 1.0
	s_wait_alu 0xfffe
	s_mul_f32 s26, s26, s31
	s_delay_alu instid0(SALU_CYCLE_3) | instskip(SKIP_2) | instid1(SALU_CYCLE_1)
	s_add_f32 s31, s26, 1.0
	s_add_f32 s38, s26, -1.0
	s_wait_alu 0xfffe
	v_s_rcp_f32 s33, s31
	s_add_f32 s44, s31, -1.0
	s_delay_alu instid0(SALU_CYCLE_3) | instskip(NEXT) | instid1(TRANS32_DEP_1)
	s_sub_f32 s26, s26, s44
	s_mul_f32 s42, s38, s33
	s_delay_alu instid0(SALU_CYCLE_3) | instskip(NEXT) | instid1(SALU_CYCLE_3)
	s_mul_f32 s43, s31, s42
	s_xor_b32 s45, s43, 0x80000000
	s_delay_alu instid0(VALU_DEP_1) | instskip(SKIP_1) | instid1(SALU_CYCLE_3)
	v_frexp_exp_i32_f64_e32 v1, v[1:2]
	s_fmac_f32 s45, s42, s31
	s_fmac_f32 s45, s42, s26
	s_delay_alu instid0(SALU_CYCLE_3) | instskip(NEXT) | instid1(SALU_CYCLE_3)
	s_add_f32 s26, s43, s45
	s_sub_f32 s31, s38, s26
	s_sub_f32 s43, s26, s43
	s_wait_alu 0xfffe
	s_delay_alu instid0(SALU_CYCLE_1) | instskip(NEXT) | instid1(SALU_CYCLE_1)
	s_sub_f32 s38, s38, s31
	s_sub_f32 s43, s43, s45
	s_delay_alu instid0(SALU_CYCLE_2) | instskip(NEXT) | instid1(SALU_CYCLE_3)
	s_sub_f32 s26, s38, s26
	s_add_f32 s26, s43, s26
	s_mov_b32 s43, 0x3e76c4e1
	s_delay_alu instid0(SALU_CYCLE_2) | instskip(NEXT) | instid1(SALU_CYCLE_3)
	s_add_f32 s26, s31, s26
	s_mul_f32 s26, s33, s26
	s_delay_alu instid0(SALU_CYCLE_3) | instskip(SKIP_1) | instid1(SALU_CYCLE_2)
	s_add_f32 s31, s42, s26
	s_wait_alu 0xfffe
	s_sub_f32 s33, s31, s42
	s_mul_f32 s38, s31, s31
	s_delay_alu instid0(SALU_CYCLE_2) | instskip(NEXT) | instid1(SALU_CYCLE_2)
	s_sub_f32 s26, s26, s33
	s_xor_b32 s33, s38, 0x80000000
	s_delay_alu instid0(SALU_CYCLE_1) | instskip(NEXT) | instid1(SALU_CYCLE_1)
	s_fmac_f32 s33, s31, s31
	s_add_f32 s42, s26, s26
	s_delay_alu instid0(SALU_CYCLE_3) | instskip(NEXT) | instid1(SALU_CYCLE_3)
	s_fmac_f32 s33, s31, s42
	s_add_f32 s42, s38, s33
	s_delay_alu instid0(SALU_CYCLE_3) | instskip(SKIP_1) | instid1(SALU_CYCLE_2)
	s_fmaak_f32 s43, s42, s43, 0x3e91f4c4
	s_sub_f32 s38, s42, s38
	s_fmaak_f32 s43, s42, s43, 0x3ecccdef
	s_delay_alu instid0(SALU_CYCLE_2) | instskip(SKIP_1) | instid1(SALU_CYCLE_1)
	s_sub_f32 s33, s33, s38
	s_mul_f32 s38, s31, s42
	s_mul_f32 s44, s42, s43
	s_delay_alu instid0(SALU_CYCLE_2) | instskip(NEXT) | instid1(SALU_CYCLE_2)
	s_xor_b32 s46, s38, 0x80000000
	s_xor_b32 s45, s44, 0x80000000
	s_fmac_f32 s46, s42, s31
	s_fmac_f32 s45, s42, s43
	s_delay_alu instid0(SALU_CYCLE_2) | instskip(NEXT) | instid1(SALU_CYCLE_2)
	s_fmac_f32 s46, s42, s26
	s_fmac_f32 s45, s33, s43
	s_delay_alu instid0(SALU_CYCLE_2) | instskip(NEXT) | instid1(SALU_CYCLE_2)
	s_fmac_f32 s46, s33, s31
	s_add_f32 s43, s44, s45
	s_delay_alu instid0(SALU_CYCLE_3) | instskip(SKIP_1) | instid1(SALU_CYCLE_2)
	s_sub_f32 s44, s43, s44
	s_add_f32 s47, s43, 0x3f2aaaaa
	s_sub_f32 s44, s45, s44
	s_delay_alu instid0(SALU_CYCLE_2) | instskip(NEXT) | instid1(SALU_CYCLE_2)
	s_add_f32 s45, s47, 0xbf2aaaaa
	s_add_f32 s42, s44, 0x31739010
	s_delay_alu instid0(SALU_CYCLE_2) | instskip(NEXT) | instid1(SALU_CYCLE_3)
	s_sub_f32 s43, s43, s45
	s_add_f32 s33, s42, s43
	s_add_f32 s42, s38, s46
	s_delay_alu instid0(SALU_CYCLE_2) | instskip(NEXT) | instid1(SALU_CYCLE_2)
	s_add_f32 s43, s47, s33
	s_sub_f32 s38, s42, s38
	s_delay_alu instid0(SALU_CYCLE_2) | instskip(SKIP_1) | instid1(SALU_CYCLE_1)
	s_mul_f32 s44, s42, s43
	s_sub_f32 s45, s47, s43
	s_sub_f32 s38, s46, s38
	s_delay_alu instid0(SALU_CYCLE_1) | instskip(NEXT) | instid1(SALU_CYCLE_1)
	s_xor_b32 s47, s44, 0x80000000
	s_add_f32 s33, s33, s45
	s_fmac_f32 s47, s42, s43
	v_readfirstlane_b32 s45, v1
	v_ldexp_f32 v1, s31, 1
	s_cmp_lg_u32 s27, 0
	s_fmac_f32 s47, s42, s33
	s_sub_co_ci_u32 s27, s45, 0
	s_delay_alu instid0(VALU_DEP_1) | instskip(NEXT) | instid1(SALU_CYCLE_1)
	v_readfirstlane_b32 s31, v1
	s_fmac_f32 s47, s38, s43
	s_cvt_f32_i32 s27, s27
	v_ldexp_f32 v1, s26, 1
	s_delay_alu instid0(SALU_CYCLE_1) | instskip(NEXT) | instid1(SALU_CYCLE_1)
	s_add_f32 s33, s44, s47
	s_mul_f32 s26, s27, 0x3f317218
	s_delay_alu instid0(VALU_DEP_1) | instskip(NEXT) | instid1(SALU_CYCLE_1)
	v_readfirstlane_b32 s43, v1
	s_add_f32 s38, s31, s33
	s_sub_f32 s42, s33, s44
	s_wait_alu 0xfffe
	s_xor_b32 s44, s26, 0x80000000
	s_sub_f32 s31, s38, s31
	s_sub_f32 s42, s47, s42
	s_fmamk_f32 s44, s27, 0x3f317218, s44
	s_wait_alu 0xfffe
	s_sub_f32 s31, s33, s31
	s_add_f32 s33, s43, s42
	s_fmamk_f32 s27, s27, 0xb102e308, s44
	s_wait_alu 0xfffe
	s_delay_alu instid0(SALU_CYCLE_1) | instskip(NEXT) | instid1(SALU_CYCLE_1)
	s_add_f32 s31, s33, s31
	s_add_f32 s33, s26, s27
	s_wait_alu 0xfffe
	s_delay_alu instid0(SALU_CYCLE_1) | instskip(NEXT) | instid1(SALU_CYCLE_1)
	s_add_f32 s42, s38, s31
	s_sub_f32 s26, s33, s26
	s_delay_alu instid0(SALU_CYCLE_2)
	s_add_f32 s43, s33, s42
	s_sub_f32 s38, s42, s38
	s_wait_alu 0xfffe
	s_sub_f32 s26, s27, s26
	s_sub_f32 s44, s43, s33
	s_sub_f32 s27, s31, s38
	s_delay_alu instid0(SALU_CYCLE_2) | instskip(SKIP_4) | instid1(SALU_CYCLE_3)
	s_sub_f32 s45, s43, s44
	s_sub_f32 s31, s42, s44
	s_wait_alu 0xfffe
	s_add_f32 s38, s26, s27
	s_sub_f32 s33, s33, s45
	s_add_f32 s31, s31, s33
	s_delay_alu instid0(SALU_CYCLE_1) | instskip(SKIP_1) | instid1(SALU_CYCLE_1)
	s_sub_f32 s33, s38, s26
	s_wait_alu 0xfffe
	s_add_f32 s31, s38, s31
	s_delay_alu instid0(SALU_CYCLE_1) | instskip(SKIP_4) | instid1(SALU_CYCLE_2)
	s_sub_f32 s38, s38, s33
	s_sub_f32 s27, s27, s33
	s_wait_alu 0xfffe
	s_add_f32 s42, s43, s31
	s_sub_f32 s26, s26, s38
	s_sub_f32 s33, s42, s43
	s_wait_alu 0xfffe
	s_delay_alu instid0(SALU_CYCLE_1) | instskip(NEXT) | instid1(SALU_CYCLE_1)
	s_add_f32 s26, s27, s26
	s_sub_f32 s27, s31, s33
	s_wait_alu 0xfffe
	s_delay_alu instid0(SALU_CYCLE_2) | instskip(SKIP_1) | instid1(SALU_CYCLE_2)
	s_add_f32 s26, s26, s27
	s_wait_alu 0xfffe
	s_add_f32 s27, s42, s26
	s_wait_alu 0xfffe
	s_delay_alu instid0(SALU_CYCLE_2) | instskip(SKIP_2) | instid1(SALU_CYCLE_1)
	s_mul_f32 s31, s25, s27
	s_sub_f32 s33, s27, s42
	s_wait_alu 0xfffe
	s_xor_b32 s38, s31, 0x80000000
	s_delay_alu instid0(SALU_CYCLE_1) | instskip(SKIP_2) | instid1(SALU_CYCLE_2)
	s_sub_f32 s26, s26, s33
	s_fmac_f32 s38, s25, s27
	s_wait_alu 0xfffe
	s_fmac_f32 s38, s25, s26
	v_cmp_class_f32_e64 s26, s31, 0x204
	s_delay_alu instid0(SALU_CYCLE_2) | instskip(SKIP_2) | instid1(SALU_CYCLE_1)
	s_add_f32 s27, s31, s38
	s_and_b32 s26, s26, exec_lo
	s_wait_alu 0xfffe
	s_sub_f32 s26, s27, s31
	s_cselect_b32 s27, s31, s27
	s_wait_alu 0xfffe
	s_and_b32 s31, s27, 0x7fffffff
	s_sub_f32 s26, s38, s26
	s_wait_alu 0xfffe
	s_cmp_neq_f32 s31, 0x7f800000
	s_delay_alu instid0(SALU_CYCLE_1)
	s_cselect_b32 s26, s26, 0
	s_cmp_eq_f32 s27, 0x42b17218
	s_cselect_b32 s31, 0x37000000, 0
	s_wait_alu 0xfffe
	s_sub_f32 s27, s27, s31
	s_add_f32 s26, s31, s26
	s_wait_alu 0xfffe
	s_delay_alu instid0(SALU_CYCLE_1) | instskip(NEXT) | instid1(SALU_CYCLE_3)
	s_mul_f32 s33, s27, 0x3fb8aa3b
	s_xor_b32 s38, s33, 0x80000000
	s_rndne_f32 s42, s33
	s_fmamk_f32 s38, s27, 0x3fb8aa3b, s38
	s_cmp_nlt_f32 s27, 0xc2ce8ed0
	s_delay_alu instid0(SALU_CYCLE_1) | instskip(NEXT) | instid1(SALU_CYCLE_1)
	s_sub_f32 s33, s33, s42
	s_fmamk_f32 s38, s27, 0x32a5705f, s38
	s_cselect_b32 vcc_lo, -1, 0
	s_cmp_ngt_f32 s27, 0x42b17218
	s_trunc_f32 s27, s25
	s_add_f32 s33, s33, s38
	s_cvt_i32_f32 s38, s42
	s_delay_alu instid0(SALU_CYCLE_2)
	v_s_exp_f32 s33, s33
	s_wait_alu 0xf1ff
	s_delay_alu instid0(TRANS32_DEP_1) | instid1(SALU_CYCLE_1)
	v_ldexp_f32 v1, s33, s38
	s_mul_f32 s33, s25, 0.5
	s_delay_alu instid0(VALU_DEP_1)
	v_cndmask_b32_e32 v1, 0, v1, vcc_lo
	s_cselect_b32 vcc_lo, -1, 0
	s_wait_alu 0xfffe
	s_cmp_eq_f32 s27, s25
	s_trunc_f32 s38, s33
	v_cndmask_b32_e32 v1, 0x7f800000, v1, vcc_lo
	s_cselect_b32 s42, -1, 0
	s_wait_alu 0xfffe
	s_cmp_neq_f32 s38, s33
	s_delay_alu instid0(VALU_DEP_1)
	v_fma_f32 v2, s26, v1, v1
	v_cmp_class_f32_e64 vcc_lo, v1, 0x204
	s_cselect_b32 s31, -1, 0
	s_wait_alu 0xfffe
	s_and_b32 s26, s42, s31
	s_wait_alu 0xfffd
	v_cndmask_b32_e32 v1, v2, v1, vcc_lo
	s_wait_alu 0xfffe
	s_and_b32 s31, s26, exec_lo
	s_cselect_b32 s31, s10, 1.0
	s_cmp_eq_f32 s27, s25
	v_cmp_class_f32_e64 s27, s10, 0x204
	s_wait_alu 0xfffe
	v_bfi_b32 v1, 0x7fffffff, v1, s31
	s_cselect_b32 vcc_lo, -1, 0
	s_cmp_lt_f32 s10, 0
	s_wait_alu 0xfffe
	s_delay_alu instid0(VALU_DEP_1) | instskip(SKIP_3) | instid1(VALU_DEP_1)
	v_cndmask_b32_e32 v2, 0x7fc00000, v1, vcc_lo
	s_cselect_b32 vcc_lo, -1, 0
	s_cmp_eq_f32 s10, 0
	s_wait_alu 0xfffe
	v_cndmask_b32_e32 v1, v1, v2, vcc_lo
	s_cselect_b32 s31, -1, 0
	s_wait_alu 0xfffe
	s_or_b32 vcc_lo, s31, s27
	s_cmp_lt_f32 s25, 0
	s_cselect_b32 s25, -1, 0
	s_wait_alu 0xfffe
	s_xor_b32 s25, s25, s31
	s_wait_alu 0xfffe
	s_and_b32 s25, s25, exec_lo
	s_cselect_b32 s25, 0, 0x7f800000
	s_and_b32 s26, s26, exec_lo
	s_cselect_b32 s26, s10, 0
	s_cmp_o_f32 s10, s10
	s_wait_alu 0xfffe
	v_mov_b32_e32 v2, s26
	s_delay_alu instid0(VALU_DEP_1) | instskip(NEXT) | instid1(VALU_DEP_1)
	v_bfi_b32 v2, 0x7fffffff, s25, v2
	v_cndmask_b32_e32 v1, v1, v2, vcc_lo
	s_cselect_b32 vcc_lo, -1, 0
	s_wait_alu 0xfffe
	s_delay_alu instid0(VALU_DEP_1)
	v_cndmask_b32_e32 v26, 0x7fc00000, v1, vcc_lo
.LBB91_4:
	v_bfe_u32 v25, v0, 10, 10
	s_load_b96 s[44:46], s[0:1], 0x70
	v_and_b32_e32 v0, 0x3ff, v0
	s_ashr_i32 s31, s30, 31
	v_mov_b32_e32 v31, 0
	v_lshl_add_u32 v1, ttmp9, 1, v25
	v_lshl_add_u32 v30, v25, 8, 0x1200
	v_lshlrev_b32_e32 v22, 3, v0
	s_delay_alu instid0(VALU_DEP_3) | instskip(NEXT) | instid1(VALU_DEP_2)
	v_mul_hi_u32 v2, s20, v1
	v_add_nc_u32_e32 v6, v30, v22
	s_delay_alu instid0(VALU_DEP_2) | instskip(SKIP_3) | instid1(VALU_DEP_1)
	v_add_nc_u32_e32 v2, v1, v2
	s_wait_kmcnt 0x0
	s_mul_i32 s20, s30, s45
	s_ashr_i32 s45, s44, 31
	v_lshrrev_b32_e32 v2, s21, v2
	s_lshr_b64 s[26:27], s[44:45], 2
	s_lshr_b32 s10, s45, 2
	s_wait_alu 0xfffe
	s_ashr_i32 s21, s20, 31
	v_mul_lo_u32 v2, v2, s22
	s_delay_alu instid0(VALU_DEP_1) | instskip(NEXT) | instid1(VALU_DEP_1)
	v_sub_nc_u32_e32 v29, v1, v2
	v_mad_co_u64_u32 v[2:3], null, s26, v29, 0
	s_mul_i32 s26, s28, s46
	s_wait_alu 0xfffe
	s_ashr_i32 s27, s26, 31
	s_wait_alu 0xfffe
	s_add_nc_u64 s[4:5], s[4:5], s[26:27]
	s_wait_alu 0xfffe
	s_add_nc_u64 s[4:5], s[4:5], s[20:21]
	v_mad_co_u64_u32 v[3:4], null, s10, v29, v[3:4]
	v_lshlrev_b32_e32 v4, 4, v0
	s_ashr_i32 s20, s29, 31
	s_mov_b32 s29, 0
	s_cmp_eq_u64 s[14:15], 0
	s_delay_alu instid0(VALU_DEP_2) | instskip(SKIP_1) | instid1(VALU_DEP_1)
	v_lshlrev_b64_e32 v[2:3], 2, v[2:3]
	s_wait_alu 0xfffe
	v_add_co_u32 v2, vcc_lo, s4, v2
	s_wait_alu 0xfffd
	s_delay_alu instid0(VALU_DEP_2)
	v_add_co_ci_u32_e64 v3, null, s5, v3, vcc_lo
	s_mul_u64 s[4:5], s[36:37], s[40:41]
	v_add_co_u32 v2, vcc_lo, v2, v4
	s_wait_alu 0xfffd
	v_add_co_ci_u32_e64 v3, null, 0, v3, vcc_lo
	global_load_b128 v[2:5], v[2:3], off
	s_wait_loadcnt 0x0
	v_fma_mixlo_f16 v3, s24, v3, 0
	v_fma_mixlo_f16 v2, s24, v2, 0
	;; [unrolled: 1-line block ×4, first 2 shown]
	s_delay_alu instid0(VALU_DEP_4) | instskip(NEXT) | instid1(VALU_DEP_4)
	v_lshlrev_b32_e32 v3, 16, v3
	v_and_b32_e32 v2, 0xffff, v2
	s_delay_alu instid0(VALU_DEP_4) | instskip(NEXT) | instid1(VALU_DEP_4)
	v_and_b32_e32 v4, 0xffff, v4
	v_lshlrev_b32_e32 v5, 16, v5
	s_delay_alu instid0(VALU_DEP_3) | instskip(NEXT) | instid1(VALU_DEP_2)
	v_or_b32_e32 v2, v3, v2
	v_or3_b32 v3, v5, v4, 0
	s_delay_alu instid0(VALU_DEP_2)
	v_or3_b32 v2, 0, 0, v2
	ds_store_b64 v6, v[2:3]
	s_wait_dscnt 0x0
	s_barrier_signal -1
	s_barrier_wait -1
	global_inv scope:SCOPE_SE
	s_cbranch_scc1 .LBB91_6
; %bb.5:
	s_load_b32 s2, s[0:1], 0xd0
	s_mov_b32 s25, s29
	s_wait_kmcnt 0x0
	s_mul_i32 s2, s2, s28
	s_delay_alu instid0(SALU_CYCLE_1)
	s_add_co_i32 s24, s2, ttmp9
	s_wait_alu 0xfffe
	s_lshl_b64 s[24:25], s[24:25], 2
	s_wait_alu 0xfffe
	s_add_nc_u64 s[14:15], s[14:15], s[24:25]
	s_load_b32 s2, s[14:15], 0x0
.LBB91_6:
	s_clause 0x2
	s_load_b64 s[14:15], s[0:1], 0x8c
	s_load_b128 s[24:27], s[0:1], 0x98
	s_load_b64 s[40:41], s[0:1], 0xa8
	s_mul_i32 s4, s5, s3
	s_ashr_i32 s10, s39, 1
	s_wait_alu 0xfffe
	s_sub_co_i32 s36, s36, s4
	s_xor_b32 s33, s31, s20
	s_add_co_i32 s37, s5, 1
	s_sub_co_i32 s38, s36, s3
	v_lshlrev_b32_e32 v20, 2, v0
	v_lshrrev_b32_e32 v34, 3, v0
	v_mul_u32_u24_e32 v32, 0x90, v0
	v_lshrrev_b32_e32 v28, 4, v0
	v_mbcnt_lo_u32_b32 v21, -1, 0
	v_and_b32_e32 v33, 28, v20
	v_and_b32_e32 v27, 60, v20
	s_wait_kmcnt 0x0
	s_ashr_i32 s4, s14, 2
	s_ashr_i32 s14, s26, 2
	s_cmp_ge_u32 s36, s3
	s_mul_u64 s[20:21], s[24:25], s[28:29]
	s_cselect_b32 s5, s37, s5
	s_wait_alu 0xfffe
	s_add_nc_u64 s[6:7], s[6:7], s[20:21]
	s_cselect_b32 s20, s38, s36
	s_add_co_i32 s21, s5, 1
	s_wait_alu 0xfffe
	s_cmp_ge_u32 s20, s3
	s_mul_u64 s[24:25], s[40:41], s[28:29]
	s_cselect_b32 s3, s21, s5
	s_wait_alu 0xfffe
	s_add_nc_u64 s[24:25], s[8:9], s[24:25]
	s_xor_b32 s5, s3, s33
	s_and_b32 s8, ttmp7, 0xffff
	s_wait_alu 0xfffe
	s_sub_co_i32 s5, s5, s33
	s_sub_co_i32 s3, s2, 32
	s_wait_alu 0xfffe
	s_mul_i32 s26, s5, s15
	s_mul_i32 s36, s5, s27
	s_lshl_b32 s20, s8, 5
	s_wait_alu 0xfffe
	s_ashr_i32 s27, s26, 31
	s_ashr_i32 s37, s36, 31
	s_cmp_ge_i32 s20, s3
	s_wait_alu 0xfffe
	s_add_nc_u64 s[6:7], s[6:7], s[26:27]
	s_add_nc_u64 s[24:25], s[24:25], s[36:37]
	s_cbranch_scc1 .LBB91_17
; %bb.7:
	v_lshl_add_u32 v2, v25, 2, v34
	v_lshl_add_u32 v8, v25, 1, v28
	s_ashr_i32 s5, s4, 31
	s_lshl_b32 s15, s4, 3
	s_cmp_lg_u64 s[34:35], 0
	v_mul_lo_u32 v5, s4, v2
	v_mul_lo_u32 v12, s14, v8
	s_cselect_b32 s9, -1, 0
	s_lshl_b32 s21, s14, 2
	v_mad_co_u64_u32 v[3:4], null, v29, s10, v[0:1]
	v_dual_mov_b32 v23, 0 :: v_dual_lshlrev_b32 v6, 2, v33
	s_delay_alu instid0(VALU_DEP_4) | instskip(SKIP_1) | instid1(VALU_DEP_4)
	v_dual_mov_b32 v24, 0 :: v_dual_add_nc_u32 v7, s15, v5
	s_wait_alu 0xfffe
	v_add_nc_u32_e32 v14, s21, v12
	v_dual_mov_b32 v49, 0xfeffffff :: v_dual_lshlrev_b32 v4, 2, v27
	s_delay_alu instid0(VALU_DEP_3) | instskip(SKIP_1) | instid1(VALU_DEP_4)
	v_add_nc_u32_e32 v9, s15, v7
	v_mad_u32_u24 v36, 0x90, v2, v6
	v_add_nc_u32_e32 v18, s21, v14
	s_delay_alu instid0(VALU_DEP_4)
	v_lshl_or_b32 v37, v8, 8, v4
	v_ashrrev_i32_e32 v6, 31, v5
	v_add_nc_u32_e32 v16, s15, v9
	v_ashrrev_i32_e32 v8, 31, v7
	v_add_nc_u32_e32 v47, s21, v18
	v_ashrrev_i32_e32 v10, 31, v9
	v_ashrrev_i32_e32 v13, 31, v12
	;; [unrolled: 1-line block ×6, first 2 shown]
	v_lshl_add_u32 v35, v25, 6, 0x1400
	v_lshlrev_b64_e32 v[4:5], 2, v[5:6]
	v_lshlrev_b64_e32 v[6:7], 2, v[7:8]
	;; [unrolled: 1-line block ×8, first 2 shown]
	v_add_nc_u32_e32 v38, 0x480, v36
	v_add_nc_u32_e32 v39, 0x900, v36
	;; [unrolled: 1-line block ×3, first 2 shown]
	v_lshl_add_u32 v41, v0, 1, v35
	v_add_nc_u32_e32 v42, 0x400, v37
	v_add_nc_u32_e32 v43, 0x800, v37
	;; [unrolled: 1-line block ×3, first 2 shown]
	v_lshlrev_b32_e32 v45, 2, v33
	v_lshlrev_b32_e32 v46, 2, v27
	v_mbcnt_lo_u32_b32 v47, -1, 0
	v_mov_b32_e32 v48, 0
	s_ashr_i32 s15, s14, 31
	s_add_nc_u64 s[26:27], s[0:1], 0xd0
	s_mov_b32 s29, 0xbbbac73d
.LBB91_8:                               ; =>This Inner Loop Header: Depth=1
	s_ashr_i32 s21, s20, 31
	s_wait_alu 0xfffe
	s_mul_u64 s[36:37], s[20:21], s[4:5]
	s_wait_alu 0xfffe
	s_lshl_b64 s[36:37], s[36:37], 2
	s_wait_alu 0xfffe
	s_add_nc_u64 s[36:37], s[6:7], s[36:37]
	s_wait_alu 0xfffe
	v_add_co_u32 v2, vcc_lo, s36, v4
	s_wait_alu 0xfffd
	v_add_co_ci_u32_e64 v31, null, s37, v5, vcc_lo
	v_add_co_u32 v50, vcc_lo, s36, v6
	s_wait_alu 0xfffd
	v_add_co_ci_u32_e64 v51, null, s37, v7, vcc_lo
	;; [unrolled: 3-line block ×8, first 2 shown]
	s_clause 0x3
	global_load_b128 v[50:53], v[66:67], off
	global_load_b128 v[54:57], v[68:69], off
	;; [unrolled: 1-line block ×4, first 2 shown]
	v_mov_b32_e32 v2, 0
                                        ; implicit-def: $vgpr31
	s_wait_loadcnt 0x3
	ds_store_b128 v36, v[50:53]
	s_wait_loadcnt 0x2
	ds_store_b128 v38, v[54:57]
	;; [unrolled: 2-line block ×4, first 2 shown]
	s_wait_dscnt 0x0
	s_barrier_signal -1
	s_barrier_wait -1
	global_inv scope:SCOPE_SE
	ds_load_b128 v[50:53], v32
	ds_load_b128 v[54:57], v30
	s_wait_dscnt 0x0
	;;#ASMSTART
	v_dot2_f32_f16 v2, v50, v54, v2
	;;#ASMEND
	;;#ASMSTART
	v_dot2_f32_f16 v2, v51, v55, v2
	;;#ASMEND
	;;#ASMSTART
	v_dot2_f32_f16 v2, v52, v56, v2
	;;#ASMEND
	;;#ASMSTART
	v_dot2_f32_f16 v2, v53, v57, v2
	;;#ASMEND
	ds_load_b128 v[50:53], v32 offset:16
	ds_load_b128 v[54:57], v30 offset:16
	s_wait_dscnt 0x0
	;;#ASMSTART
	v_dot2_f32_f16 v2, v50, v54, v2
	;;#ASMEND
	;;#ASMSTART
	v_dot2_f32_f16 v2, v51, v55, v2
	;;#ASMEND
	;;#ASMSTART
	v_dot2_f32_f16 v2, v52, v56, v2
	;;#ASMEND
	;;#ASMSTART
	v_dot2_f32_f16 v2, v53, v57, v2
	;;#ASMEND
	ds_load_b128 v[50:53], v32 offset:32
	ds_load_b128 v[54:57], v30 offset:32
	;; [unrolled: 15-line block ×7, first 2 shown]
	s_wait_dscnt 0x0
	;;#ASMSTART
	v_dot2_f32_f16 v2, v50, v54, v2
	;;#ASMEND
	;;#ASMSTART
	v_dot2_f32_f16 v2, v51, v55, v2
	;;#ASMEND
	;; [unrolled: 3-line block ×4, first 2 shown]
	s_wait_loadcnt 0x0
	s_barrier_signal -1
	s_barrier_wait -1
	global_inv scope:SCOPE_SE
	s_clause 0x3
	global_load_b128 v[50:53], v[66:67], off offset:128
	global_load_b128 v[54:57], v[68:69], off offset:128
	;; [unrolled: 1-line block ×4, first 2 shown]
	s_wait_loadcnt 0x3
	ds_store_b128 v36, v[50:53]
	s_wait_loadcnt 0x2
	ds_store_b128 v38, v[54:57]
	;; [unrolled: 2-line block ×4, first 2 shown]
	s_wait_dscnt 0x0
	s_barrier_signal -1
	s_barrier_wait -1
	global_inv scope:SCOPE_SE
	ds_load_b128 v[50:53], v32
	ds_load_b128 v[54:57], v30 offset:128
	s_wait_dscnt 0x0
	;;#ASMSTART
	v_dot2_f32_f16 v2, v50, v54, v2
	;;#ASMEND
	;;#ASMSTART
	v_dot2_f32_f16 v2, v51, v55, v2
	;;#ASMEND
	;;#ASMSTART
	v_dot2_f32_f16 v2, v52, v56, v2
	;;#ASMEND
	;;#ASMSTART
	v_dot2_f32_f16 v2, v53, v57, v2
	;;#ASMEND
	ds_load_b128 v[50:53], v32 offset:16
	ds_load_b128 v[54:57], v30 offset:144
	s_wait_dscnt 0x0
	;;#ASMSTART
	v_dot2_f32_f16 v2, v50, v54, v2
	;;#ASMEND
	;;#ASMSTART
	v_dot2_f32_f16 v2, v51, v55, v2
	;;#ASMEND
	;;#ASMSTART
	v_dot2_f32_f16 v2, v52, v56, v2
	;;#ASMEND
	;;#ASMSTART
	v_dot2_f32_f16 v2, v53, v57, v2
	;;#ASMEND
	ds_load_b128 v[50:53], v32 offset:32
	;; [unrolled: 15-line block ×7, first 2 shown]
	ds_load_b128 v[54:57], v30 offset:240
	s_wait_dscnt 0x0
	;;#ASMSTART
	v_dot2_f32_f16 v2, v50, v54, v2
	;;#ASMEND
	;;#ASMSTART
	v_dot2_f32_f16 v2, v51, v55, v2
	;;#ASMEND
	;; [unrolled: 3-line block ×4, first 2 shown]
	v_cmp_ngt_f32_e64 s33, 0x3f200000, |v2|
	s_and_saveexec_b32 s36, s33
	s_wait_alu 0xfffe
	s_xor_b32 s33, exec_lo, s36
	s_cbranch_execnz .LBB91_12
; %bb.9:                                ;   in Loop: Header=BB91_8 Depth=1
	s_wait_alu 0xfffe
	s_and_not1_saveexec_b32 s33, s33
	s_cbranch_execnz .LBB91_13
.LBB91_10:                              ;   in Loop: Header=BB91_8 Depth=1
	s_wait_alu 0xfffe
	s_or_b32 exec_lo, exec_lo, s33
	s_delay_alu instid0(SALU_CYCLE_1)
	s_and_not1_b32 vcc_lo, exec_lo, s9
	s_wait_alu 0xfffe
	s_cbranch_vccnz .LBB91_14
.LBB91_11:                              ;   in Loop: Header=BB91_8 Depth=1
	v_add_nc_u32_e32 v50, s20, v3
	s_delay_alu instid0(VALU_DEP_1) | instskip(NEXT) | instid1(VALU_DEP_1)
	v_ashrrev_i32_e32 v51, 31, v50
	v_lshlrev_b64_e32 v[50:51], 1, v[50:51]
	s_delay_alu instid0(VALU_DEP_1) | instskip(SKIP_1) | instid1(VALU_DEP_2)
	v_add_co_u32 v50, vcc_lo, s34, v50
	s_wait_alu 0xfffd
	v_add_co_ci_u32_e64 v51, null, s35, v51, vcc_lo
	global_load_u16 v50, v[50:51], off
	s_wait_loadcnt 0x0
	v_cvt_f32_f16_e32 v50, v50
	s_delay_alu instid0(VALU_DEP_1)
	v_mul_f32_e32 v50, v26, v50
	s_branch .LBB91_15
.LBB91_12:                              ;   in Loop: Header=BB91_8 Depth=1
	v_add_f32_e64 v31, |v2|, |v2|
	s_delay_alu instid0(VALU_DEP_1) | instskip(SKIP_1) | instid1(VALU_DEP_2)
	v_mul_f32_e32 v50, 0x3fb8aa3b, v31
	v_cmp_ngt_f32_e32 vcc_lo, 0xc2ce8ed0, v31
	v_rndne_f32_e32 v51, v50
	v_fma_f32 v52, 0x3fb8aa3b, v31, -v50
	s_delay_alu instid0(VALU_DEP_2) | instskip(NEXT) | instid1(VALU_DEP_2)
	v_sub_f32_e32 v50, v50, v51
	v_fmac_f32_e32 v52, 0x32a5705f, v31
	v_cvt_i32_f32_e32 v51, v51
	s_delay_alu instid0(VALU_DEP_2) | instskip(NEXT) | instid1(VALU_DEP_1)
	v_add_f32_e32 v50, v50, v52
	v_exp_f32_e32 v50, v50
	s_delay_alu instid0(TRANS32_DEP_1) | instskip(SKIP_1) | instid1(VALU_DEP_1)
	v_ldexp_f32 v50, v50, v51
	s_wait_alu 0xfffd
	v_cndmask_b32_e32 v50, 0, v50, vcc_lo
	v_cmp_nlt_f32_e32 vcc_lo, 0x42b17218, v31
	s_wait_alu 0xfffd
	s_delay_alu instid0(VALU_DEP_2) | instskip(NEXT) | instid1(VALU_DEP_1)
	v_cndmask_b32_e32 v31, 0x7f800000, v50, vcc_lo
	v_add_f32_e32 v31, 1.0, v31
	s_delay_alu instid0(VALU_DEP_1) | instskip(NEXT) | instid1(TRANS32_DEP_1)
	v_rcp_f32_e32 v31, v31
	v_fma_f32 v31, v31, -2.0, 1.0
	s_wait_alu 0xfffe
	s_and_not1_saveexec_b32 s33, s33
	s_cbranch_execz .LBB91_10
.LBB91_13:                              ;   in Loop: Header=BB91_8 Depth=1
	v_mul_f32_e32 v31, v2, v2
	s_delay_alu instid0(VALU_DEP_1) | instskip(NEXT) | instid1(VALU_DEP_1)
	v_fmaak_f32 v50, s29, v31, 0x3ca908c9
	v_fmaak_f32 v50, v31, v50, 0xbd5c1c4e
	s_delay_alu instid0(VALU_DEP_1) | instskip(NEXT) | instid1(VALU_DEP_1)
	v_fmaak_f32 v50, v31, v50, 0x3e088382
	v_fmaak_f32 v50, v31, v50, 0xbeaaaa99
	s_delay_alu instid0(VALU_DEP_1) | instskip(NEXT) | instid1(VALU_DEP_1)
	v_mul_f32_e64 v50, |v2|, v50
	v_fma_f32 v31, v31, v50, |v2|
	s_wait_alu 0xfffe
	s_or_b32 exec_lo, exec_lo, s33
	s_delay_alu instid0(SALU_CYCLE_1)
	s_and_not1_b32 vcc_lo, exec_lo, s9
	s_wait_alu 0xfffe
	s_cbranch_vccz .LBB91_11
.LBB91_14:                              ;   in Loop: Header=BB91_8 Depth=1
	v_mov_b32_e32 v50, 0
.LBB91_15:                              ;   in Loop: Header=BB91_8 Depth=1
	s_mul_u64 s[36:37], s[20:21], s[14:15]
	s_wait_loadcnt 0x0
	s_wait_alu 0xfffe
	s_lshl_b64 s[36:37], s[36:37], 2
	s_barrier_signal -1
	s_wait_alu 0xfffe
	s_add_nc_u64 s[36:37], s[24:25], s[36:37]
	s_barrier_wait -1
	s_wait_alu 0xfffe
	v_add_co_u32 v51, vcc_lo, s36, v12
	s_wait_alu 0xfffd
	v_add_co_ci_u32_e64 v52, null, s37, v13, vcc_lo
	v_add_co_u32 v53, vcc_lo, s36, v14
	s_wait_alu 0xfffd
	v_add_co_ci_u32_e64 v54, null, s37, v15, vcc_lo
	;; [unrolled: 3-line block ×8, first 2 shown]
	global_inv scope:SCOPE_SE
	s_clause 0x3
	global_load_b128 v[51:54], v[51:52], off
	global_load_b128 v[55:58], v[55:56], off
	;; [unrolled: 1-line block ×4, first 2 shown]
	v_bfi_b32 v2, 0x7fffffff, v31, v2
	v_xor_b32_e32 v31, 16, v47
	s_or_b32 s36, s20, 16
	v_add_nc_u32_e32 v106, 0x800, v22
	s_wait_alu 0xfffe
	s_ashr_i32 s37, s36, 31
	v_cmp_gt_i32_e32 vcc_lo, 32, v31
	v_fmac_f32_e32 v50, s11, v2
	s_wait_alu 0xfffe
	s_mul_u64 s[36:37], s[36:37], s[14:15]
	s_wait_alu 0xfffe
	s_lshl_b64 s[36:37], s[36:37], 2
	s_wait_alu 0xfffd
	v_dual_cndmask_b32 v31, v47, v31 :: v_dual_max_num_f32 v2, v49, v49
	v_add_f32_e32 v67, 0x40051340, v50
	s_wait_alu 0xfffe
	s_add_nc_u64 s[36:37], s[24:25], s[36:37]
	s_delay_alu instid0(VALU_DEP_2) | instskip(NEXT) | instid1(VALU_DEP_2)
	v_lshlrev_b32_e32 v31, 2, v31
	v_max_num_f32_e32 v2, v2, v67
	v_xor_b32_e32 v67, 8, v47
	ds_bpermute_b32 v31, v31, v2
	v_cmp_gt_i32_e32 vcc_lo, 32, v67
	s_wait_alu 0xfffd
	v_cndmask_b32_e32 v67, v47, v67, vcc_lo
	s_delay_alu instid0(VALU_DEP_1) | instskip(SKIP_2) | instid1(VALU_DEP_1)
	v_lshlrev_b32_e32 v67, 2, v67
	s_wait_dscnt 0x0
	v_max_num_f32_e32 v31, v31, v31
	v_max_num_f32_e32 v2, v2, v31
	ds_bpermute_b32 v31, v67, v2
	v_xor_b32_e32 v67, 4, v47
	s_delay_alu instid0(VALU_DEP_1) | instskip(SKIP_2) | instid1(VALU_DEP_1)
	v_cmp_gt_i32_e32 vcc_lo, 32, v67
	s_wait_alu 0xfffd
	v_cndmask_b32_e32 v67, v47, v67, vcc_lo
	v_lshlrev_b32_e32 v67, 2, v67
	s_wait_dscnt 0x0
	v_max_num_f32_e32 v31, v31, v31
	s_delay_alu instid0(VALU_DEP_1) | instskip(SKIP_2) | instid1(VALU_DEP_1)
	v_max_num_f32_e32 v2, v2, v31
	ds_bpermute_b32 v31, v67, v2
	v_xor_b32_e32 v67, 2, v47
	v_cmp_gt_i32_e32 vcc_lo, 32, v67
	s_wait_alu 0xfffd
	v_cndmask_b32_e32 v67, v47, v67, vcc_lo
	s_delay_alu instid0(VALU_DEP_1) | instskip(SKIP_2) | instid1(VALU_DEP_1)
	v_lshlrev_b32_e32 v67, 2, v67
	s_wait_dscnt 0x0
	v_max_num_f32_e32 v31, v31, v31
	v_max_num_f32_e32 v2, v2, v31
	ds_bpermute_b32 v31, v67, v2
	v_xor_b32_e32 v67, 1, v47
	s_delay_alu instid0(VALU_DEP_1)
	v_cmp_gt_i32_e32 vcc_lo, 32, v67
	s_wait_alu 0xfffd
	v_cndmask_b32_e32 v67, v47, v67, vcc_lo
	s_wait_alu 0xfffe
	v_add_co_u32 v69, vcc_lo, s36, v12
	s_wait_alu 0xfffd
	v_add_co_ci_u32_e64 v70, null, s37, v13, vcc_lo
	v_lshlrev_b32_e32 v67, 2, v67
	s_wait_dscnt 0x0
	v_max_num_f32_e32 v31, v31, v31
	s_delay_alu instid0(VALU_DEP_1) | instskip(SKIP_3) | instid1(VALU_DEP_1)
	v_max_num_f32_e32 v2, v2, v31
	ds_bpermute_b32 v31, v67, v2
	s_wait_dscnt 0x0
	v_max_num_f32_e32 v31, v31, v31
	v_max_num_f32_e32 v2, v2, v31
	s_delay_alu instid0(VALU_DEP_1) | instskip(NEXT) | instid1(VALU_DEP_1)
	v_sub_f32_e32 v31, v50, v2
	v_dual_sub_f32 v49, v49, v2 :: v_dual_mul_f32 v50, 0x3fb8aa3b, v31
	s_delay_alu instid0(VALU_DEP_1) | instskip(NEXT) | instid1(VALU_DEP_2)
	v_mul_f32_e32 v107, 0x3fb8aa3b, v49
	v_fma_f32 v67, 0x3fb8aa3b, v31, -v50
	v_rndne_f32_e32 v68, v50
	s_delay_alu instid0(VALU_DEP_3) | instskip(SKIP_1) | instid1(VALU_DEP_3)
	v_fma_f32 v108, 0x3fb8aa3b, v49, -v107
	v_rndne_f32_e32 v109, v107
	v_dual_fmac_f32 v67, 0x32a5705f, v31 :: v_dual_sub_f32 v50, v50, v68
	v_cvt_i32_f32_e32 v68, v68
	s_delay_alu instid0(VALU_DEP_4) | instskip(NEXT) | instid1(VALU_DEP_3)
	v_fmac_f32_e32 v108, 0x32a5705f, v49
	v_dual_sub_f32 v107, v107, v109 :: v_dual_add_f32 v50, v50, v67
	v_add_co_u32 v67, vcc_lo, s36, v14
	s_wait_alu 0xfffd
	v_add_co_ci_u32_e64 v71, null, s37, v15, vcc_lo
	s_delay_alu instid0(VALU_DEP_3)
	v_exp_f32_e32 v50, v50
	v_add_co_u32 v72, vcc_lo, s36, v16
	s_wait_alu 0xfffd
	v_add_co_ci_u32_e64 v73, null, s37, v17, vcc_lo
	v_add_co_u32 v74, vcc_lo, s36, v18
	s_wait_alu 0xfffd
	v_add_co_ci_u32_e64 v75, null, s37, v19, vcc_lo
	v_add_co_u32 v90, vcc_lo, v69, v46
	s_delay_alu instid0(TRANS32_DEP_1)
	v_ldexp_f32 v50, v50, v68
	s_wait_alu 0xfffd
	v_add_co_ci_u32_e64 v91, null, 0, v70, vcc_lo
	v_cmp_ngt_f32_e32 vcc_lo, 0xc2ce8ed0, v31
	v_add_f32_e32 v107, v107, v108
	v_cvt_i32_f32_e32 v108, v109
	s_wait_alu 0xfffd
	v_cndmask_b32_e32 v50, 0, v50, vcc_lo
	v_add_co_u32 v94, vcc_lo, v67, v46
	s_wait_alu 0xfffd
	v_add_co_ci_u32_e64 v95, null, 0, v71, vcc_lo
	v_cmp_nlt_f32_e32 vcc_lo, 0x42b17218, v31
	v_exp_f32_e32 v107, v107
	s_wait_alu 0xfffd
	v_cndmask_b32_e32 v31, 0x7f800000, v50, vcc_lo
	v_add_co_u32 v98, vcc_lo, v72, v46
	s_wait_alu 0xfffd
	v_add_co_ci_u32_e64 v99, null, 0, v73, vcc_lo
	s_delay_alu instid0(VALU_DEP_3)
	v_cvt_f16_f32_e32 v50, v31
	v_add_co_u32 v102, vcc_lo, v74, v46
	s_wait_alu 0xfffd
	v_add_co_ci_u32_e64 v103, null, 0, v75, vcc_lo
	v_ldexp_f32 v107, v107, v108
	v_cmp_ngt_f32_e32 vcc_lo, 0xc2ce8ed0, v49
	ds_store_b16 v41, v50
	s_wait_loadcnt 0x3
	ds_store_b128 v37, v[51:54]
	s_wait_loadcnt 0x2
	ds_store_b128 v42, v[55:58]
	;; [unrolled: 2-line block ×4, first 2 shown]
	s_wait_dscnt 0x0
	s_barrier_signal -1
	s_barrier_wait -1
	global_inv scope:SCOPE_SE
	ds_load_2addr_b64 v[50:53], v22 offset1:32
	ds_load_b128 v[54:57], v35
	ds_load_b128 v[58:61], v35 offset:16
	ds_load_2addr_b64 v[62:65], v22 offset0:64 offset1:96
	ds_load_2addr_b64 v[66:69], v22 offset0:128 offset1:160
	;; [unrolled: 1-line block ×3, first 2 shown]
	ds_load_2addr_b64 v[74:77], v106 offset1:32
	ds_load_2addr_b64 v[78:81], v106 offset0:64 offset1:96
	ds_load_2addr_b64 v[82:85], v106 offset0:128 offset1:160
	;; [unrolled: 1-line block ×3, first 2 shown]
	s_wait_loadcnt_dscnt 0x0
	s_barrier_signal -1
	s_barrier_wait -1
	global_inv scope:SCOPE_SE
	s_clause 0x3
	global_load_b128 v[90:93], v[90:91], off
	global_load_b128 v[94:97], v[94:95], off
	;; [unrolled: 1-line block ×4, first 2 shown]
	s_wait_alu 0xfffd
	v_cndmask_b32_e32 v107, 0, v107, vcc_lo
	v_cmp_nlt_f32_e32 vcc_lo, 0x42b17218, v49
	s_wait_loadcnt 0x3
	ds_store_b128 v37, v[90:93]
	s_wait_loadcnt 0x2
	ds_store_b128 v42, v[94:97]
	;; [unrolled: 2-line block ×4, first 2 shown]
	s_wait_alu 0xfffd
	v_cndmask_b32_e32 v107, 0x7f800000, v107, vcc_lo
	v_and_b32_e32 v108, 0xffff, v54
	v_lshrrev_b32_e32 v54, 16, v54
	v_and_b32_e32 v109, 0xffff, v55
	s_wait_dscnt 0x0
	v_cvt_f16_f32_e32 v49, v107
	v_mul_u32_u24_e32 v108, 0x10001, v108
	v_mul_u32_u24_e32 v54, 0x10001, v54
	s_barrier_signal -1
	s_barrier_wait -1
	v_and_b32_e32 v49, 0xffff, v49
	v_pk_mul_f16 v50, v50, v108
	v_pk_mul_f16 v51, v51, v108
	global_inv scope:SCOPE_SE
	v_fmac_f32_e32 v31, v48, v107
	v_mul_u32_u24_e32 v49, 0x10001, v49
	s_delay_alu instid0(VALU_DEP_1)
	v_pk_fma_f16 v23, v23, v49, v50
	v_pk_fma_f16 v24, v24, v49, v51
	v_lshrrev_b32_e32 v50, 16, v55
	v_mul_u32_u24_e32 v55, 0x10001, v109
	v_and_b32_e32 v49, 0xffff, v56
	v_pk_fma_f16 v23, v52, v54, v23
	v_pk_fma_f16 v24, v53, v54, v24
	v_mul_u32_u24_e32 v50, 0x10001, v50
	v_lshrrev_b32_e32 v51, 16, v56
	v_mul_u32_u24_e32 v49, 0x10001, v49
	v_pk_fma_f16 v23, v62, v55, v23
	v_pk_fma_f16 v24, v63, v55, v24
	v_and_b32_e32 v52, 0xffff, v57
	v_mul_u32_u24_e32 v51, 0x10001, v51
	v_and_b32_e32 v53, 0xffff, v60
	v_pk_fma_f16 v23, v64, v50, v23
	v_pk_fma_f16 v24, v65, v50, v24
	v_lshrrev_b32_e32 v50, 16, v57
	v_mul_u32_u24_e32 v52, 0x10001, v52
	v_lshrrev_b32_e32 v55, 16, v60
	v_pk_fma_f16 v23, v66, v49, v23
	v_pk_fma_f16 v24, v67, v49, v24
	v_and_b32_e32 v49, 0xffff, v58
	v_mul_u32_u24_e32 v50, 0x10001, v50
	v_mul_u32_u24_e32 v57, 0x10001, v53
	v_pk_fma_f16 v23, v68, v51, v23
	v_pk_fma_f16 v24, v69, v51, v24
	v_lshrrev_b32_e32 v51, 16, v58
	v_mul_u32_u24_e32 v49, 0x10001, v49
	v_and_b32_e32 v53, 0xffff, v61
	v_pk_fma_f16 v23, v70, v52, v23
	v_pk_fma_f16 v24, v71, v52, v24
	v_and_b32_e32 v52, 0xffff, v59
	v_mul_u32_u24_e32 v51, 0x10001, v51
	v_mul_u32_u24_e32 v58, 0x10001, v55
	v_pk_fma_f16 v23, v72, v50, v23
	v_pk_fma_f16 v24, v73, v50, v24
	v_lshrrev_b32_e32 v50, 16, v59
	v_mul_u32_u24_e32 v54, 0x10001, v52
	v_mul_u32_u24_e32 v65, 0x10001, v53
	v_pk_fma_f16 v23, v74, v49, v23
	v_pk_fma_f16 v24, v75, v49, v24
	v_mul_u32_u24_e32 v56, 0x10001, v50
	v_lshrrev_b32_e32 v59, 16, v61
	s_delay_alu instid0(VALU_DEP_4) | instskip(NEXT) | instid1(VALU_DEP_4)
	v_pk_fma_f16 v23, v76, v51, v23
	v_pk_fma_f16 v24, v77, v51, v24
	ds_load_b128 v[49:52], v35 offset:32
	v_mul_u32_u24_e32 v66, 0x10001, v59
	v_pk_fma_f16 v23, v78, v54, v23
	v_pk_fma_f16 v24, v79, v54, v24
	s_delay_alu instid0(VALU_DEP_2) | instskip(NEXT) | instid1(VALU_DEP_2)
	v_pk_fma_f16 v23, v80, v56, v23
	v_pk_fma_f16 v24, v81, v56, v24
	ds_load_2addr_b64 v[53:56], v22 offset1:32
	v_pk_fma_f16 v23, v82, v57, v23
	v_pk_fma_f16 v24, v83, v57, v24
	s_delay_alu instid0(VALU_DEP_2) | instskip(NEXT) | instid1(VALU_DEP_2)
	v_pk_fma_f16 v23, v84, v58, v23
	v_pk_fma_f16 v24, v85, v58, v24
	ds_load_b128 v[57:60], v35 offset:48
	ds_load_2addr_b64 v[61:64], v22 offset0:64 offset1:96
	s_wait_dscnt 0x3
	v_and_b32_e32 v67, 0xffff, v49
	v_lshrrev_b32_e32 v49, 16, v49
	v_pk_fma_f16 v23, v86, v65, v23
	v_pk_fma_f16 v24, v87, v65, v24
	v_and_b32_e32 v70, 0xffff, v50
	v_mul_u32_u24_e32 v69, 0x10001, v67
	v_mul_u32_u24_e32 v49, 0x10001, v49
	v_pk_fma_f16 v23, v88, v66, v23
	v_pk_fma_f16 v24, v89, v66, v24
	ds_load_2addr_b64 v[65:68], v22 offset0:128 offset1:160
	v_lshrrev_b32_e32 v50, 16, v50
	ds_load_2addr_b64 v[73:76], v106 offset0:128 offset1:160
	s_wait_dscnt 0x4
	v_pk_fma_f16 v23, v53, v69, v23
	v_pk_fma_f16 v24, v54, v69, v24
	v_mul_u32_u24_e32 v69, 0x10001, v70
	v_mul_u32_u24_e32 v50, 0x10001, v50
	s_delay_alu instid0(VALU_DEP_4) | instskip(NEXT) | instid1(VALU_DEP_4)
	v_pk_fma_f16 v23, v55, v49, v23
	v_pk_fma_f16 v24, v56, v49, v24
	ds_load_2addr_b64 v[53:56], v22 offset0:192 offset1:224
	v_and_b32_e32 v49, 0xffff, v51
	v_lshrrev_b32_e32 v51, 16, v51
	s_wait_dscnt 0x3
	v_pk_fma_f16 v23, v61, v69, v23
	v_pk_fma_f16 v24, v62, v69, v24
	ds_load_2addr_b64 v[69:72], v106 offset1:32
	v_mul_u32_u24_e32 v49, 0x10001, v49
	v_mul_u32_u24_e32 v51, 0x10001, v51
	v_pk_fma_f16 v23, v63, v50, v23
	v_pk_fma_f16 v24, v64, v50, v24
	v_and_b32_e32 v50, 0xffff, v52
	ds_load_2addr_b64 v[61:64], v106 offset0:64 offset1:96
	s_wait_dscnt 0x4
	v_pk_fma_f16 v23, v65, v49, v23
	v_pk_fma_f16 v24, v66, v49, v24
	v_lshrrev_b32_e32 v65, 16, v52
	v_mul_u32_u24_e32 v66, 0x10001, v50
	s_delay_alu instid0(VALU_DEP_4) | instskip(NEXT) | instid1(VALU_DEP_4)
	v_pk_fma_f16 v23, v67, v51, v23
	v_pk_fma_f16 v24, v68, v51, v24
	v_and_b32_e32 v67, 0xffff, v57
	v_mul_u32_u24_e32 v65, 0x10001, v65
	ds_load_2addr_b64 v[49:52], v106 offset0:192 offset1:224
	s_wait_dscnt 0x3
	v_pk_fma_f16 v23, v53, v66, v23
	v_pk_fma_f16 v24, v54, v66, v24
	v_lshrrev_b32_e32 v53, 16, v57
	v_mul_u32_u24_e32 v54, 0x10001, v67
	s_wait_loadcnt_dscnt 0x0
	v_pk_fma_f16 v23, v55, v65, v23
	v_pk_fma_f16 v24, v56, v65, v24
	v_and_b32_e32 v55, 0xffff, v58
	v_mul_u32_u24_e32 v53, 0x10001, v53
	s_barrier_signal -1
	v_pk_fma_f16 v23, v69, v54, v23
	v_pk_fma_f16 v24, v70, v54, v24
	v_lshrrev_b32_e32 v54, 16, v58
	v_mul_u32_u24_e32 v55, 0x10001, v55
	s_barrier_wait -1
	v_pk_fma_f16 v23, v71, v53, v23
	v_pk_fma_f16 v24, v72, v53, v24
	v_and_b32_e32 v53, 0xffff, v59
	v_mul_u32_u24_e32 v54, 0x10001, v54
	global_inv scope:SCOPE_SE
	v_pk_fma_f16 v23, v61, v55, v23
	v_pk_fma_f16 v24, v62, v55, v24
	s_load_b32 s21, s[26:27], 0x4
	v_lshrrev_b32_e32 v55, 16, v59
	v_mul_u32_u24_e32 v53, 0x10001, v53
	v_pk_fma_f16 v23, v63, v54, v23
	v_pk_fma_f16 v24, v64, v54, v24
	v_and_b32_e32 v54, 0xffff, v60
	v_mul_u32_u24_e32 v55, 0x10001, v55
	s_delay_alu instid0(VALU_DEP_4) | instskip(NEXT) | instid1(VALU_DEP_4)
	v_pk_fma_f16 v23, v73, v53, v23
	v_pk_fma_f16 v24, v74, v53, v24
	v_lshrrev_b32_e32 v53, 16, v60
	v_mul_u32_u24_e32 v54, 0x10001, v54
	s_delay_alu instid0(VALU_DEP_4) | instskip(NEXT) | instid1(VALU_DEP_4)
	v_pk_fma_f16 v23, v75, v55, v23
	v_pk_fma_f16 v24, v76, v55, v24
	s_delay_alu instid0(VALU_DEP_4) | instskip(NEXT) | instid1(VALU_DEP_3)
	v_mul_u32_u24_e32 v53, 0x10001, v53
	v_pk_fma_f16 v23, v49, v54, v23
	s_delay_alu instid0(VALU_DEP_3)
	v_pk_fma_f16 v24, v50, v54, v24
	s_wait_kmcnt 0x0
	s_lshl_b32 s21, s21, 5
	s_wait_alu 0xfffe
	s_add_co_i32 s20, s21, s20
	v_pk_fma_f16 v23, v51, v53, v23
	v_pk_fma_f16 v24, v52, v53, v24
	s_wait_alu 0xfffe
	s_cmp_lt_i32 s20, s3
	s_cbranch_scc0 .LBB91_18
; %bb.16:                               ;   in Loop: Header=BB91_8 Depth=1
	v_dual_mov_b32 v49, v2 :: v_dual_mov_b32 v48, v31
	s_branch .LBB91_8
.LBB91_17:
	v_dual_mov_b32 v24, 0 :: v_dual_mov_b32 v23, 0
	v_mov_b32_e32 v2, 0xfeffffff
.LBB91_18:
	s_cmp_gt_i32 s2, s20
	s_cbranch_scc1 .LBB91_21
; %bb.19:
	v_mbcnt_lo_u32_b32 v8, -1, 0
	v_mov_b32_e32 v10, 32
	s_delay_alu instid0(VALU_DEP_2)
	v_xor_b32_e32 v5, 16, v8
	v_xor_b32_e32 v3, 8, v8
	;; [unrolled: 1-line block ×5, first 2 shown]
	s_cbranch_execz .LBB91_22
; %bb.20:
	v_mov_b32_e32 v21, v8
	s_branch .LBB91_32
.LBB91_21:
                                        ; implicit-def: $vgpr8
                                        ; implicit-def: $vgpr10
                                        ; implicit-def: $vgpr5
                                        ; implicit-def: $vgpr3
                                        ; implicit-def: $vgpr4
                                        ; implicit-def: $vgpr6
                                        ; implicit-def: $vgpr7
.LBB91_22:
	v_lshl_add_u32 v10, v25, 2, v34
	s_ashr_i32 s21, s20, 31
	s_ashr_i32 s5, s4, 31
	s_sub_co_i32 s9, s2, s20
	s_wait_alu 0xfffe
	s_mul_u64 s[36:37], s[20:21], s[4:5]
	v_mul_lo_u32 v7, s4, v10
	s_wait_alu 0xfffe
	s_lshl_b64 s[2:3], s[36:37], 2
	s_mov_b32 s36, 0
	s_add_nc_u64 s[6:7], s[6:7], s[2:3]
	s_wait_alu 0xfffe
	s_mov_b32 s37, s36
	s_mov_b32 s38, s36
	v_dual_mov_b32 v12, s36 :: v_dual_lshlrev_b32 v11, 2, v33
	v_ashrrev_i32_e32 v8, 31, v7
	s_mov_b64 s[26:27], src_private_base
	s_wait_alu 0xfffe
	v_dual_mov_b32 v17, 0 :: v_dual_mov_b32 v14, s38
	v_dual_mov_b32 v13, s37 :: v_dual_add_nc_u32 v18, 8, v10
	v_lshlrev_b64_e32 v[3:4], 2, v[7:8]
	s_clause 0x1
	scratch_store_b32 off, v17, off
	scratch_store_b96 off, v[12:14], off offset:4
	s_lshl_b32 s4, s4, 3
	v_add_nc_u32_e32 v34, 16, v10
	s_wait_alu 0xfffe
	v_add_nc_u32_e32 v7, s4, v7
	v_add_co_u32 v3, vcc_lo, s6, v3
	s_wait_alu 0xfffd
	v_add_co_ci_u32_e64 v4, null, s7, v4, vcc_lo
	s_delay_alu instid0(VALU_DEP_3) | instskip(NEXT) | instid1(VALU_DEP_3)
	v_ashrrev_i32_e32 v8, 31, v7
	v_add_co_u32 v15, vcc_lo, v3, v11
	s_wait_alu 0xfffd
	s_delay_alu instid0(VALU_DEP_3)
	v_add_co_ci_u32_e64 v16, null, 0, v4, vcc_lo
	v_cmp_gt_i32_e32 vcc_lo, s9, v10
	v_lshlrev_b64_e32 v[8:9], 2, v[7:8]
	v_add_nc_u32_e32 v7, s4, v7
	s_wait_alu 0xfffd
	v_cndmask_b32_e32 v4, s27, v16, vcc_lo
	v_cndmask_b32_e32 v3, 0, v15, vcc_lo
	s_delay_alu instid0(VALU_DEP_4) | instskip(NEXT) | instid1(VALU_DEP_1)
	v_add_co_u32 v8, s2, s6, v8
	v_add_co_ci_u32_e64 v9, null, s7, v9, s2
	flat_load_b128 v[3:6], v[3:4]
	v_add_co_u32 v19, s2, v8, v11
	s_wait_alu 0xf1ff
	v_add_co_ci_u32_e64 v33, null, 0, v9, s2
	v_cmp_gt_i32_e64 s2, s9, v18
	v_mad_u32_u24 v18, 0x90, v10, v11
	s_clause 0x1
	scratch_store_b32 off, v17, off
	scratch_store_b96 off, v[12:14], off offset:4
	v_add_co_u32 v15, s5, 0x80, v15
	s_wait_alu 0xf1ff
	v_cndmask_b32_e64 v9, s27, v33, s2
	v_cndmask_b32_e64 v8, 0, v19, s2
	v_add_co_ci_u32_e64 v16, null, 0, v16, s5
	v_cndmask_b32_e32 v15, 0, v15, vcc_lo
	s_delay_alu instid0(VALU_DEP_2)
	v_cndmask_b32_e32 v16, s27, v16, vcc_lo
	s_wait_loadcnt_dscnt 0x0
	ds_store_b128 v18, v[3:6]
	flat_load_b128 v[3:6], v[8:9]
	v_ashrrev_i32_e32 v8, 31, v7
	s_clause 0x1
	scratch_store_b32 off, v17, off
	scratch_store_b96 off, v[12:14], off offset:4
	v_lshlrev_b64_e32 v[8:9], 2, v[7:8]
	v_add_nc_u32_e32 v7, s4, v7
	s_delay_alu instid0(VALU_DEP_2) | instskip(SKIP_1) | instid1(VALU_DEP_3)
	v_add_co_u32 v8, s3, s6, v8
	s_wait_alu 0xf1ff
	v_add_co_ci_u32_e64 v9, null, s7, v9, s3
	s_delay_alu instid0(VALU_DEP_2) | instskip(SKIP_1) | instid1(VALU_DEP_2)
	v_add_co_u32 v35, s3, v8, v11
	s_wait_alu 0xf1ff
	v_add_co_ci_u32_e64 v36, null, 0, v9, s3
	v_cmp_gt_i32_e64 s3, s9, v34
	s_wait_alu 0xf1ff
	s_delay_alu instid0(VALU_DEP_1)
	v_cndmask_b32_e64 v9, s27, v36, s3
	v_cndmask_b32_e64 v8, 0, v35, s3
	s_wait_loadcnt_dscnt 0x0
	ds_store_b128 v18, v[3:6] offset:1152
	flat_load_b128 v[3:6], v[8:9]
	v_ashrrev_i32_e32 v8, 31, v7
	v_add_nc_u32_e32 v9, 24, v10
	s_clause 0x1
	scratch_store_b32 off, v17, off
	scratch_store_b96 off, v[12:14], off offset:4
	v_lshlrev_b64_e32 v[7:8], 2, v[7:8]
	s_delay_alu instid0(VALU_DEP_1) | instskip(SKIP_1) | instid1(VALU_DEP_2)
	v_add_co_u32 v7, s4, s6, v7
	s_wait_alu 0xf1ff
	v_add_co_ci_u32_e64 v8, null, s7, v8, s4
	s_delay_alu instid0(VALU_DEP_2) | instskip(SKIP_1) | instid1(VALU_DEP_2)
	v_add_co_u32 v34, s4, v7, v11
	s_wait_alu 0xf1ff
	v_add_co_ci_u32_e64 v37, null, 0, v8, s4
	v_cmp_gt_i32_e64 s4, s9, v9
	s_wait_alu 0xf1ff
	s_delay_alu instid0(VALU_DEP_1)
	v_cndmask_b32_e64 v8, s27, v37, s4
	v_cndmask_b32_e64 v7, 0, v34, s4
	s_wait_loadcnt_dscnt 0x0
	ds_store_b128 v18, v[3:6] offset:2304
	flat_load_b128 v[3:6], v[7:8]
	s_wait_loadcnt_dscnt 0x0
	ds_store_b128 v18, v[3:6] offset:3456
	s_wait_storecnt_dscnt 0x0
	s_barrier_signal -1
	s_barrier_wait -1
	global_inv scope:SCOPE_SE
	ds_load_b128 v[4:7], v32
	ds_load_b128 v[8:11], v30
	v_mov_b32_e32 v3, 0
	s_wait_dscnt 0x0
	;;#ASMSTART
	v_dot2_f32_f16 v3, v4, v8, v3
	;;#ASMEND
	;;#ASMSTART
	v_dot2_f32_f16 v3, v5, v9, v3
	;;#ASMEND
	;;#ASMSTART
	v_dot2_f32_f16 v3, v6, v10, v3
	;;#ASMEND
	;;#ASMSTART
	v_dot2_f32_f16 v3, v7, v11, v3
	;;#ASMEND
	ds_load_b128 v[4:7], v32 offset:16
	ds_load_b128 v[8:11], v30 offset:16
	s_wait_dscnt 0x0
	;;#ASMSTART
	v_dot2_f32_f16 v3, v4, v8, v3
	;;#ASMEND
	;;#ASMSTART
	v_dot2_f32_f16 v3, v5, v9, v3
	;;#ASMEND
	;;#ASMSTART
	v_dot2_f32_f16 v3, v6, v10, v3
	;;#ASMEND
	;;#ASMSTART
	v_dot2_f32_f16 v3, v7, v11, v3
	;;#ASMEND
	ds_load_b128 v[4:7], v32 offset:32
	ds_load_b128 v[8:11], v30 offset:32
	;; [unrolled: 15-line block ×7, first 2 shown]
	s_wait_dscnt 0x0
	;;#ASMSTART
	v_dot2_f32_f16 v3, v4, v8, v3
	;;#ASMEND
	;;#ASMSTART
	v_dot2_f32_f16 v3, v5, v9, v3
	;;#ASMEND
	;; [unrolled: 3-line block ×4, first 2 shown]
	s_wait_loadcnt 0x0
	s_barrier_signal -1
	s_barrier_wait -1
	global_inv scope:SCOPE_SE
	s_clause 0x1
	scratch_store_b32 off, v17, off
	scratch_store_b96 off, v[12:14], off offset:4
	flat_load_b128 v[4:7], v[15:16]
	v_add_co_u32 v8, vcc_lo, 0x80, v19
	s_wait_alu 0xfffd
	v_add_co_ci_u32_e64 v9, null, 0, v33, vcc_lo
	s_clause 0x1
	scratch_store_b32 off, v17, off
	scratch_store_b96 off, v[12:14], off offset:4
	v_cndmask_b32_e64 v8, 0, v8, s2
	v_cndmask_b32_e64 v9, s27, v9, s2
	s_wait_loadcnt_dscnt 0x0
	ds_store_b128 v18, v[4:7]
	flat_load_b128 v[4:7], v[8:9]
	v_add_co_u32 v8, vcc_lo, 0x80, v35
	s_wait_alu 0xfffd
	v_add_co_ci_u32_e64 v9, null, 0, v36, vcc_lo
	s_clause 0x1
	scratch_store_b32 off, v17, off
	scratch_store_b96 off, v[12:14], off offset:4
	v_cndmask_b32_e64 v8, 0, v8, s3
	v_cndmask_b32_e64 v9, s27, v9, s3
	s_wait_loadcnt_dscnt 0x0
	ds_store_b128 v18, v[4:7] offset:1152
	flat_load_b128 v[4:7], v[8:9]
	v_add_co_u32 v8, vcc_lo, 0x80, v34
	s_wait_alu 0xfffd
	v_add_co_ci_u32_e64 v9, null, 0, v37, vcc_lo
	s_clause 0x1
	scratch_store_b32 off, v17, off
	scratch_store_b96 off, v[12:14], off offset:4
	v_cndmask_b32_e64 v8, 0, v8, s4
	v_cndmask_b32_e64 v9, s27, v9, s4
	s_wait_loadcnt_dscnt 0x0
	ds_store_b128 v18, v[4:7] offset:2304
	flat_load_b128 v[4:7], v[8:9]
	s_wait_loadcnt_dscnt 0x0
	ds_store_b128 v18, v[4:7] offset:3456
	s_wait_storecnt_dscnt 0x0
	s_barrier_signal -1
	s_barrier_wait -1
	global_inv scope:SCOPE_SE
	ds_load_b128 v[4:7], v32
	ds_load_b128 v[8:11], v30 offset:128
	s_wait_dscnt 0x0
	;;#ASMSTART
	v_dot2_f32_f16 v3, v4, v8, v3
	;;#ASMEND
	;;#ASMSTART
	v_dot2_f32_f16 v3, v5, v9, v3
	;;#ASMEND
	;;#ASMSTART
	v_dot2_f32_f16 v3, v6, v10, v3
	;;#ASMEND
	;;#ASMSTART
	v_dot2_f32_f16 v3, v7, v11, v3
	;;#ASMEND
	ds_load_b128 v[4:7], v32 offset:16
	ds_load_b128 v[8:11], v30 offset:144
	s_wait_dscnt 0x0
	;;#ASMSTART
	v_dot2_f32_f16 v3, v4, v8, v3
	;;#ASMEND
	;;#ASMSTART
	v_dot2_f32_f16 v3, v5, v9, v3
	;;#ASMEND
	;;#ASMSTART
	v_dot2_f32_f16 v3, v6, v10, v3
	;;#ASMEND
	;;#ASMSTART
	v_dot2_f32_f16 v3, v7, v11, v3
	;;#ASMEND
	ds_load_b128 v[4:7], v32 offset:32
	;; [unrolled: 15-line block ×7, first 2 shown]
	ds_load_b128 v[8:11], v30 offset:240
	s_wait_dscnt 0x0
	;;#ASMSTART
	v_dot2_f32_f16 v3, v4, v8, v3
	;;#ASMEND
	;;#ASMSTART
	v_dot2_f32_f16 v3, v5, v9, v3
	;;#ASMEND
	;;#ASMSTART
	v_dot2_f32_f16 v3, v6, v10, v3
	;;#ASMEND
	;;#ASMSTART
	v_dot2_f32_f16 v3, v7, v11, v3
	;;#ASMEND
	v_cmp_ngt_f32_e64 s2, 0x3f200000, |v3|
                                        ; implicit-def: $vgpr4
	s_and_saveexec_b32 s3, s2
	s_wait_alu 0xfffe
	s_xor_b32 s2, exec_lo, s3
	s_cbranch_execz .LBB91_24
; %bb.23:
	v_add_f32_e64 v4, |v3|, |v3|
	s_delay_alu instid0(VALU_DEP_1) | instskip(SKIP_1) | instid1(VALU_DEP_2)
	v_mul_f32_e32 v5, 0x3fb8aa3b, v4
	v_cmp_ngt_f32_e32 vcc_lo, 0xc2ce8ed0, v4
	v_rndne_f32_e32 v6, v5
	v_fma_f32 v7, 0x3fb8aa3b, v4, -v5
	s_delay_alu instid0(VALU_DEP_2) | instskip(NEXT) | instid1(VALU_DEP_2)
	v_sub_f32_e32 v5, v5, v6
	v_fmamk_f32 v7, v4, 0x32a5705f, v7
	v_cvt_i32_f32_e32 v6, v6
	s_delay_alu instid0(VALU_DEP_2) | instskip(NEXT) | instid1(VALU_DEP_1)
	v_add_f32_e32 v5, v5, v7
	v_exp_f32_e32 v5, v5
	s_delay_alu instid0(TRANS32_DEP_1) | instskip(SKIP_1) | instid1(VALU_DEP_1)
	v_ldexp_f32 v5, v5, v6
	s_wait_alu 0xfffd
	v_cndmask_b32_e32 v5, 0, v5, vcc_lo
	v_cmp_nlt_f32_e32 vcc_lo, 0x42b17218, v4
	s_wait_alu 0xfffd
	s_delay_alu instid0(VALU_DEP_2) | instskip(NEXT) | instid1(VALU_DEP_1)
	v_cndmask_b32_e32 v4, 0x7f800000, v5, vcc_lo
	v_add_f32_e32 v4, 1.0, v4
	s_delay_alu instid0(VALU_DEP_1) | instskip(NEXT) | instid1(TRANS32_DEP_1)
	v_rcp_f32_e32 v4, v4
	v_fma_f32 v4, v4, -2.0, 1.0
.LBB91_24:
	s_wait_alu 0xfffe
	s_and_not1_saveexec_b32 s2, s2
	s_cbranch_execz .LBB91_26
; %bb.25:
	v_mul_f32_e32 v4, v3, v3
	s_mov_b32 s3, 0xbbbac73d
	s_wait_alu 0xfffe
	s_delay_alu instid0(VALU_DEP_1) | instskip(NEXT) | instid1(VALU_DEP_1)
	v_fmaak_f32 v5, s3, v4, 0x3ca908c9
	v_fmaak_f32 v5, v4, v5, 0xbd5c1c4e
	s_delay_alu instid0(VALU_DEP_1) | instskip(NEXT) | instid1(VALU_DEP_1)
	v_fmaak_f32 v5, v4, v5, 0x3e088382
	v_fmaak_f32 v5, v4, v5, 0xbeaaaa99
	s_delay_alu instid0(VALU_DEP_1) | instskip(NEXT) | instid1(VALU_DEP_1)
	v_mul_f32_e64 v5, |v3|, v5
	v_fma_f32 v4, v4, v5, |v3|
.LBB91_26:
	s_wait_alu 0xfffe
	s_or_b32 exec_lo, exec_lo, s2
	s_delay_alu instid0(VALU_DEP_1) | instskip(SKIP_1) | instid1(VALU_DEP_1)
	v_bfi_b32 v3, 0x7fffffff, v4, v3
	s_mov_b32 s2, exec_lo
	v_dual_mov_b32 v4, v2 :: v_dual_mul_f32 v9, s11, v3
	v_cmpx_gt_i32_e64 s9, v0
	s_cbranch_execz .LBB91_31
; %bb.27:
	s_cmp_eq_u64 s[34:35], 0
	s_cbranch_scc1 .LBB91_29
; %bb.28:
	v_mul_lo_u32 v3, v29, s10
	s_delay_alu instid0(VALU_DEP_1) | instskip(NEXT) | instid1(VALU_DEP_1)
	v_add3_u32 v3, v3, v0, s20
	v_ashrrev_i32_e32 v4, 31, v3
	s_delay_alu instid0(VALU_DEP_1) | instskip(NEXT) | instid1(VALU_DEP_1)
	v_lshlrev_b64_e32 v[3:4], 1, v[3:4]
	v_add_co_u32 v3, vcc_lo, s34, v3
	s_wait_alu 0xfffd
	s_delay_alu instid0(VALU_DEP_2) | instskip(SKIP_3) | instid1(VALU_DEP_1)
	v_add_co_ci_u32_e64 v4, null, s35, v4, vcc_lo
	global_load_u16 v3, v[3:4], off
	s_wait_loadcnt 0x0
	v_cvt_f32_f16_e32 v3, v3
	v_mul_f32_e32 v3, v26, v3
	s_branch .LBB91_30
.LBB91_29:
	v_mov_b32_e32 v3, 0
.LBB91_30:
	s_delay_alu instid0(VALU_DEP_1) | instskip(NEXT) | instid1(VALU_DEP_1)
	v_dual_add_f32 v9, v9, v3 :: v_dual_max_num_f32 v4, v2, v2
	v_add_f32_e32 v3, 0x40051340, v9
	s_delay_alu instid0(VALU_DEP_1)
	v_max_num_f32_e32 v4, v4, v3
.LBB91_31:
	s_wait_alu 0xfffe
	s_or_b32 exec_lo, exec_lo, s2
	v_xor_b32_e32 v5, 16, v21
	v_lshl_add_u32 v28, v25, 1, v28
	s_ashr_i32 s15, s14, 31
	s_mov_b32 s4, 0
	s_wait_alu 0xfffe
	s_mul_u64 s[6:7], s[20:21], s[14:15]
	v_cmp_gt_i32_e32 vcc_lo, 32, v5
	v_mul_lo_u32 v15, s14, v28
	s_wait_alu 0xfffe
	s_lshl_b64 s[10:11], s[6:7], 2
	s_mov_b32 s5, s4
	s_wait_alu 0xfffe
	s_add_nc_u64 s[10:11], s[24:25], s[10:11]
	s_wait_alu 0xfffd
	v_cndmask_b32_e32 v3, v21, v5, vcc_lo
	s_mov_b32 s6, s4
	s_mov_b64 s[2:3], src_private_base
	s_wait_loadcnt 0x0
	v_ashrrev_i32_e32 v16, 31, v15
	v_lshlrev_b32_e32 v3, 2, v3
	s_barrier_signal -1
	s_barrier_wait -1
	global_inv scope:SCOPE_SE
	v_lshlrev_b64_e32 v[16:17], 2, v[15:16]
	ds_bpermute_b32 v6, v3, v4
	v_xor_b32_e32 v3, 8, v21
	v_max_num_f32_e32 v4, v4, v4
	s_lshl_b32 s2, s14, 2
	v_lshlrev_b32_e32 v13, 1, v0
	s_wait_alu 0xfffe
	v_add_nc_u32_e32 v18, s2, v15
	v_cmp_gt_i32_e32 vcc_lo, 32, v3
	v_lshlrev_b32_e32 v71, 2, v27
	v_add_nc_u32_e32 v73, 4, v28
	v_add_nc_u32_e32 v75, 8, v28
	v_ashrrev_i32_e32 v19, 31, v18
	v_add_nc_u32_e32 v77, 12, v28
	v_lshl_or_b32 v74, v28, 8, v71
	v_lshl_or_b32 v76, v73, 8, v71
	;; [unrolled: 1-line block ×3, first 2 shown]
	v_lshlrev_b64_e32 v[29:30], 2, v[18:19]
	v_add_nc_u32_e32 v18, s2, v18
	v_add_nc_u32_e32 v79, 0x800, v22
	s_wait_dscnt 0x0
	s_wait_alu 0xfffd
	v_dual_max_num_f32 v6, v6, v6 :: v_dual_cndmask_b32 v7, v21, v3
	s_delay_alu instid0(VALU_DEP_1) | instskip(SKIP_1) | instid1(VALU_DEP_1)
	v_max_num_f32_e32 v6, v4, v6
	v_xor_b32_e32 v4, 4, v21
	v_cmp_gt_i32_e32 vcc_lo, 32, v4
	s_wait_alu 0xfffd
	v_dual_cndmask_b32 v8, v21, v4 :: v_dual_lshlrev_b32 v7, 2, v7
	ds_bpermute_b32 v7, v7, v6
	s_wait_dscnt 0x0
	v_dual_max_num_f32 v7, v7, v7 :: v_dual_lshlrev_b32 v8, 2, v8
	s_delay_alu instid0(VALU_DEP_1) | instskip(SKIP_1) | instid1(VALU_DEP_1)
	v_max_num_f32_e32 v7, v6, v7
	v_xor_b32_e32 v6, 2, v21
	v_cmp_gt_i32_e32 vcc_lo, 32, v6
	s_wait_alu 0xfffd
	v_cndmask_b32_e32 v10, v21, v6, vcc_lo
	ds_bpermute_b32 v8, v8, v7
	v_lshlrev_b32_e32 v10, 2, v10
	s_wait_dscnt 0x0
	v_max_num_f32_e32 v8, v8, v8
	s_delay_alu instid0(VALU_DEP_1) | instskip(SKIP_1) | instid1(VALU_DEP_1)
	v_max_num_f32_e32 v8, v7, v8
	v_xor_b32_e32 v7, 1, v21
	v_cmp_gt_i32_e32 vcc_lo, 32, v7
	s_wait_alu 0xfffd
	v_cndmask_b32_e32 v11, v21, v7, vcc_lo
	s_delay_alu instid0(VALU_DEP_1) | instskip(SKIP_3) | instid1(VALU_DEP_1)
	v_lshlrev_b32_e32 v11, 2, v11
	ds_bpermute_b32 v10, v10, v8
	s_wait_dscnt 0x0
	v_max_num_f32_e32 v10, v10, v10
	v_max_num_f32_e32 v8, v8, v10
	ds_bpermute_b32 v10, v11, v8
	s_wait_dscnt 0x0
	v_max_num_f32_e32 v10, v10, v10
	s_delay_alu instid0(VALU_DEP_1) | instskip(NEXT) | instid1(VALU_DEP_1)
	v_max_num_f32_e32 v8, v8, v10
	v_sub_f32_e32 v9, v9, v8
	v_sub_f32_e32 v2, v2, v8
	s_delay_alu instid0(VALU_DEP_2) | instskip(SKIP_1) | instid1(VALU_DEP_1)
	v_cmp_ngt_f32_e32 vcc_lo, 0xc2ce8ed0, v9
	v_mul_f32_e32 v10, 0x3fb8aa3b, v9
	v_fma_f32 v11, 0x3fb8aa3b, v9, -v10
	v_rndne_f32_e32 v12, v10
	s_delay_alu instid0(VALU_DEP_1) | instskip(SKIP_1) | instid1(VALU_DEP_2)
	v_dual_fmac_f32 v11, 0x32a5705f, v9 :: v_dual_sub_f32 v10, v10, v12
	v_cvt_i32_f32_e32 v12, v12
	v_dual_add_f32 v11, v10, v11 :: v_dual_lshlrev_b32 v10, 6, v25
	s_delay_alu instid0(VALU_DEP_1) | instskip(NEXT) | instid1(TRANS32_DEP_1)
	v_exp_f32_e32 v11, v11
	v_ldexp_f32 v11, v11, v12
	s_wait_alu 0xfffd
	s_delay_alu instid0(VALU_DEP_1)
	v_cndmask_b32_e32 v11, 0, v11, vcc_lo
	v_add_co_u32 v12, vcc_lo, s10, v16
	s_wait_alu 0xfffd
	v_add_co_ci_u32_e64 v14, null, s11, v17, vcc_lo
	v_cmp_nlt_f32_e32 vcc_lo, 0x42b17218, v9
	s_wait_alu 0xfffd
	v_cndmask_b32_e32 v9, 0x7f800000, v11, vcc_lo
	v_add_co_u32 v11, vcc_lo, v12, v71
	s_wait_alu 0xfffd
	v_add_co_ci_u32_e64 v12, null, 0, v14, vcc_lo
	v_cmp_gt_u32_e32 vcc_lo, s9, v0
	s_wait_alu 0xfffd
	v_dual_mov_b32 v72, 0 :: v_dual_cndmask_b32 v9, 0, v9
	v_cmp_gt_i32_e32 vcc_lo, s9, v28
	v_dual_mov_b32 v66, s6 :: v_dual_mov_b32 v65, s5
	v_add3_u32 v13, 0x1400, v10, v13
	s_delay_alu instid0(VALU_DEP_4)
	v_cvt_f16_f32_e32 v14, v9
	v_mov_b32_e32 v64, s4
	s_wait_alu 0xfffd
	v_cndmask_b32_e32 v12, s3, v12, vcc_lo
	v_cndmask_b32_e32 v11, 0, v11, vcc_lo
	s_clause 0x1
	scratch_store_b32 off, v72, off
	scratch_store_b96 off, v[64:66], off offset:4
	ds_store_b16 v13, v14
	v_add_co_u32 v15, vcc_lo, s10, v29
	flat_load_b128 v[11:14], v[11:12]
	s_wait_alu 0xfffd
	v_add_co_ci_u32_e64 v19, null, s11, v30, vcc_lo
	v_add_co_u32 v15, vcc_lo, v15, v71
	s_clause 0x1
	scratch_store_b32 off, v72, off
	scratch_store_b96 off, v[64:66], off offset:4
	s_wait_alu 0xfffd
	v_add_co_ci_u32_e64 v19, null, 0, v19, vcc_lo
	v_cmp_gt_i32_e32 vcc_lo, s9, v73
	s_or_b32 s4, s20, 16
	s_wait_alu 0xfffe
	s_ashr_i32 s5, s4, 31
	s_wait_alu 0xfffd
	v_cndmask_b32_e32 v26, s3, v19, vcc_lo
	v_cndmask_b32_e32 v25, 0, v15, vcc_lo
	v_ashrrev_i32_e32 v19, 31, v18
	s_wait_alu 0xfffe
	s_mul_u64 s[4:5], s[4:5], s[14:15]
	s_wait_alu 0xfffe
	s_lshl_b64 s[4:5], s[4:5], 2
	v_lshlrev_b64_e32 v[67:68], 2, v[18:19]
	v_add_nc_u32_e32 v18, s2, v18
	s_wait_alu 0xfffe
	s_add_nc_u64 s[4:5], s[24:25], s[4:5]
	s_delay_alu instid0(VALU_DEP_2) | instskip(SKIP_2) | instid1(VALU_DEP_2)
	v_add_co_u32 v15, vcc_lo, s10, v67
	s_wait_alu 0xfffd
	v_add_co_ci_u32_e64 v19, null, s11, v68, vcc_lo
	v_add_co_u32 v15, vcc_lo, v15, v71
	s_wait_alu 0xfffd
	s_delay_alu instid0(VALU_DEP_2)
	v_add_co_ci_u32_e64 v19, null, 0, v19, vcc_lo
	v_cmp_gt_i32_e32 vcc_lo, s9, v75
	s_wait_loadcnt_dscnt 0x0
	ds_store_b128 v74, v[11:14]
	flat_load_b128 v[11:14], v[25:26]
	s_wait_alu 0xfffd
	v_cndmask_b32_e32 v26, s3, v19, vcc_lo
	v_cndmask_b32_e32 v25, 0, v15, vcc_lo
	s_clause 0x1
	scratch_store_b32 off, v72, off
	scratch_store_b96 off, v[64:66], off offset:4
	v_ashrrev_i32_e32 v19, 31, v18
	s_delay_alu instid0(VALU_DEP_1) | instskip(NEXT) | instid1(VALU_DEP_1)
	v_lshlrev_b64_e32 v[69:70], 2, v[18:19]
	v_add_co_u32 v15, vcc_lo, s10, v69
	s_wait_alu 0xfffd
	s_delay_alu instid0(VALU_DEP_2) | instskip(NEXT) | instid1(VALU_DEP_2)
	v_add_co_ci_u32_e64 v18, null, s11, v70, vcc_lo
	v_add_co_u32 v15, vcc_lo, v15, v71
	s_wait_alu 0xfffd
	s_delay_alu instid0(VALU_DEP_2) | instskip(SKIP_3) | instid1(VALU_DEP_2)
	v_add_co_ci_u32_e64 v18, null, 0, v18, vcc_lo
	v_cmp_gt_i32_e32 vcc_lo, s9, v77
	s_add_co_i32 s9, s9, -16
	s_wait_alu 0xfffd
	v_cndmask_b32_e32 v19, s3, v18, vcc_lo
	v_cndmask_b32_e32 v18, 0, v15, vcc_lo
	s_wait_alu 0xfffe
	v_add_co_u32 v15, vcc_lo, s4, v16
	s_wait_alu 0xfffd
	v_add_co_ci_u32_e64 v16, null, s5, v17, vcc_lo
	s_delay_alu instid0(VALU_DEP_2) | instskip(SKIP_1) | instid1(VALU_DEP_2)
	v_add_co_u32 v15, vcc_lo, v15, v71
	s_wait_alu 0xfffd
	v_add_co_ci_u32_e64 v16, null, 0, v16, vcc_lo
	v_cmp_gt_i32_e32 vcc_lo, s9, v28
	s_wait_alu 0xfffd
	s_delay_alu instid0(VALU_DEP_2) | instskip(SKIP_4) | instid1(VALU_DEP_2)
	v_cndmask_b32_e32 v61, s3, v16, vcc_lo
	v_cndmask_b32_e32 v60, 0, v15, vcc_lo
	v_add_co_u32 v29, vcc_lo, s4, v29
	s_wait_alu 0xfffd
	v_add_co_ci_u32_e64 v30, null, s5, v30, vcc_lo
	v_add_co_u32 v29, vcc_lo, v29, v71
	s_wait_alu 0xfffd
	s_delay_alu instid0(VALU_DEP_2) | instskip(SKIP_2) | instid1(VALU_DEP_2)
	v_add_co_ci_u32_e64 v30, null, 0, v30, vcc_lo
	v_cmp_gt_i32_e32 vcc_lo, s9, v73
	s_wait_alu 0xfffd
	v_cndmask_b32_e32 v30, s3, v30, vcc_lo
	v_cndmask_b32_e32 v29, 0, v29, vcc_lo
	s_wait_loadcnt_dscnt 0x0
	ds_store_b128 v76, v[11:14]
	flat_load_b128 v[11:14], v[25:26]
	s_clause 0x1
	scratch_store_b32 off, v72, off
	scratch_store_b96 off, v[64:66], off offset:4
	s_wait_loadcnt_dscnt 0x0
	ds_store_b128 v78, v[11:14]
	flat_load_b128 v[11:14], v[18:19]
	v_lshl_or_b32 v19, v77, 8, v71
	s_wait_loadcnt_dscnt 0x0
	ds_store_b128 v19, v[11:14]
	s_wait_storecnt_dscnt 0x0
	s_barrier_signal -1
	s_barrier_wait -1
	global_inv scope:SCOPE_SE
	ds_load_2addr_b64 v[11:14], v22 offset1:32
	ds_load_b128 v[15:18], v10 offset:5120
	ds_load_b128 v[25:28], v10 offset:5136
	ds_load_2addr_b64 v[32:35], v22 offset0:64 offset1:96
	ds_load_2addr_b64 v[36:39], v22 offset0:128 offset1:160
	;; [unrolled: 1-line block ×3, first 2 shown]
	ds_load_2addr_b64 v[44:47], v79 offset1:32
	ds_load_2addr_b64 v[48:51], v79 offset0:64 offset1:96
	ds_load_2addr_b64 v[52:55], v79 offset0:128 offset1:160
	;; [unrolled: 1-line block ×3, first 2 shown]
	s_wait_loadcnt_dscnt 0x0
	s_barrier_signal -1
	s_barrier_wait -1
	global_inv scope:SCOPE_SE
	s_clause 0x1
	scratch_store_b32 off, v72, off
	scratch_store_b96 off, v[64:66], off offset:4
	flat_load_b128 v[60:63], v[60:61]
	s_clause 0x1
	scratch_store_b32 off, v72, off
	scratch_store_b96 off, v[64:66], off offset:4
	s_wait_loadcnt_dscnt 0x0
	ds_store_b128 v74, v[60:63]
	flat_load_b128 v[60:63], v[29:30]
	v_add_co_u32 v29, vcc_lo, s4, v67
	s_wait_alu 0xfffd
	v_add_co_ci_u32_e64 v30, null, s5, v68, vcc_lo
	s_clause 0x1
	scratch_store_b32 off, v72, off
	scratch_store_b96 off, v[64:66], off offset:4
	v_add_co_u32 v29, vcc_lo, v29, v71
	s_wait_alu 0xfffd
	v_add_co_ci_u32_e64 v30, null, 0, v30, vcc_lo
	v_cmp_gt_i32_e32 vcc_lo, s9, v75
	s_wait_alu 0xfffd
	s_delay_alu instid0(VALU_DEP_2)
	v_cndmask_b32_e32 v30, s3, v30, vcc_lo
	v_cndmask_b32_e32 v29, 0, v29, vcc_lo
	s_wait_loadcnt_dscnt 0x0
	ds_store_b128 v76, v[60:63]
	flat_load_b128 v[60:63], v[29:30]
	v_add_co_u32 v29, vcc_lo, s4, v69
	s_wait_alu 0xfffd
	v_add_co_ci_u32_e64 v30, null, s5, v70, vcc_lo
	s_clause 0x1
	scratch_store_b32 off, v72, off
	scratch_store_b96 off, v[64:66], off offset:4
	v_add_co_u32 v29, vcc_lo, v29, v71
	s_wait_alu 0xfffd
	v_add_co_ci_u32_e64 v30, null, 0, v30, vcc_lo
	v_cmp_gt_i32_e32 vcc_lo, s9, v77
	s_wait_alu 0xfffd
	s_delay_alu instid0(VALU_DEP_2)
	v_cndmask_b32_e32 v30, s3, v30, vcc_lo
	v_cndmask_b32_e32 v29, 0, v29, vcc_lo
	v_cmp_ngt_f32_e32 vcc_lo, 0xc2ce8ed0, v2
	s_wait_loadcnt_dscnt 0x0
	ds_store_b128 v78, v[60:63]
	flat_load_b128 v[60:63], v[29:30]
	v_mul_f32_e32 v29, 0x3fb8aa3b, v2
	s_delay_alu instid0(VALU_DEP_1) | instskip(SKIP_1) | instid1(VALU_DEP_1)
	v_fma_f32 v30, 0x3fb8aa3b, v2, -v29
	v_rndne_f32_e32 v64, v29
	v_dual_fmac_f32 v30, 0x32a5705f, v2 :: v_dual_sub_f32 v29, v29, v64
	s_delay_alu instid0(VALU_DEP_1) | instskip(SKIP_1) | instid1(VALU_DEP_2)
	v_add_f32_e32 v29, v29, v30
	v_cvt_i32_f32_e32 v30, v64
	v_exp_f32_e32 v29, v29
	s_delay_alu instid0(TRANS32_DEP_1) | instskip(SKIP_3) | instid1(VALU_DEP_3)
	v_ldexp_f32 v29, v29, v30
	v_and_b32_e32 v30, 0xffff, v15
	v_lshrrev_b32_e32 v15, 16, v15
	s_wait_alu 0xfffd
	v_cndmask_b32_e32 v29, 0, v29, vcc_lo
	v_cmp_nlt_f32_e32 vcc_lo, 0x42b17218, v2
	v_mul_u32_u24_e32 v30, 0x10001, v30
	v_mul_u32_u24_e32 v15, 0x10001, v15
	s_wait_alu 0xfffd
	v_cndmask_b32_e32 v2, 0x7f800000, v29, vcc_lo
	s_delay_alu instid0(VALU_DEP_3)
	v_pk_mul_f16 v11, v11, v30
	v_pk_mul_f16 v12, v12, v30
	v_and_b32_e32 v64, 0xffff, v16
	v_lshrrev_b32_e32 v16, 16, v16
	v_cvt_f16_f32_e32 v29, v2
	v_dual_fmac_f32 v9, v31, v2 :: v_dual_mov_b32 v2, v8
	s_delay_alu instid0(VALU_DEP_3) | instskip(NEXT) | instid1(VALU_DEP_3)
	v_mul_u32_u24_e32 v16, 0x10001, v16
	v_and_b32_e32 v29, 0xffff, v29
	s_delay_alu instid0(VALU_DEP_3) | instskip(NEXT) | instid1(VALU_DEP_2)
	v_mov_b32_e32 v31, v9
	v_mul_u32_u24_e32 v29, 0x10001, v29
	s_delay_alu instid0(VALU_DEP_1) | instskip(SKIP_2) | instid1(VALU_DEP_3)
	v_pk_fma_f16 v11, v23, v29, v11
	v_pk_fma_f16 v12, v24, v29, v12
	v_mul_u32_u24_e32 v23, 0x10001, v64
	v_pk_fma_f16 v11, v13, v15, v11
	s_delay_alu instid0(VALU_DEP_3)
	v_pk_fma_f16 v12, v14, v15, v12
	v_and_b32_e32 v13, 0xffff, v17
	v_lshrrev_b32_e32 v14, 16, v17
	v_and_b32_e32 v15, 0xffff, v18
	v_pk_fma_f16 v11, v32, v23, v11
	v_pk_fma_f16 v12, v33, v23, v12
	v_mul_u32_u24_e32 v13, 0x10001, v13
	v_mul_u32_u24_e32 v14, 0x10001, v14
	;; [unrolled: 1-line block ×3, first 2 shown]
	v_pk_fma_f16 v11, v34, v16, v11
	v_pk_fma_f16 v12, v35, v16, v12
	v_lshrrev_b32_e32 v16, 16, v18
	v_and_b32_e32 v17, 0xffff, v27
	v_lshrrev_b32_e32 v18, 16, v27
	v_pk_fma_f16 v11, v36, v13, v11
	v_pk_fma_f16 v12, v37, v13, v12
	v_and_b32_e32 v13, 0xffff, v25
	v_mul_u32_u24_e32 v16, 0x10001, v16
	v_mul_u32_u24_e32 v23, 0x10001, v17
	v_pk_fma_f16 v11, v38, v14, v11
	v_pk_fma_f16 v12, v39, v14, v12
	v_lshrrev_b32_e32 v14, 16, v25
	v_mul_u32_u24_e32 v13, 0x10001, v13
	v_lshrrev_b32_e32 v27, 16, v28
	v_pk_fma_f16 v11, v40, v15, v11
	v_pk_fma_f16 v12, v41, v15, v12
	v_and_b32_e32 v15, 0xffff, v26
	v_mul_u32_u24_e32 v14, 0x10001, v14
	v_mul_u32_u24_e32 v32, 0x10001, v27
	v_pk_fma_f16 v11, v42, v16, v11
	v_pk_fma_f16 v12, v43, v16, v12
	v_lshrrev_b32_e32 v16, 16, v26
	v_mul_u32_u24_e32 v15, 0x10001, v15
	s_delay_alu instid0(VALU_DEP_4) | instskip(NEXT) | instid1(VALU_DEP_4)
	v_pk_fma_f16 v11, v44, v13, v11
	v_pk_fma_f16 v12, v45, v13, v12
	s_delay_alu instid0(VALU_DEP_4) | instskip(NEXT) | instid1(VALU_DEP_3)
	v_mul_u32_u24_e32 v16, 0x10001, v16
	v_pk_fma_f16 v11, v46, v14, v11
	s_delay_alu instid0(VALU_DEP_3) | instskip(NEXT) | instid1(VALU_DEP_2)
	v_pk_fma_f16 v17, v47, v14, v12
	v_pk_fma_f16 v24, v48, v15, v11
	s_delay_alu instid0(VALU_DEP_2) | instskip(NEXT) | instid1(VALU_DEP_2)
	v_pk_fma_f16 v15, v49, v15, v17
	v_pk_fma_f16 v17, v50, v16, v24
	s_delay_alu instid0(VALU_DEP_2) | instskip(SKIP_1) | instid1(VALU_DEP_3)
	v_pk_fma_f16 v25, v51, v16, v15
	v_mul_u32_u24_e32 v24, 0x10001, v18
	v_pk_fma_f16 v26, v52, v23, v17
	s_delay_alu instid0(VALU_DEP_3) | instskip(NEXT) | instid1(VALU_DEP_2)
	v_pk_fma_f16 v23, v53, v23, v25
	v_pk_fma_f16 v25, v54, v24, v26
	s_delay_alu instid0(VALU_DEP_2)
	v_pk_fma_f16 v33, v55, v24, v23
	s_wait_loadcnt_dscnt 0x0
	ds_store_b128 v19, v[60:63]
	s_wait_storecnt_dscnt 0x0
	s_barrier_signal -1
	s_barrier_wait -1
	global_inv scope:SCOPE_SE
	ds_load_b128 v[11:14], v10 offset:5152
	v_and_b32_e32 v19, 0xffff, v28
	ds_load_2addr_b64 v[15:18], v22 offset1:32
	v_mul_u32_u24_e32 v19, 0x10001, v19
	s_delay_alu instid0(VALU_DEP_1) | instskip(SKIP_4) | instid1(VALU_DEP_2)
	v_pk_fma_f16 v34, v56, v19, v25
	ds_load_b128 v[23:26], v10 offset:5168
	ds_load_2addr_b64 v[27:30], v22 offset0:64 offset1:96
	v_pk_fma_f16 v19, v57, v19, v33
	v_pk_fma_f16 v36, v58, v32, v34
	;; [unrolled: 1-line block ×3, first 2 shown]
	ds_load_2addr_b64 v[32:35], v22 offset0:128 offset1:160
	s_wait_dscnt 0x4
	v_and_b32_e32 v10, 0xffff, v11
	v_lshrrev_b32_e32 v11, 16, v11
	v_and_b32_e32 v37, 0xffff, v12
	v_lshrrev_b32_e32 v12, 16, v12
	s_delay_alu instid0(VALU_DEP_4) | instskip(NEXT) | instid1(VALU_DEP_4)
	v_mul_u32_u24_e32 v10, 0x10001, v10
	v_mul_u32_u24_e32 v11, 0x10001, v11
	s_delay_alu instid0(VALU_DEP_3) | instskip(SKIP_1) | instid1(VALU_DEP_3)
	v_mul_u32_u24_e32 v12, 0x10001, v12
	s_wait_dscnt 0x3
	v_pk_fma_f16 v15, v15, v10, v36
	v_pk_fma_f16 v10, v16, v10, v19
	v_mul_u32_u24_e32 v19, 0x10001, v37
	s_delay_alu instid0(VALU_DEP_3) | instskip(NEXT) | instid1(VALU_DEP_3)
	v_pk_fma_f16 v36, v17, v11, v15
	v_pk_fma_f16 v10, v18, v11, v10
	ds_load_2addr_b64 v[15:18], v22 offset0:192 offset1:224
	v_and_b32_e32 v11, 0xffff, v13
	s_wait_dscnt 0x2
	v_pk_fma_f16 v22, v27, v19, v36
	v_pk_fma_f16 v10, v28, v19, v10
	v_lshrrev_b32_e32 v19, 16, v13
	v_mul_u32_u24_e32 v27, 0x10001, v11
	s_delay_alu instid0(VALU_DEP_4) | instskip(NEXT) | instid1(VALU_DEP_4)
	v_pk_fma_f16 v22, v29, v12, v22
	v_pk_fma_f16 v28, v30, v12, v10
	ds_load_2addr_b64 v[10:13], v79 offset1:32
	v_and_b32_e32 v29, 0xffff, v14
	v_mul_u32_u24_e32 v19, 0x10001, v19
	s_wait_dscnt 0x2
	v_pk_fma_f16 v22, v32, v27, v22
	v_pk_fma_f16 v27, v33, v27, v28
	v_lshrrev_b32_e32 v14, 16, v14
	v_mul_u32_u24_e32 v32, 0x10001, v29
	v_and_b32_e32 v33, 0xffff, v23
	v_pk_fma_f16 v22, v34, v19, v22
	v_pk_fma_f16 v19, v35, v19, v27
	ds_load_2addr_b64 v[27:30], v79 offset0:64 offset1:96
	v_mul_u32_u24_e32 v14, 0x10001, v14
	s_wait_dscnt 0x2
	v_pk_fma_f16 v15, v15, v32, v22
	v_pk_fma_f16 v16, v16, v32, v19
	v_lshrrev_b32_e32 v19, 16, v23
	v_mul_u32_u24_e32 v22, 0x10001, v33
	v_and_b32_e32 v32, 0xffff, v24
	v_pk_fma_f16 v23, v17, v14, v15
	v_pk_fma_f16 v18, v18, v14, v16
	ds_load_2addr_b64 v[14:17], v79 offset0:128 offset1:160
	;; [unrolled: 10-line block ×3, first 2 shown]
	v_mul_u32_u24_e32 v18, 0x10001, v18
	v_mul_u32_u24_e32 v24, 0x10001, v24
	s_wait_dscnt 0x2
	v_pk_fma_f16 v23, v27, v22, v23
	v_pk_fma_f16 v19, v28, v22, v19
	v_lshrrev_b32_e32 v22, 16, v25
	s_wait_loadcnt_dscnt 0x0
	s_barrier_signal -1
	v_pk_fma_f16 v23, v29, v18, v23
	v_pk_fma_f16 v18, v30, v18, v19
	v_and_b32_e32 v19, 0xffff, v26
	v_mul_u32_u24_e32 v22, 0x10001, v22
	s_barrier_wait -1
	v_pk_fma_f16 v14, v14, v24, v23
	v_pk_fma_f16 v15, v15, v24, v18
	v_lshrrev_b32_e32 v18, 16, v26
	v_mul_u32_u24_e32 v19, 0x10001, v19
	global_inv scope:SCOPE_SE
	v_pk_fma_f16 v14, v16, v22, v14
	v_pk_fma_f16 v15, v17, v22, v15
	v_mul_u32_u24_e32 v16, 0x10001, v18
	s_delay_alu instid0(VALU_DEP_3) | instskip(NEXT) | instid1(VALU_DEP_3)
	v_pk_fma_f16 v14, v10, v19, v14
	v_pk_fma_f16 v11, v11, v19, v15
	v_mov_b32_e32 v10, 32
	s_delay_alu instid0(VALU_DEP_3) | instskip(NEXT) | instid1(VALU_DEP_3)
	v_pk_fma_f16 v23, v12, v16, v14
	v_pk_fma_f16 v24, v13, v16, v11
.LBB91_32:
	s_delay_alu instid0(VALU_DEP_3)
	v_cmp_lt_i32_e32 vcc_lo, v5, v10
	s_cmp_eq_u64 s[12:13], 0
	s_cselect_b32 s2, -1, 0
	s_cmp_lg_u32 s8, 0
	s_wait_alu 0xfffd
	v_cndmask_b32_e32 v5, v21, v5, vcc_lo
	v_cmp_lt_i32_e32 vcc_lo, v3, v10
	s_cselect_b32 s3, -1, 0
	s_wait_alu 0xfffe
	s_or_b32 s2, s3, s2
	s_wait_alu 0xfffd
	v_cndmask_b32_e32 v3, v21, v3, vcc_lo
	v_cmp_lt_i32_e32 vcc_lo, v4, v10
	s_wait_alu 0xfffd
	s_delay_alu instid0(VALU_DEP_2) | instskip(SKIP_1) | instid1(VALU_DEP_2)
	v_dual_cndmask_b32 v4, v21, v4 :: v_dual_lshlrev_b32 v3, 2, v3
	v_cmp_lt_i32_e32 vcc_lo, v6, v10
	v_lshlrev_b32_e32 v4, 2, v4
	v_lshlrev_b32_e32 v5, 2, v5
	ds_bpermute_b32 v5, v5, v31
	s_wait_dscnt 0x0
	v_add_f32_e32 v5, v31, v5
	ds_bpermute_b32 v3, v3, v5
	s_wait_dscnt 0x0
	v_add_f32_e32 v3, v5, v3
	s_wait_alu 0xfffd
	v_cndmask_b32_e32 v5, v21, v6, vcc_lo
	v_cmp_lt_i32_e32 vcc_lo, v7, v10
	ds_bpermute_b32 v4, v4, v3
	v_lshlrev_b32_e32 v5, 2, v5
	s_wait_dscnt 0x0
	v_add_f32_e32 v3, v3, v4
	ds_bpermute_b32 v4, v5, v3
	s_wait_alu 0xfffd
	v_cndmask_b32_e32 v5, v21, v7, vcc_lo
	s_wait_alu 0xfffe
	s_and_b32 vcc_lo, exec_lo, s2
	s_delay_alu instid0(VALU_DEP_1)
	v_lshlrev_b32_e32 v5, 2, v5
	s_wait_dscnt 0x0
	v_add_f32_e32 v3, v3, v4
	ds_bpermute_b32 v4, v5, v3
	s_wait_dscnt 0x0
	v_add_f32_e32 v3, v3, v4
	s_wait_alu 0xfffe
	s_cbranch_vccnz .LBB91_34
; %bb.33:
	v_dual_mov_b32 v4, 0 :: v_dual_max_num_f32 v5, v2, v2
	s_lshl_b64 s[2:3], s[30:31], 2
	s_wait_alu 0xfffe
	s_add_nc_u64 s[2:3], s[12:13], s[2:3]
	global_load_b32 v4, v4, s[2:3]
	s_wait_loadcnt 0x0
	v_max_num_f32_e32 v6, v4, v4
	s_delay_alu instid0(VALU_DEP_1) | instskip(NEXT) | instid1(VALU_DEP_1)
	v_max_num_f32_e32 v5, v5, v6
	v_sub_f32_e32 v2, v2, v5
	s_delay_alu instid0(VALU_DEP_1) | instskip(NEXT) | instid1(VALU_DEP_1)
	v_mul_f32_e32 v6, 0x3fb8aa3b, v2
	v_rndne_f32_e32 v8, v6
	v_fma_f32 v7, 0x3fb8aa3b, v2, -v6
	s_delay_alu instid0(VALU_DEP_2) | instskip(SKIP_2) | instid1(VALU_DEP_2)
	v_sub_f32_e32 v6, v6, v8
	v_sub_f32_e32 v4, v4, v5
	v_cvt_i32_f32_e32 v8, v8
	v_mul_f32_e32 v9, 0x3fb8aa3b, v4
	v_fmac_f32_e32 v7, 0x32a5705f, v2
	v_cmp_ngt_f32_e32 vcc_lo, 0xc2ce8ed0, v2
	s_delay_alu instid0(VALU_DEP_3) | instskip(SKIP_1) | instid1(VALU_DEP_4)
	v_fma_f32 v10, 0x3fb8aa3b, v4, -v9
	v_rndne_f32_e32 v11, v9
	v_add_f32_e32 v6, v6, v7
	s_delay_alu instid0(VALU_DEP_2) | instskip(NEXT) | instid1(VALU_DEP_2)
	v_dual_fmac_f32 v10, 0x32a5705f, v4 :: v_dual_sub_f32 v7, v9, v11
	v_exp_f32_e32 v6, v6
	s_delay_alu instid0(VALU_DEP_1) | instskip(NEXT) | instid1(VALU_DEP_1)
	v_add_f32_e32 v7, v7, v10
	v_exp_f32_e32 v7, v7
	s_delay_alu instid0(TRANS32_DEP_2) | instskip(SKIP_2) | instid1(VALU_DEP_2)
	v_ldexp_f32 v6, v6, v8
	v_cvt_i32_f32_e32 v8, v11
	s_wait_alu 0xfffd
	v_cndmask_b32_e32 v6, 0, v6, vcc_lo
	v_cmp_nlt_f32_e32 vcc_lo, 0x42b17218, v2
	s_delay_alu instid0(TRANS32_DEP_1) | instid1(VALU_DEP_3)
	v_ldexp_f32 v7, v7, v8
	s_wait_alu 0xfffd
	s_delay_alu instid0(VALU_DEP_3) | instskip(SKIP_3) | instid1(VALU_DEP_3)
	v_cndmask_b32_e32 v2, 0x7f800000, v6, vcc_lo
	v_cmp_ngt_f32_e32 vcc_lo, 0xc2ce8ed0, v4
	s_wait_alu 0xfffd
	v_cndmask_b32_e32 v6, 0, v7, vcc_lo
	v_cvt_f16_f32_e32 v7, v2
	v_cmp_nlt_f32_e32 vcc_lo, 0x42b17218, v4
	s_wait_alu 0xfffd
	s_delay_alu instid0(VALU_DEP_3) | instskip(NEXT) | instid1(VALU_DEP_3)
	v_cndmask_b32_e32 v4, 0x7f800000, v6, vcc_lo
	v_and_b32_e32 v6, 0xffff, v7
	s_delay_alu instid0(VALU_DEP_2) | instskip(NEXT) | instid1(VALU_DEP_2)
	v_fmac_f32_e32 v4, v3, v2
	v_mul_u32_u24_e32 v2, 0x10001, v6
	s_delay_alu instid0(VALU_DEP_2) | instskip(NEXT) | instid1(VALU_DEP_2)
	v_mov_b32_e32 v3, v4
	v_pk_mul_f16 v23, v23, v2
	v_pk_mul_f16 v24, v24, v2
	v_mov_b32_e32 v2, v5
.LBB91_34:
	s_mov_b32 s2, exec_lo
	v_cmpx_gt_i32_e64 s22, v1
	s_cbranch_execz .LBB91_37
; %bb.35:
	v_div_scale_f32 v6, null, v3, v3, 1.0
	v_div_scale_f32 v8, vcc_lo, 1.0, v3, 1.0
	s_load_b32 s1, s[0:1], 0xd4
	v_rcp_f32_e32 v7, v6
	v_cmp_eq_u32_e64 s0, 0, v0
	s_delay_alu instid0(TRANS32_DEP_1) | instskip(NEXT) | instid1(VALU_DEP_1)
	v_fma_f32 v4, -v6, v7, 1.0
	v_fmac_f32_e32 v7, v4, v7
	v_mad_co_u64_u32 v[4:5], null, s28, s22, v[1:2]
	s_wait_kmcnt 0x0
	s_cmp_lg_u32 s1, 1
	s_delay_alu instid0(VALU_DEP_2) | instskip(NEXT) | instid1(VALU_DEP_2)
	v_mul_f32_e32 v9, v8, v7
	v_mad_co_u64_u32 v[4:5], null, v4, s23, s[30:31]
	s_delay_alu instid0(VALU_DEP_2) | instskip(NEXT) | instid1(VALU_DEP_1)
	v_fma_f32 v1, -v6, v9, v8
	v_fmac_f32_e32 v9, v1, v7
	s_delay_alu instid0(VALU_DEP_3)
	v_mad_co_u64_u32 v[4:5], null, s1, v4, s[8:9]
	s_cselect_b32 s1, -1, 0
	v_cvt_f32_f16_e32 v5, v23
	v_fma_f32 v0, -v6, v9, v8
	v_cvt_f32_f16_e32 v8, v24
	v_lshrrev_b32_e32 v6, 16, v23
	s_wait_alu 0xfffe
	s_and_b32 s0, s0, s1
	v_div_fmas_f32 v7, v0, v7, v9
	v_lshrrev_b32_e32 v9, 16, v24
	v_lshl_add_u32 v0, v4, 7, v20
	v_cvt_f32_f16_e32 v6, v6
	s_delay_alu instid0(VALU_DEP_4) | instskip(NEXT) | instid1(VALU_DEP_4)
	v_div_fixup_f32 v7, v7, v3, 1.0
	v_cvt_f32_f16_e32 v9, v9
	s_delay_alu instid0(VALU_DEP_2) | instskip(SKIP_1) | instid1(VALU_DEP_2)
	v_cndmask_b32_e64 v10, v7, 1.0, s1
	v_mov_b32_e32 v1, 0
	v_mul_f32_e32 v7, v10, v8
	s_delay_alu instid0(VALU_DEP_4) | instskip(NEXT) | instid1(VALU_DEP_3)
	v_mul_f32_e32 v8, v10, v9
	v_lshlrev_b64_e32 v[0:1], 2, v[0:1]
	v_mul_f32_e32 v5, v10, v5
	v_mul_f32_e32 v6, v10, v6
	s_delay_alu instid0(VALU_DEP_3) | instskip(SKIP_1) | instid1(VALU_DEP_4)
	v_add_co_u32 v0, vcc_lo, s16, v0
	s_wait_alu 0xfffd
	v_add_co_ci_u32_e64 v1, null, s17, v1, vcc_lo
	global_store_b128 v[0:1], v[5:8], off
	s_wait_alu 0xfffe
	s_and_b32 exec_lo, exec_lo, s0
	s_cbranch_execz .LBB91_37
; %bb.36:
	v_ashrrev_i32_e32 v5, 31, v4
	s_delay_alu instid0(VALU_DEP_1) | instskip(NEXT) | instid1(VALU_DEP_1)
	v_lshlrev_b64_e32 v[0:1], 3, v[4:5]
	v_add_co_u32 v0, vcc_lo, s18, v0
	s_wait_alu 0xfffd
	s_delay_alu instid0(VALU_DEP_2)
	v_add_co_ci_u32_e64 v1, null, s19, v1, vcc_lo
	global_store_b64 v[0:1], v[2:3], off
.LBB91_37:
	s_nop 0
	s_sendmsg sendmsg(MSG_DEALLOC_VGPRS)
	s_endpgm
	.section	.rodata,"a",@progbits
	.p2align	6, 0x0
	.amdhsa_kernel _ZL15flash_attn_tileILi128ELi128ELi2ELi1ELb1EEvPKcS1_S1_S1_S1_PKiPfP15HIP_vector_typeIfLj2EEffffjfiS5_IjLj3EEiiiiiiiiiiiliiliiiiil
		.amdhsa_group_segment_fixed_size 5248
		.amdhsa_private_segment_fixed_size 32
		.amdhsa_kernarg_size 464
		.amdhsa_user_sgpr_count 2
		.amdhsa_user_sgpr_dispatch_ptr 0
		.amdhsa_user_sgpr_queue_ptr 0
		.amdhsa_user_sgpr_kernarg_segment_ptr 1
		.amdhsa_user_sgpr_dispatch_id 0
		.amdhsa_user_sgpr_private_segment_size 0
		.amdhsa_wavefront_size32 1
		.amdhsa_uses_dynamic_stack 0
		.amdhsa_enable_private_segment 1
		.amdhsa_system_sgpr_workgroup_id_x 1
		.amdhsa_system_sgpr_workgroup_id_y 1
		.amdhsa_system_sgpr_workgroup_id_z 1
		.amdhsa_system_sgpr_workgroup_info 0
		.amdhsa_system_vgpr_workitem_id 1
		.amdhsa_next_free_vgpr 110
		.amdhsa_next_free_sgpr 48
		.amdhsa_reserve_vcc 1
		.amdhsa_float_round_mode_32 0
		.amdhsa_float_round_mode_16_64 0
		.amdhsa_float_denorm_mode_32 3
		.amdhsa_float_denorm_mode_16_64 3
		.amdhsa_fp16_overflow 0
		.amdhsa_workgroup_processor_mode 1
		.amdhsa_memory_ordered 1
		.amdhsa_forward_progress 1
		.amdhsa_inst_pref_size 98
		.amdhsa_round_robin_scheduling 0
		.amdhsa_exception_fp_ieee_invalid_op 0
		.amdhsa_exception_fp_denorm_src 0
		.amdhsa_exception_fp_ieee_div_zero 0
		.amdhsa_exception_fp_ieee_overflow 0
		.amdhsa_exception_fp_ieee_underflow 0
		.amdhsa_exception_fp_ieee_inexact 0
		.amdhsa_exception_int_div_zero 0
	.end_amdhsa_kernel
	.section	.text._ZL15flash_attn_tileILi128ELi128ELi2ELi1ELb1EEvPKcS1_S1_S1_S1_PKiPfP15HIP_vector_typeIfLj2EEffffjfiS5_IjLj3EEiiiiiiiiiiiliiliiiiil,"axG",@progbits,_ZL15flash_attn_tileILi128ELi128ELi2ELi1ELb1EEvPKcS1_S1_S1_S1_PKiPfP15HIP_vector_typeIfLj2EEffffjfiS5_IjLj3EEiiiiiiiiiiiliiliiiiil,comdat
.Lfunc_end91:
	.size	_ZL15flash_attn_tileILi128ELi128ELi2ELi1ELb1EEvPKcS1_S1_S1_S1_PKiPfP15HIP_vector_typeIfLj2EEffffjfiS5_IjLj3EEiiiiiiiiiiiliiliiiiil, .Lfunc_end91-_ZL15flash_attn_tileILi128ELi128ELi2ELi1ELb1EEvPKcS1_S1_S1_S1_PKiPfP15HIP_vector_typeIfLj2EEffffjfiS5_IjLj3EEiiiiiiiiiiiliiliiiiil
                                        ; -- End function
	.set _ZL15flash_attn_tileILi128ELi128ELi2ELi1ELb1EEvPKcS1_S1_S1_S1_PKiPfP15HIP_vector_typeIfLj2EEffffjfiS5_IjLj3EEiiiiiiiiiiiliiliiiiil.num_vgpr, 110
	.set _ZL15flash_attn_tileILi128ELi128ELi2ELi1ELb1EEvPKcS1_S1_S1_S1_PKiPfP15HIP_vector_typeIfLj2EEffffjfiS5_IjLj3EEiiiiiiiiiiiliiliiiiil.num_agpr, 0
	.set _ZL15flash_attn_tileILi128ELi128ELi2ELi1ELb1EEvPKcS1_S1_S1_S1_PKiPfP15HIP_vector_typeIfLj2EEffffjfiS5_IjLj3EEiiiiiiiiiiiliiliiiiil.numbered_sgpr, 48
	.set _ZL15flash_attn_tileILi128ELi128ELi2ELi1ELb1EEvPKcS1_S1_S1_S1_PKiPfP15HIP_vector_typeIfLj2EEffffjfiS5_IjLj3EEiiiiiiiiiiiliiliiiiil.num_named_barrier, 0
	.set _ZL15flash_attn_tileILi128ELi128ELi2ELi1ELb1EEvPKcS1_S1_S1_S1_PKiPfP15HIP_vector_typeIfLj2EEffffjfiS5_IjLj3EEiiiiiiiiiiiliiliiiiil.private_seg_size, 32
	.set _ZL15flash_attn_tileILi128ELi128ELi2ELi1ELb1EEvPKcS1_S1_S1_S1_PKiPfP15HIP_vector_typeIfLj2EEffffjfiS5_IjLj3EEiiiiiiiiiiiliiliiiiil.uses_vcc, 1
	.set _ZL15flash_attn_tileILi128ELi128ELi2ELi1ELb1EEvPKcS1_S1_S1_S1_PKiPfP15HIP_vector_typeIfLj2EEffffjfiS5_IjLj3EEiiiiiiiiiiiliiliiiiil.uses_flat_scratch, 1
	.set _ZL15flash_attn_tileILi128ELi128ELi2ELi1ELb1EEvPKcS1_S1_S1_S1_PKiPfP15HIP_vector_typeIfLj2EEffffjfiS5_IjLj3EEiiiiiiiiiiiliiliiiiil.has_dyn_sized_stack, 0
	.set _ZL15flash_attn_tileILi128ELi128ELi2ELi1ELb1EEvPKcS1_S1_S1_S1_PKiPfP15HIP_vector_typeIfLj2EEffffjfiS5_IjLj3EEiiiiiiiiiiiliiliiiiil.has_recursion, 0
	.set _ZL15flash_attn_tileILi128ELi128ELi2ELi1ELb1EEvPKcS1_S1_S1_S1_PKiPfP15HIP_vector_typeIfLj2EEffffjfiS5_IjLj3EEiiiiiiiiiiiliiliiiiil.has_indirect_call, 0
	.section	.AMDGPU.csdata,"",@progbits
; Kernel info:
; codeLenInByte = 12452
; TotalNumSgprs: 50
; NumVgprs: 110
; ScratchSize: 32
; MemoryBound: 0
; FloatMode: 240
; IeeeMode: 1
; LDSByteSize: 5248 bytes/workgroup (compile time only)
; SGPRBlocks: 0
; VGPRBlocks: 13
; NumSGPRsForWavesPerEU: 50
; NumVGPRsForWavesPerEU: 110
; Occupancy: 12
; WaveLimiterHint : 1
; COMPUTE_PGM_RSRC2:SCRATCH_EN: 1
; COMPUTE_PGM_RSRC2:USER_SGPR: 2
; COMPUTE_PGM_RSRC2:TRAP_HANDLER: 0
; COMPUTE_PGM_RSRC2:TGID_X_EN: 1
; COMPUTE_PGM_RSRC2:TGID_Y_EN: 1
; COMPUTE_PGM_RSRC2:TGID_Z_EN: 1
; COMPUTE_PGM_RSRC2:TIDIG_COMP_CNT: 1
	.section	.AMDGPU.gpr_maximums,"",@progbits
	.set amdgpu.max_num_vgpr, 0
	.set amdgpu.max_num_agpr, 0
	.set amdgpu.max_num_sgpr, 0
	.section	.AMDGPU.csdata,"",@progbits
	.type	__hip_cuid_b8d9239e7a29f338,@object ; @__hip_cuid_b8d9239e7a29f338
	.section	.bss,"aw",@nobits
	.globl	__hip_cuid_b8d9239e7a29f338
__hip_cuid_b8d9239e7a29f338:
	.byte	0                               ; 0x0
	.size	__hip_cuid_b8d9239e7a29f338, 1

	.ident	"AMD clang version 22.0.0git (https://github.com/RadeonOpenCompute/llvm-project roc-7.2.4 26084 f58b06dce1f9c15707c5f808fd002e18c2accf7e)"
	.section	".note.GNU-stack","",@progbits
	.addrsig
	.addrsig_sym __hip_cuid_b8d9239e7a29f338
	.amdgpu_metadata
---
amdhsa.kernels:
  - .args:
      - .address_space:  global
        .offset:         0
        .size:           8
        .value_kind:     global_buffer
      - .address_space:  global
        .offset:         8
        .size:           8
        .value_kind:     global_buffer
      - .address_space:  global
        .offset:         16
        .size:           8
        .value_kind:     global_buffer
      - .address_space:  global
        .offset:         24
        .size:           8
        .value_kind:     global_buffer
      - .address_space:  global
        .offset:         32
        .size:           8
        .value_kind:     global_buffer
      - .address_space:  global
        .offset:         40
        .size:           8
        .value_kind:     global_buffer
      - .address_space:  global
        .offset:         48
        .size:           8
        .value_kind:     global_buffer
      - .address_space:  global
        .offset:         56
        .size:           8
        .value_kind:     global_buffer
      - .offset:         64
        .size:           4
        .value_kind:     by_value
      - .offset:         68
        .size:           4
        .value_kind:     by_value
      - .offset:         72
        .size:           4
        .value_kind:     by_value
      - .offset:         76
        .size:           4
        .value_kind:     by_value
      - .offset:         80
        .size:           4
        .value_kind:     by_value
      - .offset:         84
        .size:           4
        .value_kind:     by_value
      - .offset:         88
        .size:           4
        .value_kind:     by_value
      - .offset:         92
        .size:           12
        .value_kind:     by_value
      - .offset:         104
        .size:           4
        .value_kind:     by_value
      - .offset:         108
        .size:           4
        .value_kind:     by_value
      - .offset:         112
        .size:           4
        .value_kind:     by_value
      - .offset:         116
        .size:           4
        .value_kind:     by_value
      - .offset:         120
        .size:           4
        .value_kind:     by_value
      - .offset:         124
        .size:           4
        .value_kind:     by_value
      - .offset:         128
        .size:           4
        .value_kind:     by_value
      - .offset:         132
        .size:           4
        .value_kind:     by_value
      - .offset:         136
        .size:           4
        .value_kind:     by_value
      - .offset:         140
        .size:           4
        .value_kind:     by_value
      - .offset:         144
        .size:           4
        .value_kind:     by_value
      - .offset:         152
        .size:           8
        .value_kind:     by_value
      - .offset:         160
        .size:           4
        .value_kind:     by_value
      - .offset:         164
        .size:           4
        .value_kind:     by_value
      - .offset:         168
        .size:           8
        .value_kind:     by_value
      - .offset:         176
        .size:           4
        .value_kind:     by_value
      - .offset:         180
        .size:           4
        .value_kind:     by_value
      - .offset:         184
        .size:           4
        .value_kind:     by_value
      - .offset:         188
        .size:           4
        .value_kind:     by_value
      - .offset:         192
        .size:           4
        .value_kind:     by_value
      - .offset:         200
        .size:           8
        .value_kind:     by_value
      - .offset:         208
        .size:           4
        .value_kind:     hidden_block_count_x
      - .offset:         212
        .size:           4
        .value_kind:     hidden_block_count_y
      - .offset:         216
        .size:           4
        .value_kind:     hidden_block_count_z
      - .offset:         220
        .size:           2
        .value_kind:     hidden_group_size_x
      - .offset:         222
        .size:           2
        .value_kind:     hidden_group_size_y
      - .offset:         224
        .size:           2
        .value_kind:     hidden_group_size_z
      - .offset:         226
        .size:           2
        .value_kind:     hidden_remainder_x
      - .offset:         228
        .size:           2
        .value_kind:     hidden_remainder_y
      - .offset:         230
        .size:           2
        .value_kind:     hidden_remainder_z
      - .offset:         248
        .size:           8
        .value_kind:     hidden_global_offset_x
      - .offset:         256
        .size:           8
        .value_kind:     hidden_global_offset_y
      - .offset:         264
        .size:           8
        .value_kind:     hidden_global_offset_z
      - .offset:         272
        .size:           2
        .value_kind:     hidden_grid_dims
    .group_segment_fixed_size: 33792
    .kernarg_segment_align: 8
    .kernarg_segment_size: 464
    .language:       OpenCL C
    .language_version:
      - 2
      - 0
    .max_flat_workgroup_size: 256
    .name:           _ZL15flash_attn_tileILi128ELi128ELi8ELi8ELb0EEvPKcS1_S1_S1_S1_PKiPfP15HIP_vector_typeIfLj2EEffffjfiS5_IjLj3EEiiiiiiiiiiiliiliiiiil
    .private_segment_fixed_size: 0
    .sgpr_count:     52
    .sgpr_spill_count: 0
    .symbol:         _ZL15flash_attn_tileILi128ELi128ELi8ELi8ELb0EEvPKcS1_S1_S1_S1_PKiPfP15HIP_vector_typeIfLj2EEffffjfiS5_IjLj3EEiiiiiiiiiiiliiliiiiil.kd
    .uniform_work_group_size: 1
    .uses_dynamic_stack: false
    .vgpr_count:     124
    .vgpr_spill_count: 0
    .wavefront_size: 32
    .workgroup_processor_mode: 1
  - .args:
      - .actual_access:  read_only
        .address_space:  global
        .offset:         0
        .size:           8
        .value_kind:     global_buffer
      - .actual_access:  write_only
        .address_space:  global
        .offset:         8
        .size:           8
        .value_kind:     global_buffer
      - .offset:         16
        .size:           4
        .value_kind:     by_value
      - .offset:         20
        .size:           4
        .value_kind:     by_value
      - .offset:         24
        .size:           4
        .value_kind:     by_value
      - .offset:         32
        .size:           4
        .value_kind:     hidden_block_count_x
      - .offset:         36
        .size:           4
        .value_kind:     hidden_block_count_y
      - .offset:         40
        .size:           4
        .value_kind:     hidden_block_count_z
      - .offset:         44
        .size:           2
        .value_kind:     hidden_group_size_x
      - .offset:         46
        .size:           2
        .value_kind:     hidden_group_size_y
      - .offset:         48
        .size:           2
        .value_kind:     hidden_group_size_z
      - .offset:         50
        .size:           2
        .value_kind:     hidden_remainder_x
      - .offset:         52
        .size:           2
        .value_kind:     hidden_remainder_y
      - .offset:         54
        .size:           2
        .value_kind:     hidden_remainder_z
      - .offset:         72
        .size:           8
        .value_kind:     hidden_global_offset_x
      - .offset:         80
        .size:           8
        .value_kind:     hidden_global_offset_y
      - .offset:         88
        .size:           8
        .value_kind:     hidden_global_offset_z
      - .offset:         96
        .size:           2
        .value_kind:     hidden_grid_dims
    .group_segment_fixed_size: 128
    .kernarg_segment_align: 8
    .kernarg_segment_size: 288
    .language:       OpenCL C
    .language_version:
      - 2
      - 0
    .max_flat_workgroup_size: 128
    .name:           _ZL25flash_attn_mask_to_KV_maxILi8EEvPK7__half2Piiii
    .private_segment_fixed_size: 0
    .sgpr_count:     27
    .sgpr_spill_count: 0
    .symbol:         _ZL25flash_attn_mask_to_KV_maxILi8EEvPK7__half2Piiii.kd
    .uniform_work_group_size: 1
    .uses_dynamic_stack: false
    .vgpr_count:     9
    .vgpr_spill_count: 0
    .wavefront_size: 32
    .workgroup_processor_mode: 1
  - .args:
      - .address_space:  global
        .offset:         0
        .size:           8
        .value_kind:     global_buffer
      - .address_space:  global
        .offset:         8
        .size:           8
        .value_kind:     global_buffer
      - .offset:         16
        .size:           4
        .value_kind:     by_value
      - .offset:         20
        .size:           4
        .value_kind:     by_value
      - .offset:         24
        .size:           4
        .value_kind:     by_value
      - .offset:         28
        .size:           4
        .value_kind:     by_value
      - .offset:         32
        .size:           4
        .value_kind:     by_value
      - .offset:         36
        .size:           4
        .value_kind:     by_value
      - .offset:         40
        .size:           12
        .value_kind:     by_value
      - .offset:         52
        .size:           12
        .value_kind:     by_value
      - .offset:         64
        .size:           12
        .value_kind:     by_value
    .group_segment_fixed_size: 0
    .kernarg_segment_align: 8
    .kernarg_segment_size: 76
    .language:       OpenCL C
    .language_version:
      - 2
      - 0
    .max_flat_workgroup_size: 128
    .name:           _ZL33flash_attn_stream_k_fixup_uniformILi128ELi8ELi8EEvPfPK15HIP_vector_typeIfLj2EEiiiiiiS1_IjLj3EES5_S5_
    .private_segment_fixed_size: 0
    .sgpr_count:     18
    .sgpr_spill_count: 0
    .symbol:         _ZL33flash_attn_stream_k_fixup_uniformILi128ELi8ELi8EEvPfPK15HIP_vector_typeIfLj2EEiiiiiiS1_IjLj3EES5_S5_.kd
    .uniform_work_group_size: 1
    .uses_dynamic_stack: false
    .vgpr_count:     11
    .vgpr_spill_count: 0
    .wavefront_size: 32
    .workgroup_processor_mode: 1
  - .args:
      - .address_space:  global
        .offset:         0
        .size:           8
        .value_kind:     global_buffer
      - .address_space:  global
        .offset:         8
        .size:           8
        .value_kind:     global_buffer
      - .offset:         16
        .size:           4
        .value_kind:     by_value
      - .offset:         20
        .size:           4
        .value_kind:     by_value
      - .offset:         24
        .size:           4
        .value_kind:     by_value
      - .offset:         28
        .size:           4
        .value_kind:     by_value
      - .offset:         32
        .size:           12
        .value_kind:     by_value
      - .offset:         44
        .size:           12
        .value_kind:     by_value
      - .offset:         56
        .size:           12
        .value_kind:     by_value
      - .offset:         68
        .size:           12
        .value_kind:     by_value
      - .offset:         80
        .size:           4
        .value_kind:     hidden_block_count_x
      - .offset:         84
        .size:           4
        .value_kind:     hidden_block_count_y
      - .offset:         88
        .size:           4
        .value_kind:     hidden_block_count_z
      - .offset:         92
        .size:           2
        .value_kind:     hidden_group_size_x
      - .offset:         94
        .size:           2
        .value_kind:     hidden_group_size_y
      - .offset:         96
        .size:           2
        .value_kind:     hidden_group_size_z
      - .offset:         98
        .size:           2
        .value_kind:     hidden_remainder_x
      - .offset:         100
        .size:           2
        .value_kind:     hidden_remainder_y
      - .offset:         102
        .size:           2
        .value_kind:     hidden_remainder_z
      - .offset:         120
        .size:           8
        .value_kind:     hidden_global_offset_x
      - .offset:         128
        .size:           8
        .value_kind:     hidden_global_offset_y
      - .offset:         136
        .size:           8
        .value_kind:     hidden_global_offset_z
      - .offset:         144
        .size:           2
        .value_kind:     hidden_grid_dims
    .group_segment_fixed_size: 0
    .kernarg_segment_align: 8
    .kernarg_segment_size: 336
    .language:       OpenCL C
    .language_version:
      - 2
      - 0
    .max_flat_workgroup_size: 128
    .name:           _ZL33flash_attn_stream_k_fixup_generalILi128ELi8ELi8EEvPfPK15HIP_vector_typeIfLj2EEiiiiS1_IjLj3EES5_S5_S5_
    .private_segment_fixed_size: 0
    .sgpr_count:     46
    .sgpr_spill_count: 0
    .symbol:         _ZL33flash_attn_stream_k_fixup_generalILi128ELi8ELi8EEvPfPK15HIP_vector_typeIfLj2EEiiiiS1_IjLj3EES5_S5_S5_.kd
    .uniform_work_group_size: 1
    .uses_dynamic_stack: false
    .vgpr_count:     9
    .vgpr_spill_count: 0
    .wavefront_size: 32
    .workgroup_processor_mode: 1
  - .args:
      - .address_space:  global
        .offset:         0
        .size:           8
        .value_kind:     global_buffer
      - .address_space:  global
        .offset:         8
        .size:           8
        .value_kind:     global_buffer
      - .address_space:  global
        .offset:         16
        .size:           8
        .value_kind:     global_buffer
      - .offset:         24
        .size:           4
        .value_kind:     by_value
      - .offset:         32
        .size:           4
        .value_kind:     hidden_block_count_x
      - .offset:         36
        .size:           4
        .value_kind:     hidden_block_count_y
      - .offset:         40
        .size:           4
        .value_kind:     hidden_block_count_z
      - .offset:         44
        .size:           2
        .value_kind:     hidden_group_size_x
      - .offset:         46
        .size:           2
        .value_kind:     hidden_group_size_y
      - .offset:         48
        .size:           2
        .value_kind:     hidden_group_size_z
      - .offset:         50
        .size:           2
        .value_kind:     hidden_remainder_x
      - .offset:         52
        .size:           2
        .value_kind:     hidden_remainder_y
      - .offset:         54
        .size:           2
        .value_kind:     hidden_remainder_z
      - .offset:         72
        .size:           8
        .value_kind:     hidden_global_offset_x
      - .offset:         80
        .size:           8
        .value_kind:     hidden_global_offset_y
      - .offset:         88
        .size:           8
        .value_kind:     hidden_global_offset_z
      - .offset:         96
        .size:           2
        .value_kind:     hidden_grid_dims
      - .offset:         152
        .size:           4
        .value_kind:     hidden_dynamic_lds_size
    .group_segment_fixed_size: 0
    .kernarg_segment_align: 8
    .kernarg_segment_size: 288
    .language:       OpenCL C
    .language_version:
      - 2
      - 0
    .max_flat_workgroup_size: 128
    .name:           _ZL26flash_attn_combine_resultsILi128EEvPKfPK15HIP_vector_typeIfLj2EEPfi
    .private_segment_fixed_size: 0
    .sgpr_count:     18
    .sgpr_spill_count: 0
    .symbol:         _ZL26flash_attn_combine_resultsILi128EEvPKfPK15HIP_vector_typeIfLj2EEPfi.kd
    .uniform_work_group_size: 1
    .uses_dynamic_stack: false
    .vgpr_count:     55
    .vgpr_spill_count: 0
    .wavefront_size: 32
    .workgroup_processor_mode: 1
  - .args:
      - .address_space:  global
        .offset:         0
        .size:           8
        .value_kind:     global_buffer
      - .address_space:  global
        .offset:         8
        .size:           8
        .value_kind:     global_buffer
      - .address_space:  global
        .offset:         16
        .size:           8
        .value_kind:     global_buffer
      - .address_space:  global
        .offset:         24
        .size:           8
        .value_kind:     global_buffer
      - .address_space:  global
        .offset:         32
        .size:           8
        .value_kind:     global_buffer
      - .address_space:  global
        .offset:         40
        .size:           8
        .value_kind:     global_buffer
      - .address_space:  global
        .offset:         48
        .size:           8
        .value_kind:     global_buffer
      - .address_space:  global
        .offset:         56
        .size:           8
        .value_kind:     global_buffer
      - .offset:         64
        .size:           4
        .value_kind:     by_value
      - .offset:         68
        .size:           4
        .value_kind:     by_value
      - .offset:         72
        .size:           4
        .value_kind:     by_value
      - .offset:         76
        .size:           4
        .value_kind:     by_value
      - .offset:         80
        .size:           4
        .value_kind:     by_value
      - .offset:         84
        .size:           4
        .value_kind:     by_value
      - .offset:         88
        .size:           4
        .value_kind:     by_value
      - .offset:         92
        .size:           12
        .value_kind:     by_value
      - .offset:         104
        .size:           4
        .value_kind:     by_value
      - .offset:         108
        .size:           4
        .value_kind:     by_value
      - .offset:         112
        .size:           4
        .value_kind:     by_value
      - .offset:         116
        .size:           4
        .value_kind:     by_value
      - .offset:         120
        .size:           4
        .value_kind:     by_value
      - .offset:         124
        .size:           4
        .value_kind:     by_value
      - .offset:         128
        .size:           4
        .value_kind:     by_value
      - .offset:         132
        .size:           4
        .value_kind:     by_value
      - .offset:         136
        .size:           4
        .value_kind:     by_value
      - .offset:         140
        .size:           4
        .value_kind:     by_value
      - .offset:         144
        .size:           4
        .value_kind:     by_value
      - .offset:         152
        .size:           8
        .value_kind:     by_value
      - .offset:         160
        .size:           4
        .value_kind:     by_value
      - .offset:         164
        .size:           4
        .value_kind:     by_value
      - .offset:         168
        .size:           8
        .value_kind:     by_value
      - .offset:         176
        .size:           4
        .value_kind:     by_value
      - .offset:         180
        .size:           4
        .value_kind:     by_value
      - .offset:         184
        .size:           4
        .value_kind:     by_value
      - .offset:         188
        .size:           4
        .value_kind:     by_value
      - .offset:         192
        .size:           4
        .value_kind:     by_value
      - .offset:         200
        .size:           8
        .value_kind:     by_value
      - .offset:         208
        .size:           4
        .value_kind:     hidden_block_count_x
      - .offset:         212
        .size:           4
        .value_kind:     hidden_block_count_y
      - .offset:         216
        .size:           4
        .value_kind:     hidden_block_count_z
      - .offset:         220
        .size:           2
        .value_kind:     hidden_group_size_x
      - .offset:         222
        .size:           2
        .value_kind:     hidden_group_size_y
      - .offset:         224
        .size:           2
        .value_kind:     hidden_group_size_z
      - .offset:         226
        .size:           2
        .value_kind:     hidden_remainder_x
      - .offset:         228
        .size:           2
        .value_kind:     hidden_remainder_y
      - .offset:         230
        .size:           2
        .value_kind:     hidden_remainder_z
      - .offset:         248
        .size:           8
        .value_kind:     hidden_global_offset_x
      - .offset:         256
        .size:           8
        .value_kind:     hidden_global_offset_y
      - .offset:         264
        .size:           8
        .value_kind:     hidden_global_offset_z
      - .offset:         272
        .size:           2
        .value_kind:     hidden_grid_dims
    .group_segment_fixed_size: 34816
    .kernarg_segment_align: 8
    .kernarg_segment_size: 464
    .language:       OpenCL C
    .language_version:
      - 2
      - 0
    .max_flat_workgroup_size: 256
    .name:           _ZL15flash_attn_tileILi128ELi128ELi4ELi8ELb0EEvPKcS1_S1_S1_S1_PKiPfP15HIP_vector_typeIfLj2EEffffjfiS5_IjLj3EEiiiiiiiiiiiliiliiiiil
    .private_segment_fixed_size: 0
    .sgpr_count:     46
    .sgpr_spill_count: 0
    .symbol:         _ZL15flash_attn_tileILi128ELi128ELi4ELi8ELb0EEvPKcS1_S1_S1_S1_PKiPfP15HIP_vector_typeIfLj2EEffffjfiS5_IjLj3EEiiiiiiiiiiiliiliiiiil.kd
    .uniform_work_group_size: 1
    .uses_dynamic_stack: false
    .vgpr_count:     122
    .vgpr_spill_count: 0
    .wavefront_size: 32
    .workgroup_processor_mode: 1
  - .args:
      - .actual_access:  read_only
        .address_space:  global
        .offset:         0
        .size:           8
        .value_kind:     global_buffer
      - .actual_access:  write_only
        .address_space:  global
        .offset:         8
        .size:           8
        .value_kind:     global_buffer
      - .offset:         16
        .size:           4
        .value_kind:     by_value
      - .offset:         20
        .size:           4
        .value_kind:     by_value
      - .offset:         24
        .size:           4
        .value_kind:     by_value
      - .offset:         32
        .size:           4
        .value_kind:     hidden_block_count_x
      - .offset:         36
        .size:           4
        .value_kind:     hidden_block_count_y
      - .offset:         40
        .size:           4
        .value_kind:     hidden_block_count_z
      - .offset:         44
        .size:           2
        .value_kind:     hidden_group_size_x
      - .offset:         46
        .size:           2
        .value_kind:     hidden_group_size_y
      - .offset:         48
        .size:           2
        .value_kind:     hidden_group_size_z
      - .offset:         50
        .size:           2
        .value_kind:     hidden_remainder_x
      - .offset:         52
        .size:           2
        .value_kind:     hidden_remainder_y
      - .offset:         54
        .size:           2
        .value_kind:     hidden_remainder_z
      - .offset:         72
        .size:           8
        .value_kind:     hidden_global_offset_x
      - .offset:         80
        .size:           8
        .value_kind:     hidden_global_offset_y
      - .offset:         88
        .size:           8
        .value_kind:     hidden_global_offset_z
      - .offset:         96
        .size:           2
        .value_kind:     hidden_grid_dims
    .group_segment_fixed_size: 128
    .kernarg_segment_align: 8
    .kernarg_segment_size: 288
    .language:       OpenCL C
    .language_version:
      - 2
      - 0
    .max_flat_workgroup_size: 128
    .name:           _ZL25flash_attn_mask_to_KV_maxILi4EEvPK7__half2Piiii
    .private_segment_fixed_size: 0
    .sgpr_count:     19
    .sgpr_spill_count: 0
    .symbol:         _ZL25flash_attn_mask_to_KV_maxILi4EEvPK7__half2Piiii.kd
    .uniform_work_group_size: 1
    .uses_dynamic_stack: false
    .vgpr_count:     9
    .vgpr_spill_count: 0
    .wavefront_size: 32
    .workgroup_processor_mode: 1
  - .args:
      - .address_space:  global
        .offset:         0
        .size:           8
        .value_kind:     global_buffer
      - .address_space:  global
        .offset:         8
        .size:           8
        .value_kind:     global_buffer
      - .offset:         16
        .size:           4
        .value_kind:     by_value
      - .offset:         20
        .size:           4
        .value_kind:     by_value
      - .offset:         24
        .size:           4
        .value_kind:     by_value
      - .offset:         28
        .size:           4
        .value_kind:     by_value
      - .offset:         32
        .size:           4
        .value_kind:     by_value
      - .offset:         36
        .size:           4
        .value_kind:     by_value
      - .offset:         40
        .size:           12
        .value_kind:     by_value
      - .offset:         52
        .size:           12
        .value_kind:     by_value
      - .offset:         64
        .size:           12
        .value_kind:     by_value
    .group_segment_fixed_size: 0
    .kernarg_segment_align: 8
    .kernarg_segment_size: 76
    .language:       OpenCL C
    .language_version:
      - 2
      - 0
    .max_flat_workgroup_size: 128
    .name:           _ZL33flash_attn_stream_k_fixup_uniformILi128ELi4ELi8EEvPfPK15HIP_vector_typeIfLj2EEiiiiiiS1_IjLj3EES5_S5_
    .private_segment_fixed_size: 0
    .sgpr_count:     18
    .sgpr_spill_count: 0
    .symbol:         _ZL33flash_attn_stream_k_fixup_uniformILi128ELi4ELi8EEvPfPK15HIP_vector_typeIfLj2EEiiiiiiS1_IjLj3EES5_S5_.kd
    .uniform_work_group_size: 1
    .uses_dynamic_stack: false
    .vgpr_count:     11
    .vgpr_spill_count: 0
    .wavefront_size: 32
    .workgroup_processor_mode: 1
  - .args:
      - .address_space:  global
        .offset:         0
        .size:           8
        .value_kind:     global_buffer
      - .address_space:  global
        .offset:         8
        .size:           8
        .value_kind:     global_buffer
      - .offset:         16
        .size:           4
        .value_kind:     by_value
      - .offset:         20
        .size:           4
        .value_kind:     by_value
      - .offset:         24
        .size:           4
        .value_kind:     by_value
      - .offset:         28
        .size:           4
        .value_kind:     by_value
      - .offset:         32
        .size:           12
        .value_kind:     by_value
      - .offset:         44
        .size:           12
        .value_kind:     by_value
      - .offset:         56
        .size:           12
        .value_kind:     by_value
      - .offset:         68
        .size:           12
        .value_kind:     by_value
      - .offset:         80
        .size:           4
        .value_kind:     hidden_block_count_x
      - .offset:         84
        .size:           4
        .value_kind:     hidden_block_count_y
      - .offset:         88
        .size:           4
        .value_kind:     hidden_block_count_z
      - .offset:         92
        .size:           2
        .value_kind:     hidden_group_size_x
      - .offset:         94
        .size:           2
        .value_kind:     hidden_group_size_y
      - .offset:         96
        .size:           2
        .value_kind:     hidden_group_size_z
      - .offset:         98
        .size:           2
        .value_kind:     hidden_remainder_x
      - .offset:         100
        .size:           2
        .value_kind:     hidden_remainder_y
      - .offset:         102
        .size:           2
        .value_kind:     hidden_remainder_z
      - .offset:         120
        .size:           8
        .value_kind:     hidden_global_offset_x
      - .offset:         128
        .size:           8
        .value_kind:     hidden_global_offset_y
      - .offset:         136
        .size:           8
        .value_kind:     hidden_global_offset_z
      - .offset:         144
        .size:           2
        .value_kind:     hidden_grid_dims
    .group_segment_fixed_size: 0
    .kernarg_segment_align: 8
    .kernarg_segment_size: 336
    .language:       OpenCL C
    .language_version:
      - 2
      - 0
    .max_flat_workgroup_size: 128
    .name:           _ZL33flash_attn_stream_k_fixup_generalILi128ELi4ELi8EEvPfPK15HIP_vector_typeIfLj2EEiiiiS1_IjLj3EES5_S5_S5_
    .private_segment_fixed_size: 0
    .sgpr_count:     46
    .sgpr_spill_count: 0
    .symbol:         _ZL33flash_attn_stream_k_fixup_generalILi128ELi4ELi8EEvPfPK15HIP_vector_typeIfLj2EEiiiiS1_IjLj3EES5_S5_S5_.kd
    .uniform_work_group_size: 1
    .uses_dynamic_stack: false
    .vgpr_count:     9
    .vgpr_spill_count: 0
    .wavefront_size: 32
    .workgroup_processor_mode: 1
  - .args:
      - .address_space:  global
        .offset:         0
        .size:           8
        .value_kind:     global_buffer
      - .address_space:  global
        .offset:         8
        .size:           8
        .value_kind:     global_buffer
      - .address_space:  global
        .offset:         16
        .size:           8
        .value_kind:     global_buffer
      - .address_space:  global
        .offset:         24
        .size:           8
        .value_kind:     global_buffer
      - .address_space:  global
        .offset:         32
        .size:           8
        .value_kind:     global_buffer
      - .address_space:  global
        .offset:         40
        .size:           8
        .value_kind:     global_buffer
      - .address_space:  global
        .offset:         48
        .size:           8
        .value_kind:     global_buffer
      - .address_space:  global
        .offset:         56
        .size:           8
        .value_kind:     global_buffer
      - .offset:         64
        .size:           4
        .value_kind:     by_value
      - .offset:         68
        .size:           4
        .value_kind:     by_value
      - .offset:         72
        .size:           4
        .value_kind:     by_value
      - .offset:         76
        .size:           4
        .value_kind:     by_value
      - .offset:         80
        .size:           4
        .value_kind:     by_value
      - .offset:         84
        .size:           4
        .value_kind:     by_value
      - .offset:         88
        .size:           4
        .value_kind:     by_value
      - .offset:         92
        .size:           12
        .value_kind:     by_value
      - .offset:         104
        .size:           4
        .value_kind:     by_value
      - .offset:         108
        .size:           4
        .value_kind:     by_value
      - .offset:         112
        .size:           4
        .value_kind:     by_value
      - .offset:         116
        .size:           4
        .value_kind:     by_value
      - .offset:         120
        .size:           4
        .value_kind:     by_value
      - .offset:         124
        .size:           4
        .value_kind:     by_value
      - .offset:         128
        .size:           4
        .value_kind:     by_value
      - .offset:         132
        .size:           4
        .value_kind:     by_value
      - .offset:         136
        .size:           4
        .value_kind:     by_value
      - .offset:         140
        .size:           4
        .value_kind:     by_value
      - .offset:         144
        .size:           4
        .value_kind:     by_value
      - .offset:         152
        .size:           8
        .value_kind:     by_value
      - .offset:         160
        .size:           4
        .value_kind:     by_value
      - .offset:         164
        .size:           4
        .value_kind:     by_value
      - .offset:         168
        .size:           8
        .value_kind:     by_value
      - .offset:         176
        .size:           4
        .value_kind:     by_value
      - .offset:         180
        .size:           4
        .value_kind:     by_value
      - .offset:         184
        .size:           4
        .value_kind:     by_value
      - .offset:         188
        .size:           4
        .value_kind:     by_value
      - .offset:         192
        .size:           4
        .value_kind:     by_value
      - .offset:         200
        .size:           8
        .value_kind:     by_value
      - .offset:         208
        .size:           4
        .value_kind:     hidden_block_count_x
      - .offset:         212
        .size:           4
        .value_kind:     hidden_block_count_y
      - .offset:         216
        .size:           4
        .value_kind:     hidden_block_count_z
      - .offset:         220
        .size:           2
        .value_kind:     hidden_group_size_x
      - .offset:         222
        .size:           2
        .value_kind:     hidden_group_size_y
      - .offset:         224
        .size:           2
        .value_kind:     hidden_group_size_z
      - .offset:         226
        .size:           2
        .value_kind:     hidden_remainder_x
      - .offset:         228
        .size:           2
        .value_kind:     hidden_remainder_y
      - .offset:         230
        .size:           2
        .value_kind:     hidden_remainder_z
      - .offset:         248
        .size:           8
        .value_kind:     hidden_global_offset_x
      - .offset:         256
        .size:           8
        .value_kind:     hidden_global_offset_y
      - .offset:         264
        .size:           8
        .value_kind:     hidden_global_offset_z
      - .offset:         272
        .size:           2
        .value_kind:     hidden_grid_dims
    .group_segment_fixed_size: 43008
    .kernarg_segment_align: 8
    .kernarg_segment_size: 464
    .language:       OpenCL C
    .language_version:
      - 2
      - 0
    .max_flat_workgroup_size: 256
    .name:           _ZL15flash_attn_tileILi128ELi128ELi2ELi8ELb0EEvPKcS1_S1_S1_S1_PKiPfP15HIP_vector_typeIfLj2EEffffjfiS5_IjLj3EEiiiiiiiiiiiliiliiiiil
    .private_segment_fixed_size: 0
    .sgpr_count:     54
    .sgpr_spill_count: 0
    .symbol:         _ZL15flash_attn_tileILi128ELi128ELi2ELi8ELb0EEvPKcS1_S1_S1_S1_PKiPfP15HIP_vector_typeIfLj2EEffffjfiS5_IjLj3EEiiiiiiiiiiiliiliiiiil.kd
    .uniform_work_group_size: 1
    .uses_dynamic_stack: false
    .vgpr_count:     245
    .vgpr_spill_count: 0
    .wavefront_size: 32
    .workgroup_processor_mode: 1
  - .args:
      - .actual_access:  read_only
        .address_space:  global
        .offset:         0
        .size:           8
        .value_kind:     global_buffer
      - .actual_access:  write_only
        .address_space:  global
        .offset:         8
        .size:           8
        .value_kind:     global_buffer
      - .offset:         16
        .size:           4
        .value_kind:     by_value
      - .offset:         20
        .size:           4
        .value_kind:     by_value
      - .offset:         24
        .size:           4
        .value_kind:     by_value
      - .offset:         32
        .size:           4
        .value_kind:     hidden_block_count_x
      - .offset:         36
        .size:           4
        .value_kind:     hidden_block_count_y
      - .offset:         40
        .size:           4
        .value_kind:     hidden_block_count_z
      - .offset:         44
        .size:           2
        .value_kind:     hidden_group_size_x
      - .offset:         46
        .size:           2
        .value_kind:     hidden_group_size_y
      - .offset:         48
        .size:           2
        .value_kind:     hidden_group_size_z
      - .offset:         50
        .size:           2
        .value_kind:     hidden_remainder_x
      - .offset:         52
        .size:           2
        .value_kind:     hidden_remainder_y
      - .offset:         54
        .size:           2
        .value_kind:     hidden_remainder_z
      - .offset:         72
        .size:           8
        .value_kind:     hidden_global_offset_x
      - .offset:         80
        .size:           8
        .value_kind:     hidden_global_offset_y
      - .offset:         88
        .size:           8
        .value_kind:     hidden_global_offset_z
      - .offset:         96
        .size:           2
        .value_kind:     hidden_grid_dims
    .group_segment_fixed_size: 128
    .kernarg_segment_align: 8
    .kernarg_segment_size: 288
    .language:       OpenCL C
    .language_version:
      - 2
      - 0
    .max_flat_workgroup_size: 128
    .name:           _ZL25flash_attn_mask_to_KV_maxILi2EEvPK7__half2Piiii
    .private_segment_fixed_size: 0
    .sgpr_count:     15
    .sgpr_spill_count: 0
    .symbol:         _ZL25flash_attn_mask_to_KV_maxILi2EEvPK7__half2Piiii.kd
    .uniform_work_group_size: 1
    .uses_dynamic_stack: false
    .vgpr_count:     7
    .vgpr_spill_count: 0
    .wavefront_size: 32
    .workgroup_processor_mode: 1
  - .args:
      - .address_space:  global
        .offset:         0
        .size:           8
        .value_kind:     global_buffer
      - .address_space:  global
        .offset:         8
        .size:           8
        .value_kind:     global_buffer
      - .offset:         16
        .size:           4
        .value_kind:     by_value
      - .offset:         20
        .size:           4
        .value_kind:     by_value
      - .offset:         24
        .size:           4
        .value_kind:     by_value
      - .offset:         28
        .size:           4
        .value_kind:     by_value
      - .offset:         32
        .size:           4
        .value_kind:     by_value
      - .offset:         36
        .size:           4
        .value_kind:     by_value
      - .offset:         40
        .size:           12
        .value_kind:     by_value
      - .offset:         52
        .size:           12
        .value_kind:     by_value
      - .offset:         64
        .size:           12
        .value_kind:     by_value
    .group_segment_fixed_size: 0
    .kernarg_segment_align: 8
    .kernarg_segment_size: 76
    .language:       OpenCL C
    .language_version:
      - 2
      - 0
    .max_flat_workgroup_size: 128
    .name:           _ZL33flash_attn_stream_k_fixup_uniformILi128ELi2ELi8EEvPfPK15HIP_vector_typeIfLj2EEiiiiiiS1_IjLj3EES5_S5_
    .private_segment_fixed_size: 0
    .sgpr_count:     18
    .sgpr_spill_count: 0
    .symbol:         _ZL33flash_attn_stream_k_fixup_uniformILi128ELi2ELi8EEvPfPK15HIP_vector_typeIfLj2EEiiiiiiS1_IjLj3EES5_S5_.kd
    .uniform_work_group_size: 1
    .uses_dynamic_stack: false
    .vgpr_count:     11
    .vgpr_spill_count: 0
    .wavefront_size: 32
    .workgroup_processor_mode: 1
  - .args:
      - .address_space:  global
        .offset:         0
        .size:           8
        .value_kind:     global_buffer
      - .address_space:  global
        .offset:         8
        .size:           8
        .value_kind:     global_buffer
      - .offset:         16
        .size:           4
        .value_kind:     by_value
      - .offset:         20
        .size:           4
        .value_kind:     by_value
      - .offset:         24
        .size:           4
        .value_kind:     by_value
      - .offset:         28
        .size:           4
        .value_kind:     by_value
      - .offset:         32
        .size:           12
        .value_kind:     by_value
      - .offset:         44
        .size:           12
        .value_kind:     by_value
      - .offset:         56
        .size:           12
        .value_kind:     by_value
      - .offset:         68
        .size:           12
        .value_kind:     by_value
      - .offset:         80
        .size:           4
        .value_kind:     hidden_block_count_x
      - .offset:         84
        .size:           4
        .value_kind:     hidden_block_count_y
      - .offset:         88
        .size:           4
        .value_kind:     hidden_block_count_z
      - .offset:         92
        .size:           2
        .value_kind:     hidden_group_size_x
      - .offset:         94
        .size:           2
        .value_kind:     hidden_group_size_y
      - .offset:         96
        .size:           2
        .value_kind:     hidden_group_size_z
      - .offset:         98
        .size:           2
        .value_kind:     hidden_remainder_x
      - .offset:         100
        .size:           2
        .value_kind:     hidden_remainder_y
      - .offset:         102
        .size:           2
        .value_kind:     hidden_remainder_z
      - .offset:         120
        .size:           8
        .value_kind:     hidden_global_offset_x
      - .offset:         128
        .size:           8
        .value_kind:     hidden_global_offset_y
      - .offset:         136
        .size:           8
        .value_kind:     hidden_global_offset_z
      - .offset:         144
        .size:           2
        .value_kind:     hidden_grid_dims
    .group_segment_fixed_size: 0
    .kernarg_segment_align: 8
    .kernarg_segment_size: 336
    .language:       OpenCL C
    .language_version:
      - 2
      - 0
    .max_flat_workgroup_size: 128
    .name:           _ZL33flash_attn_stream_k_fixup_generalILi128ELi2ELi8EEvPfPK15HIP_vector_typeIfLj2EEiiiiS1_IjLj3EES5_S5_S5_
    .private_segment_fixed_size: 0
    .sgpr_count:     46
    .sgpr_spill_count: 0
    .symbol:         _ZL33flash_attn_stream_k_fixup_generalILi128ELi2ELi8EEvPfPK15HIP_vector_typeIfLj2EEiiiiS1_IjLj3EES5_S5_S5_.kd
    .uniform_work_group_size: 1
    .uses_dynamic_stack: false
    .vgpr_count:     9
    .vgpr_spill_count: 0
    .wavefront_size: 32
    .workgroup_processor_mode: 1
  - .args:
      - .address_space:  global
        .offset:         0
        .size:           8
        .value_kind:     global_buffer
      - .address_space:  global
        .offset:         8
        .size:           8
        .value_kind:     global_buffer
      - .address_space:  global
        .offset:         16
        .size:           8
        .value_kind:     global_buffer
      - .address_space:  global
        .offset:         24
        .size:           8
        .value_kind:     global_buffer
      - .address_space:  global
        .offset:         32
        .size:           8
        .value_kind:     global_buffer
      - .address_space:  global
        .offset:         40
        .size:           8
        .value_kind:     global_buffer
      - .address_space:  global
        .offset:         48
        .size:           8
        .value_kind:     global_buffer
      - .address_space:  global
        .offset:         56
        .size:           8
        .value_kind:     global_buffer
      - .offset:         64
        .size:           4
        .value_kind:     by_value
      - .offset:         68
        .size:           4
        .value_kind:     by_value
      - .offset:         72
        .size:           4
        .value_kind:     by_value
      - .offset:         76
        .size:           4
        .value_kind:     by_value
      - .offset:         80
        .size:           4
        .value_kind:     by_value
      - .offset:         84
        .size:           4
        .value_kind:     by_value
      - .offset:         88
        .size:           4
        .value_kind:     by_value
      - .offset:         92
        .size:           12
        .value_kind:     by_value
      - .offset:         104
        .size:           4
        .value_kind:     by_value
      - .offset:         108
        .size:           4
        .value_kind:     by_value
      - .offset:         112
        .size:           4
        .value_kind:     by_value
      - .offset:         116
        .size:           4
        .value_kind:     by_value
      - .offset:         120
        .size:           4
        .value_kind:     by_value
      - .offset:         124
        .size:           4
        .value_kind:     by_value
      - .offset:         128
        .size:           4
        .value_kind:     by_value
      - .offset:         132
        .size:           4
        .value_kind:     by_value
      - .offset:         136
        .size:           4
        .value_kind:     by_value
      - .offset:         140
        .size:           4
        .value_kind:     by_value
      - .offset:         144
        .size:           4
        .value_kind:     by_value
      - .offset:         152
        .size:           8
        .value_kind:     by_value
      - .offset:         160
        .size:           4
        .value_kind:     by_value
      - .offset:         164
        .size:           4
        .value_kind:     by_value
      - .offset:         168
        .size:           8
        .value_kind:     by_value
      - .offset:         176
        .size:           4
        .value_kind:     by_value
      - .offset:         180
        .size:           4
        .value_kind:     by_value
      - .offset:         184
        .size:           4
        .value_kind:     by_value
      - .offset:         188
        .size:           4
        .value_kind:     by_value
      - .offset:         192
        .size:           4
        .value_kind:     by_value
      - .offset:         200
        .size:           8
        .value_kind:     by_value
      - .offset:         208
        .size:           4
        .value_kind:     hidden_block_count_x
      - .offset:         212
        .size:           4
        .value_kind:     hidden_block_count_y
      - .offset:         216
        .size:           4
        .value_kind:     hidden_block_count_z
      - .offset:         220
        .size:           2
        .value_kind:     hidden_group_size_x
      - .offset:         222
        .size:           2
        .value_kind:     hidden_group_size_y
      - .offset:         224
        .size:           2
        .value_kind:     hidden_group_size_z
      - .offset:         226
        .size:           2
        .value_kind:     hidden_remainder_x
      - .offset:         228
        .size:           2
        .value_kind:     hidden_remainder_y
      - .offset:         230
        .size:           2
        .value_kind:     hidden_remainder_z
      - .offset:         248
        .size:           8
        .value_kind:     hidden_global_offset_x
      - .offset:         256
        .size:           8
        .value_kind:     hidden_global_offset_y
      - .offset:         264
        .size:           8
        .value_kind:     hidden_global_offset_z
      - .offset:         272
        .size:           2
        .value_kind:     hidden_grid_dims
    .group_segment_fixed_size: 12288
    .kernarg_segment_align: 8
    .kernarg_segment_size: 464
    .language:       OpenCL C
    .language_version:
      - 2
      - 0
    .max_flat_workgroup_size: 128
    .name:           _ZL15flash_attn_tileILi128ELi128ELi1ELi8ELb0EEvPKcS1_S1_S1_S1_PKiPfP15HIP_vector_typeIfLj2EEffffjfiS5_IjLj3EEiiiiiiiiiiiliiliiiiil
    .private_segment_fixed_size: 0
    .sgpr_count:     46
    .sgpr_spill_count: 0
    .symbol:         _ZL15flash_attn_tileILi128ELi128ELi1ELi8ELb0EEvPKcS1_S1_S1_S1_PKiPfP15HIP_vector_typeIfLj2EEffffjfiS5_IjLj3EEiiiiiiiiiiiliiliiiiil.kd
    .uniform_work_group_size: 1
    .uses_dynamic_stack: false
    .vgpr_count:     137
    .vgpr_spill_count: 0
    .wavefront_size: 32
    .workgroup_processor_mode: 1
  - .args:
      - .actual_access:  read_only
        .address_space:  global
        .offset:         0
        .size:           8
        .value_kind:     global_buffer
      - .actual_access:  write_only
        .address_space:  global
        .offset:         8
        .size:           8
        .value_kind:     global_buffer
      - .offset:         16
        .size:           4
        .value_kind:     by_value
      - .offset:         20
        .size:           4
        .value_kind:     by_value
      - .offset:         24
        .size:           4
        .value_kind:     by_value
      - .offset:         32
        .size:           4
        .value_kind:     hidden_block_count_x
      - .offset:         36
        .size:           4
        .value_kind:     hidden_block_count_y
      - .offset:         40
        .size:           4
        .value_kind:     hidden_block_count_z
      - .offset:         44
        .size:           2
        .value_kind:     hidden_group_size_x
      - .offset:         46
        .size:           2
        .value_kind:     hidden_group_size_y
      - .offset:         48
        .size:           2
        .value_kind:     hidden_group_size_z
      - .offset:         50
        .size:           2
        .value_kind:     hidden_remainder_x
      - .offset:         52
        .size:           2
        .value_kind:     hidden_remainder_y
      - .offset:         54
        .size:           2
        .value_kind:     hidden_remainder_z
      - .offset:         72
        .size:           8
        .value_kind:     hidden_global_offset_x
      - .offset:         80
        .size:           8
        .value_kind:     hidden_global_offset_y
      - .offset:         88
        .size:           8
        .value_kind:     hidden_global_offset_z
      - .offset:         96
        .size:           2
        .value_kind:     hidden_grid_dims
    .group_segment_fixed_size: 128
    .kernarg_segment_align: 8
    .kernarg_segment_size: 288
    .language:       OpenCL C
    .language_version:
      - 2
      - 0
    .max_flat_workgroup_size: 128
    .name:           _ZL25flash_attn_mask_to_KV_maxILi1EEvPK7__half2Piiii
    .private_segment_fixed_size: 0
    .sgpr_count:     13
    .sgpr_spill_count: 0
    .symbol:         _ZL25flash_attn_mask_to_KV_maxILi1EEvPK7__half2Piiii.kd
    .uniform_work_group_size: 1
    .uses_dynamic_stack: false
    .vgpr_count:     7
    .vgpr_spill_count: 0
    .wavefront_size: 32
    .workgroup_processor_mode: 1
  - .args:
      - .address_space:  global
        .offset:         0
        .size:           8
        .value_kind:     global_buffer
      - .address_space:  global
        .offset:         8
        .size:           8
        .value_kind:     global_buffer
      - .offset:         16
        .size:           4
        .value_kind:     by_value
      - .offset:         20
        .size:           4
        .value_kind:     by_value
      - .offset:         24
        .size:           4
        .value_kind:     by_value
      - .offset:         28
        .size:           4
        .value_kind:     by_value
      - .offset:         32
        .size:           4
        .value_kind:     by_value
      - .offset:         36
        .size:           4
        .value_kind:     by_value
      - .offset:         40
        .size:           12
        .value_kind:     by_value
      - .offset:         52
        .size:           12
        .value_kind:     by_value
      - .offset:         64
        .size:           12
        .value_kind:     by_value
    .group_segment_fixed_size: 0
    .kernarg_segment_align: 8
    .kernarg_segment_size: 76
    .language:       OpenCL C
    .language_version:
      - 2
      - 0
    .max_flat_workgroup_size: 128
    .name:           _ZL33flash_attn_stream_k_fixup_uniformILi128ELi1ELi8EEvPfPK15HIP_vector_typeIfLj2EEiiiiiiS1_IjLj3EES5_S5_
    .private_segment_fixed_size: 0
    .sgpr_count:     22
    .sgpr_spill_count: 0
    .symbol:         _ZL33flash_attn_stream_k_fixup_uniformILi128ELi1ELi8EEvPfPK15HIP_vector_typeIfLj2EEiiiiiiS1_IjLj3EES5_S5_.kd
    .uniform_work_group_size: 1
    .uses_dynamic_stack: false
    .vgpr_count:     11
    .vgpr_spill_count: 0
    .wavefront_size: 32
    .workgroup_processor_mode: 1
  - .args:
      - .address_space:  global
        .offset:         0
        .size:           8
        .value_kind:     global_buffer
      - .address_space:  global
        .offset:         8
        .size:           8
        .value_kind:     global_buffer
      - .offset:         16
        .size:           4
        .value_kind:     by_value
      - .offset:         20
        .size:           4
        .value_kind:     by_value
      - .offset:         24
        .size:           4
        .value_kind:     by_value
      - .offset:         28
        .size:           4
        .value_kind:     by_value
      - .offset:         32
        .size:           12
        .value_kind:     by_value
      - .offset:         44
        .size:           12
        .value_kind:     by_value
      - .offset:         56
        .size:           12
        .value_kind:     by_value
      - .offset:         68
        .size:           12
        .value_kind:     by_value
      - .offset:         80
        .size:           4
        .value_kind:     hidden_block_count_x
      - .offset:         84
        .size:           4
        .value_kind:     hidden_block_count_y
      - .offset:         88
        .size:           4
        .value_kind:     hidden_block_count_z
      - .offset:         92
        .size:           2
        .value_kind:     hidden_group_size_x
      - .offset:         94
        .size:           2
        .value_kind:     hidden_group_size_y
      - .offset:         96
        .size:           2
        .value_kind:     hidden_group_size_z
      - .offset:         98
        .size:           2
        .value_kind:     hidden_remainder_x
      - .offset:         100
        .size:           2
        .value_kind:     hidden_remainder_y
      - .offset:         102
        .size:           2
        .value_kind:     hidden_remainder_z
      - .offset:         120
        .size:           8
        .value_kind:     hidden_global_offset_x
      - .offset:         128
        .size:           8
        .value_kind:     hidden_global_offset_y
      - .offset:         136
        .size:           8
        .value_kind:     hidden_global_offset_z
      - .offset:         144
        .size:           2
        .value_kind:     hidden_grid_dims
    .group_segment_fixed_size: 0
    .kernarg_segment_align: 8
    .kernarg_segment_size: 336
    .language:       OpenCL C
    .language_version:
      - 2
      - 0
    .max_flat_workgroup_size: 128
    .name:           _ZL33flash_attn_stream_k_fixup_generalILi128ELi1ELi8EEvPfPK15HIP_vector_typeIfLj2EEiiiiS1_IjLj3EES5_S5_S5_
    .private_segment_fixed_size: 0
    .sgpr_count:     46
    .sgpr_spill_count: 0
    .symbol:         _ZL33flash_attn_stream_k_fixup_generalILi128ELi1ELi8EEvPfPK15HIP_vector_typeIfLj2EEiiiiS1_IjLj3EES5_S5_S5_.kd
    .uniform_work_group_size: 1
    .uses_dynamic_stack: false
    .vgpr_count:     9
    .vgpr_spill_count: 0
    .wavefront_size: 32
    .workgroup_processor_mode: 1
  - .args:
      - .address_space:  global
        .offset:         0
        .size:           8
        .value_kind:     global_buffer
      - .address_space:  global
        .offset:         8
        .size:           8
        .value_kind:     global_buffer
      - .address_space:  global
        .offset:         16
        .size:           8
        .value_kind:     global_buffer
      - .address_space:  global
        .offset:         24
        .size:           8
        .value_kind:     global_buffer
      - .address_space:  global
        .offset:         32
        .size:           8
        .value_kind:     global_buffer
      - .address_space:  global
        .offset:         40
        .size:           8
        .value_kind:     global_buffer
      - .address_space:  global
        .offset:         48
        .size:           8
        .value_kind:     global_buffer
      - .address_space:  global
        .offset:         56
        .size:           8
        .value_kind:     global_buffer
      - .offset:         64
        .size:           4
        .value_kind:     by_value
      - .offset:         68
        .size:           4
        .value_kind:     by_value
      - .offset:         72
        .size:           4
        .value_kind:     by_value
      - .offset:         76
        .size:           4
        .value_kind:     by_value
      - .offset:         80
        .size:           4
        .value_kind:     by_value
      - .offset:         84
        .size:           4
        .value_kind:     by_value
      - .offset:         88
        .size:           4
        .value_kind:     by_value
      - .offset:         92
        .size:           12
        .value_kind:     by_value
      - .offset:         104
        .size:           4
        .value_kind:     by_value
      - .offset:         108
        .size:           4
        .value_kind:     by_value
      - .offset:         112
        .size:           4
        .value_kind:     by_value
      - .offset:         116
        .size:           4
        .value_kind:     by_value
      - .offset:         120
        .size:           4
        .value_kind:     by_value
      - .offset:         124
        .size:           4
        .value_kind:     by_value
      - .offset:         128
        .size:           4
        .value_kind:     by_value
      - .offset:         132
        .size:           4
        .value_kind:     by_value
      - .offset:         136
        .size:           4
        .value_kind:     by_value
      - .offset:         140
        .size:           4
        .value_kind:     by_value
      - .offset:         144
        .size:           4
        .value_kind:     by_value
      - .offset:         152
        .size:           8
        .value_kind:     by_value
      - .offset:         160
        .size:           4
        .value_kind:     by_value
      - .offset:         164
        .size:           4
        .value_kind:     by_value
      - .offset:         168
        .size:           8
        .value_kind:     by_value
      - .offset:         176
        .size:           4
        .value_kind:     by_value
      - .offset:         180
        .size:           4
        .value_kind:     by_value
      - .offset:         184
        .size:           4
        .value_kind:     by_value
      - .offset:         188
        .size:           4
        .value_kind:     by_value
      - .offset:         192
        .size:           4
        .value_kind:     by_value
      - .offset:         200
        .size:           8
        .value_kind:     by_value
      - .offset:         208
        .size:           4
        .value_kind:     hidden_block_count_x
      - .offset:         212
        .size:           4
        .value_kind:     hidden_block_count_y
      - .offset:         216
        .size:           4
        .value_kind:     hidden_block_count_z
      - .offset:         220
        .size:           2
        .value_kind:     hidden_group_size_x
      - .offset:         222
        .size:           2
        .value_kind:     hidden_group_size_y
      - .offset:         224
        .size:           2
        .value_kind:     hidden_group_size_z
      - .offset:         226
        .size:           2
        .value_kind:     hidden_remainder_x
      - .offset:         228
        .size:           2
        .value_kind:     hidden_remainder_y
      - .offset:         230
        .size:           2
        .value_kind:     hidden_remainder_z
      - .offset:         248
        .size:           8
        .value_kind:     hidden_global_offset_x
      - .offset:         256
        .size:           8
        .value_kind:     hidden_global_offset_y
      - .offset:         264
        .size:           8
        .value_kind:     hidden_global_offset_z
      - .offset:         272
        .size:           2
        .value_kind:     hidden_grid_dims
    .group_segment_fixed_size: 33792
    .kernarg_segment_align: 8
    .kernarg_segment_size: 464
    .language:       OpenCL C
    .language_version:
      - 2
      - 0
    .max_flat_workgroup_size: 256
    .name:           _ZL15flash_attn_tileILi128ELi128ELi16ELi4ELb0EEvPKcS1_S1_S1_S1_PKiPfP15HIP_vector_typeIfLj2EEffffjfiS5_IjLj3EEiiiiiiiiiiiliiliiiiil
    .private_segment_fixed_size: 0
    .sgpr_count:     54
    .sgpr_spill_count: 0
    .symbol:         _ZL15flash_attn_tileILi128ELi128ELi16ELi4ELb0EEvPKcS1_S1_S1_S1_PKiPfP15HIP_vector_typeIfLj2EEffffjfiS5_IjLj3EEiiiiiiiiiiiliiliiiiil.kd
    .uniform_work_group_size: 1
    .uses_dynamic_stack: false
    .vgpr_count:     134
    .vgpr_spill_count: 0
    .wavefront_size: 32
    .workgroup_processor_mode: 1
  - .args:
      - .actual_access:  read_only
        .address_space:  global
        .offset:         0
        .size:           8
        .value_kind:     global_buffer
      - .actual_access:  write_only
        .address_space:  global
        .offset:         8
        .size:           8
        .value_kind:     global_buffer
      - .offset:         16
        .size:           4
        .value_kind:     by_value
      - .offset:         20
        .size:           4
        .value_kind:     by_value
      - .offset:         24
        .size:           4
        .value_kind:     by_value
      - .offset:         32
        .size:           4
        .value_kind:     hidden_block_count_x
      - .offset:         36
        .size:           4
        .value_kind:     hidden_block_count_y
      - .offset:         40
        .size:           4
        .value_kind:     hidden_block_count_z
      - .offset:         44
        .size:           2
        .value_kind:     hidden_group_size_x
      - .offset:         46
        .size:           2
        .value_kind:     hidden_group_size_y
      - .offset:         48
        .size:           2
        .value_kind:     hidden_group_size_z
      - .offset:         50
        .size:           2
        .value_kind:     hidden_remainder_x
      - .offset:         52
        .size:           2
        .value_kind:     hidden_remainder_y
      - .offset:         54
        .size:           2
        .value_kind:     hidden_remainder_z
      - .offset:         72
        .size:           8
        .value_kind:     hidden_global_offset_x
      - .offset:         80
        .size:           8
        .value_kind:     hidden_global_offset_y
      - .offset:         88
        .size:           8
        .value_kind:     hidden_global_offset_z
      - .offset:         96
        .size:           2
        .value_kind:     hidden_grid_dims
    .group_segment_fixed_size: 128
    .kernarg_segment_align: 8
    .kernarg_segment_size: 288
    .language:       OpenCL C
    .language_version:
      - 2
      - 0
    .max_flat_workgroup_size: 128
    .name:           _ZL25flash_attn_mask_to_KV_maxILi16EEvPK7__half2Piiii
    .private_segment_fixed_size: 0
    .sgpr_count:     44
    .sgpr_spill_count: 0
    .symbol:         _ZL25flash_attn_mask_to_KV_maxILi16EEvPK7__half2Piiii.kd
    .uniform_work_group_size: 1
    .uses_dynamic_stack: false
    .vgpr_count:     9
    .vgpr_spill_count: 0
    .wavefront_size: 32
    .workgroup_processor_mode: 1
  - .args:
      - .address_space:  global
        .offset:         0
        .size:           8
        .value_kind:     global_buffer
      - .address_space:  global
        .offset:         8
        .size:           8
        .value_kind:     global_buffer
      - .offset:         16
        .size:           4
        .value_kind:     by_value
      - .offset:         20
        .size:           4
        .value_kind:     by_value
      - .offset:         24
        .size:           4
        .value_kind:     by_value
      - .offset:         28
        .size:           4
        .value_kind:     by_value
      - .offset:         32
        .size:           4
        .value_kind:     by_value
      - .offset:         36
        .size:           4
        .value_kind:     by_value
      - .offset:         40
        .size:           12
        .value_kind:     by_value
      - .offset:         52
        .size:           12
        .value_kind:     by_value
      - .offset:         64
        .size:           12
        .value_kind:     by_value
    .group_segment_fixed_size: 0
    .kernarg_segment_align: 8
    .kernarg_segment_size: 76
    .language:       OpenCL C
    .language_version:
      - 2
      - 0
    .max_flat_workgroup_size: 128
    .name:           _ZL33flash_attn_stream_k_fixup_uniformILi128ELi16ELi4EEvPfPK15HIP_vector_typeIfLj2EEiiiiiiS1_IjLj3EES5_S5_
    .private_segment_fixed_size: 0
    .sgpr_count:     18
    .sgpr_spill_count: 0
    .symbol:         _ZL33flash_attn_stream_k_fixup_uniformILi128ELi16ELi4EEvPfPK15HIP_vector_typeIfLj2EEiiiiiiS1_IjLj3EES5_S5_.kd
    .uniform_work_group_size: 1
    .uses_dynamic_stack: false
    .vgpr_count:     11
    .vgpr_spill_count: 0
    .wavefront_size: 32
    .workgroup_processor_mode: 1
  - .args:
      - .address_space:  global
        .offset:         0
        .size:           8
        .value_kind:     global_buffer
      - .address_space:  global
        .offset:         8
        .size:           8
        .value_kind:     global_buffer
      - .offset:         16
        .size:           4
        .value_kind:     by_value
      - .offset:         20
        .size:           4
        .value_kind:     by_value
      - .offset:         24
        .size:           4
        .value_kind:     by_value
      - .offset:         28
        .size:           4
        .value_kind:     by_value
      - .offset:         32
        .size:           12
        .value_kind:     by_value
      - .offset:         44
        .size:           12
        .value_kind:     by_value
      - .offset:         56
        .size:           12
        .value_kind:     by_value
      - .offset:         68
        .size:           12
        .value_kind:     by_value
      - .offset:         80
        .size:           4
        .value_kind:     hidden_block_count_x
      - .offset:         84
        .size:           4
        .value_kind:     hidden_block_count_y
      - .offset:         88
        .size:           4
        .value_kind:     hidden_block_count_z
      - .offset:         92
        .size:           2
        .value_kind:     hidden_group_size_x
      - .offset:         94
        .size:           2
        .value_kind:     hidden_group_size_y
      - .offset:         96
        .size:           2
        .value_kind:     hidden_group_size_z
      - .offset:         98
        .size:           2
        .value_kind:     hidden_remainder_x
      - .offset:         100
        .size:           2
        .value_kind:     hidden_remainder_y
      - .offset:         102
        .size:           2
        .value_kind:     hidden_remainder_z
      - .offset:         120
        .size:           8
        .value_kind:     hidden_global_offset_x
      - .offset:         128
        .size:           8
        .value_kind:     hidden_global_offset_y
      - .offset:         136
        .size:           8
        .value_kind:     hidden_global_offset_z
      - .offset:         144
        .size:           2
        .value_kind:     hidden_grid_dims
    .group_segment_fixed_size: 0
    .kernarg_segment_align: 8
    .kernarg_segment_size: 336
    .language:       OpenCL C
    .language_version:
      - 2
      - 0
    .max_flat_workgroup_size: 128
    .name:           _ZL33flash_attn_stream_k_fixup_generalILi128ELi16ELi4EEvPfPK15HIP_vector_typeIfLj2EEiiiiS1_IjLj3EES5_S5_S5_
    .private_segment_fixed_size: 0
    .sgpr_count:     46
    .sgpr_spill_count: 0
    .symbol:         _ZL33flash_attn_stream_k_fixup_generalILi128ELi16ELi4EEvPfPK15HIP_vector_typeIfLj2EEiiiiS1_IjLj3EES5_S5_S5_.kd
    .uniform_work_group_size: 1
    .uses_dynamic_stack: false
    .vgpr_count:     9
    .vgpr_spill_count: 0
    .wavefront_size: 32
    .workgroup_processor_mode: 1
  - .args:
      - .address_space:  global
        .offset:         0
        .size:           8
        .value_kind:     global_buffer
      - .address_space:  global
        .offset:         8
        .size:           8
        .value_kind:     global_buffer
      - .address_space:  global
        .offset:         16
        .size:           8
        .value_kind:     global_buffer
      - .address_space:  global
        .offset:         24
        .size:           8
        .value_kind:     global_buffer
      - .address_space:  global
        .offset:         32
        .size:           8
        .value_kind:     global_buffer
      - .address_space:  global
        .offset:         40
        .size:           8
        .value_kind:     global_buffer
      - .address_space:  global
        .offset:         48
        .size:           8
        .value_kind:     global_buffer
      - .address_space:  global
        .offset:         56
        .size:           8
        .value_kind:     global_buffer
      - .offset:         64
        .size:           4
        .value_kind:     by_value
      - .offset:         68
        .size:           4
        .value_kind:     by_value
      - .offset:         72
        .size:           4
        .value_kind:     by_value
      - .offset:         76
        .size:           4
        .value_kind:     by_value
      - .offset:         80
        .size:           4
        .value_kind:     by_value
      - .offset:         84
        .size:           4
        .value_kind:     by_value
      - .offset:         88
        .size:           4
        .value_kind:     by_value
      - .offset:         92
        .size:           12
        .value_kind:     by_value
      - .offset:         104
        .size:           4
        .value_kind:     by_value
      - .offset:         108
        .size:           4
        .value_kind:     by_value
      - .offset:         112
        .size:           4
        .value_kind:     by_value
      - .offset:         116
        .size:           4
        .value_kind:     by_value
      - .offset:         120
        .size:           4
        .value_kind:     by_value
      - .offset:         124
        .size:           4
        .value_kind:     by_value
      - .offset:         128
        .size:           4
        .value_kind:     by_value
      - .offset:         132
        .size:           4
        .value_kind:     by_value
      - .offset:         136
        .size:           4
        .value_kind:     by_value
      - .offset:         140
        .size:           4
        .value_kind:     by_value
      - .offset:         144
        .size:           4
        .value_kind:     by_value
      - .offset:         152
        .size:           8
        .value_kind:     by_value
      - .offset:         160
        .size:           4
        .value_kind:     by_value
      - .offset:         164
        .size:           4
        .value_kind:     by_value
      - .offset:         168
        .size:           8
        .value_kind:     by_value
      - .offset:         176
        .size:           4
        .value_kind:     by_value
      - .offset:         180
        .size:           4
        .value_kind:     by_value
      - .offset:         184
        .size:           4
        .value_kind:     by_value
      - .offset:         188
        .size:           4
        .value_kind:     by_value
      - .offset:         192
        .size:           4
        .value_kind:     by_value
      - .offset:         200
        .size:           8
        .value_kind:     by_value
      - .offset:         208
        .size:           4
        .value_kind:     hidden_block_count_x
      - .offset:         212
        .size:           4
        .value_kind:     hidden_block_count_y
      - .offset:         216
        .size:           4
        .value_kind:     hidden_block_count_z
      - .offset:         220
        .size:           2
        .value_kind:     hidden_group_size_x
      - .offset:         222
        .size:           2
        .value_kind:     hidden_group_size_y
      - .offset:         224
        .size:           2
        .value_kind:     hidden_group_size_z
      - .offset:         226
        .size:           2
        .value_kind:     hidden_remainder_x
      - .offset:         228
        .size:           2
        .value_kind:     hidden_remainder_y
      - .offset:         230
        .size:           2
        .value_kind:     hidden_remainder_z
      - .offset:         248
        .size:           8
        .value_kind:     hidden_global_offset_x
      - .offset:         256
        .size:           8
        .value_kind:     hidden_global_offset_y
      - .offset:         264
        .size:           8
        .value_kind:     hidden_global_offset_z
      - .offset:         272
        .size:           2
        .value_kind:     hidden_grid_dims
    .group_segment_fixed_size: 34816
    .kernarg_segment_align: 8
    .kernarg_segment_size: 464
    .language:       OpenCL C
    .language_version:
      - 2
      - 0
    .max_flat_workgroup_size: 256
    .name:           _ZL15flash_attn_tileILi128ELi128ELi8ELi4ELb0EEvPKcS1_S1_S1_S1_PKiPfP15HIP_vector_typeIfLj2EEffffjfiS5_IjLj3EEiiiiiiiiiiiliiliiiiil
    .private_segment_fixed_size: 0
    .sgpr_count:     44
    .sgpr_spill_count: 0
    .symbol:         _ZL15flash_attn_tileILi128ELi128ELi8ELi4ELb0EEvPKcS1_S1_S1_S1_PKiPfP15HIP_vector_typeIfLj2EEffffjfiS5_IjLj3EEiiiiiiiiiiiliiliiiiil.kd
    .uniform_work_group_size: 1
    .uses_dynamic_stack: false
    .vgpr_count:     121
    .vgpr_spill_count: 0
    .wavefront_size: 32
    .workgroup_processor_mode: 1
  - .args:
      - .address_space:  global
        .offset:         0
        .size:           8
        .value_kind:     global_buffer
      - .address_space:  global
        .offset:         8
        .size:           8
        .value_kind:     global_buffer
      - .offset:         16
        .size:           4
        .value_kind:     by_value
      - .offset:         20
        .size:           4
        .value_kind:     by_value
      - .offset:         24
        .size:           4
        .value_kind:     by_value
      - .offset:         28
        .size:           4
        .value_kind:     by_value
      - .offset:         32
        .size:           4
        .value_kind:     by_value
      - .offset:         36
        .size:           4
        .value_kind:     by_value
      - .offset:         40
        .size:           12
        .value_kind:     by_value
      - .offset:         52
        .size:           12
        .value_kind:     by_value
      - .offset:         64
        .size:           12
        .value_kind:     by_value
    .group_segment_fixed_size: 0
    .kernarg_segment_align: 8
    .kernarg_segment_size: 76
    .language:       OpenCL C
    .language_version:
      - 2
      - 0
    .max_flat_workgroup_size: 128
    .name:           _ZL33flash_attn_stream_k_fixup_uniformILi128ELi8ELi4EEvPfPK15HIP_vector_typeIfLj2EEiiiiiiS1_IjLj3EES5_S5_
    .private_segment_fixed_size: 0
    .sgpr_count:     18
    .sgpr_spill_count: 0
    .symbol:         _ZL33flash_attn_stream_k_fixup_uniformILi128ELi8ELi4EEvPfPK15HIP_vector_typeIfLj2EEiiiiiiS1_IjLj3EES5_S5_.kd
    .uniform_work_group_size: 1
    .uses_dynamic_stack: false
    .vgpr_count:     11
    .vgpr_spill_count: 0
    .wavefront_size: 32
    .workgroup_processor_mode: 1
  - .args:
      - .address_space:  global
        .offset:         0
        .size:           8
        .value_kind:     global_buffer
      - .address_space:  global
        .offset:         8
        .size:           8
        .value_kind:     global_buffer
      - .offset:         16
        .size:           4
        .value_kind:     by_value
      - .offset:         20
        .size:           4
        .value_kind:     by_value
      - .offset:         24
        .size:           4
        .value_kind:     by_value
      - .offset:         28
        .size:           4
        .value_kind:     by_value
      - .offset:         32
        .size:           12
        .value_kind:     by_value
      - .offset:         44
        .size:           12
        .value_kind:     by_value
      - .offset:         56
        .size:           12
        .value_kind:     by_value
      - .offset:         68
        .size:           12
        .value_kind:     by_value
      - .offset:         80
        .size:           4
        .value_kind:     hidden_block_count_x
      - .offset:         84
        .size:           4
        .value_kind:     hidden_block_count_y
      - .offset:         88
        .size:           4
        .value_kind:     hidden_block_count_z
      - .offset:         92
        .size:           2
        .value_kind:     hidden_group_size_x
      - .offset:         94
        .size:           2
        .value_kind:     hidden_group_size_y
      - .offset:         96
        .size:           2
        .value_kind:     hidden_group_size_z
      - .offset:         98
        .size:           2
        .value_kind:     hidden_remainder_x
      - .offset:         100
        .size:           2
        .value_kind:     hidden_remainder_y
      - .offset:         102
        .size:           2
        .value_kind:     hidden_remainder_z
      - .offset:         120
        .size:           8
        .value_kind:     hidden_global_offset_x
      - .offset:         128
        .size:           8
        .value_kind:     hidden_global_offset_y
      - .offset:         136
        .size:           8
        .value_kind:     hidden_global_offset_z
      - .offset:         144
        .size:           2
        .value_kind:     hidden_grid_dims
    .group_segment_fixed_size: 0
    .kernarg_segment_align: 8
    .kernarg_segment_size: 336
    .language:       OpenCL C
    .language_version:
      - 2
      - 0
    .max_flat_workgroup_size: 128
    .name:           _ZL33flash_attn_stream_k_fixup_generalILi128ELi8ELi4EEvPfPK15HIP_vector_typeIfLj2EEiiiiS1_IjLj3EES5_S5_S5_
    .private_segment_fixed_size: 0
    .sgpr_count:     46
    .sgpr_spill_count: 0
    .symbol:         _ZL33flash_attn_stream_k_fixup_generalILi128ELi8ELi4EEvPfPK15HIP_vector_typeIfLj2EEiiiiS1_IjLj3EES5_S5_S5_.kd
    .uniform_work_group_size: 1
    .uses_dynamic_stack: false
    .vgpr_count:     9
    .vgpr_spill_count: 0
    .wavefront_size: 32
    .workgroup_processor_mode: 1
  - .args:
      - .address_space:  global
        .offset:         0
        .size:           8
        .value_kind:     global_buffer
      - .address_space:  global
        .offset:         8
        .size:           8
        .value_kind:     global_buffer
      - .address_space:  global
        .offset:         16
        .size:           8
        .value_kind:     global_buffer
      - .address_space:  global
        .offset:         24
        .size:           8
        .value_kind:     global_buffer
      - .address_space:  global
        .offset:         32
        .size:           8
        .value_kind:     global_buffer
      - .address_space:  global
        .offset:         40
        .size:           8
        .value_kind:     global_buffer
      - .address_space:  global
        .offset:         48
        .size:           8
        .value_kind:     global_buffer
      - .address_space:  global
        .offset:         56
        .size:           8
        .value_kind:     global_buffer
      - .offset:         64
        .size:           4
        .value_kind:     by_value
      - .offset:         68
        .size:           4
        .value_kind:     by_value
      - .offset:         72
        .size:           4
        .value_kind:     by_value
      - .offset:         76
        .size:           4
        .value_kind:     by_value
      - .offset:         80
        .size:           4
        .value_kind:     by_value
      - .offset:         84
        .size:           4
        .value_kind:     by_value
      - .offset:         88
        .size:           4
        .value_kind:     by_value
      - .offset:         92
        .size:           12
        .value_kind:     by_value
      - .offset:         104
        .size:           4
        .value_kind:     by_value
      - .offset:         108
        .size:           4
        .value_kind:     by_value
      - .offset:         112
        .size:           4
        .value_kind:     by_value
      - .offset:         116
        .size:           4
        .value_kind:     by_value
      - .offset:         120
        .size:           4
        .value_kind:     by_value
      - .offset:         124
        .size:           4
        .value_kind:     by_value
      - .offset:         128
        .size:           4
        .value_kind:     by_value
      - .offset:         132
        .size:           4
        .value_kind:     by_value
      - .offset:         136
        .size:           4
        .value_kind:     by_value
      - .offset:         140
        .size:           4
        .value_kind:     by_value
      - .offset:         144
        .size:           4
        .value_kind:     by_value
      - .offset:         152
        .size:           8
        .value_kind:     by_value
      - .offset:         160
        .size:           4
        .value_kind:     by_value
      - .offset:         164
        .size:           4
        .value_kind:     by_value
      - .offset:         168
        .size:           8
        .value_kind:     by_value
      - .offset:         176
        .size:           4
        .value_kind:     by_value
      - .offset:         180
        .size:           4
        .value_kind:     by_value
      - .offset:         184
        .size:           4
        .value_kind:     by_value
      - .offset:         188
        .size:           4
        .value_kind:     by_value
      - .offset:         192
        .size:           4
        .value_kind:     by_value
      - .offset:         200
        .size:           8
        .value_kind:     by_value
      - .offset:         208
        .size:           4
        .value_kind:     hidden_block_count_x
      - .offset:         212
        .size:           4
        .value_kind:     hidden_block_count_y
      - .offset:         216
        .size:           4
        .value_kind:     hidden_block_count_z
      - .offset:         220
        .size:           2
        .value_kind:     hidden_group_size_x
      - .offset:         222
        .size:           2
        .value_kind:     hidden_group_size_y
      - .offset:         224
        .size:           2
        .value_kind:     hidden_group_size_z
      - .offset:         226
        .size:           2
        .value_kind:     hidden_remainder_x
      - .offset:         228
        .size:           2
        .value_kind:     hidden_remainder_y
      - .offset:         230
        .size:           2
        .value_kind:     hidden_remainder_z
      - .offset:         248
        .size:           8
        .value_kind:     hidden_global_offset_x
      - .offset:         256
        .size:           8
        .value_kind:     hidden_global_offset_y
      - .offset:         264
        .size:           8
        .value_kind:     hidden_global_offset_z
      - .offset:         272
        .size:           2
        .value_kind:     hidden_grid_dims
    .group_segment_fixed_size: 43008
    .kernarg_segment_align: 8
    .kernarg_segment_size: 464
    .language:       OpenCL C
    .language_version:
      - 2
      - 0
    .max_flat_workgroup_size: 256
    .name:           _ZL15flash_attn_tileILi128ELi128ELi4ELi4ELb0EEvPKcS1_S1_S1_S1_PKiPfP15HIP_vector_typeIfLj2EEffffjfiS5_IjLj3EEiiiiiiiiiiiliiliiiiil
    .private_segment_fixed_size: 0
    .sgpr_count:     54
    .sgpr_spill_count: 0
    .symbol:         _ZL15flash_attn_tileILi128ELi128ELi4ELi4ELb0EEvPKcS1_S1_S1_S1_PKiPfP15HIP_vector_typeIfLj2EEffffjfiS5_IjLj3EEiiiiiiiiiiiliiliiiiil.kd
    .uniform_work_group_size: 1
    .uses_dynamic_stack: false
    .vgpr_count:     245
    .vgpr_spill_count: 0
    .wavefront_size: 32
    .workgroup_processor_mode: 1
  - .args:
      - .address_space:  global
        .offset:         0
        .size:           8
        .value_kind:     global_buffer
      - .address_space:  global
        .offset:         8
        .size:           8
        .value_kind:     global_buffer
      - .offset:         16
        .size:           4
        .value_kind:     by_value
      - .offset:         20
        .size:           4
        .value_kind:     by_value
      - .offset:         24
        .size:           4
        .value_kind:     by_value
      - .offset:         28
        .size:           4
        .value_kind:     by_value
      - .offset:         32
        .size:           4
        .value_kind:     by_value
      - .offset:         36
        .size:           4
        .value_kind:     by_value
      - .offset:         40
        .size:           12
        .value_kind:     by_value
      - .offset:         52
        .size:           12
        .value_kind:     by_value
      - .offset:         64
        .size:           12
        .value_kind:     by_value
    .group_segment_fixed_size: 0
    .kernarg_segment_align: 8
    .kernarg_segment_size: 76
    .language:       OpenCL C
    .language_version:
      - 2
      - 0
    .max_flat_workgroup_size: 128
    .name:           _ZL33flash_attn_stream_k_fixup_uniformILi128ELi4ELi4EEvPfPK15HIP_vector_typeIfLj2EEiiiiiiS1_IjLj3EES5_S5_
    .private_segment_fixed_size: 0
    .sgpr_count:     18
    .sgpr_spill_count: 0
    .symbol:         _ZL33flash_attn_stream_k_fixup_uniformILi128ELi4ELi4EEvPfPK15HIP_vector_typeIfLj2EEiiiiiiS1_IjLj3EES5_S5_.kd
    .uniform_work_group_size: 1
    .uses_dynamic_stack: false
    .vgpr_count:     11
    .vgpr_spill_count: 0
    .wavefront_size: 32
    .workgroup_processor_mode: 1
  - .args:
      - .address_space:  global
        .offset:         0
        .size:           8
        .value_kind:     global_buffer
      - .address_space:  global
        .offset:         8
        .size:           8
        .value_kind:     global_buffer
      - .offset:         16
        .size:           4
        .value_kind:     by_value
      - .offset:         20
        .size:           4
        .value_kind:     by_value
      - .offset:         24
        .size:           4
        .value_kind:     by_value
      - .offset:         28
        .size:           4
        .value_kind:     by_value
      - .offset:         32
        .size:           12
        .value_kind:     by_value
      - .offset:         44
        .size:           12
        .value_kind:     by_value
      - .offset:         56
        .size:           12
        .value_kind:     by_value
      - .offset:         68
        .size:           12
        .value_kind:     by_value
      - .offset:         80
        .size:           4
        .value_kind:     hidden_block_count_x
      - .offset:         84
        .size:           4
        .value_kind:     hidden_block_count_y
      - .offset:         88
        .size:           4
        .value_kind:     hidden_block_count_z
      - .offset:         92
        .size:           2
        .value_kind:     hidden_group_size_x
      - .offset:         94
        .size:           2
        .value_kind:     hidden_group_size_y
      - .offset:         96
        .size:           2
        .value_kind:     hidden_group_size_z
      - .offset:         98
        .size:           2
        .value_kind:     hidden_remainder_x
      - .offset:         100
        .size:           2
        .value_kind:     hidden_remainder_y
      - .offset:         102
        .size:           2
        .value_kind:     hidden_remainder_z
      - .offset:         120
        .size:           8
        .value_kind:     hidden_global_offset_x
      - .offset:         128
        .size:           8
        .value_kind:     hidden_global_offset_y
      - .offset:         136
        .size:           8
        .value_kind:     hidden_global_offset_z
      - .offset:         144
        .size:           2
        .value_kind:     hidden_grid_dims
    .group_segment_fixed_size: 0
    .kernarg_segment_align: 8
    .kernarg_segment_size: 336
    .language:       OpenCL C
    .language_version:
      - 2
      - 0
    .max_flat_workgroup_size: 128
    .name:           _ZL33flash_attn_stream_k_fixup_generalILi128ELi4ELi4EEvPfPK15HIP_vector_typeIfLj2EEiiiiS1_IjLj3EES5_S5_S5_
    .private_segment_fixed_size: 0
    .sgpr_count:     46
    .sgpr_spill_count: 0
    .symbol:         _ZL33flash_attn_stream_k_fixup_generalILi128ELi4ELi4EEvPfPK15HIP_vector_typeIfLj2EEiiiiS1_IjLj3EES5_S5_S5_.kd
    .uniform_work_group_size: 1
    .uses_dynamic_stack: false
    .vgpr_count:     9
    .vgpr_spill_count: 0
    .wavefront_size: 32
    .workgroup_processor_mode: 1
  - .args:
      - .address_space:  global
        .offset:         0
        .size:           8
        .value_kind:     global_buffer
      - .address_space:  global
        .offset:         8
        .size:           8
        .value_kind:     global_buffer
      - .address_space:  global
        .offset:         16
        .size:           8
        .value_kind:     global_buffer
      - .address_space:  global
        .offset:         24
        .size:           8
        .value_kind:     global_buffer
      - .address_space:  global
        .offset:         32
        .size:           8
        .value_kind:     global_buffer
      - .address_space:  global
        .offset:         40
        .size:           8
        .value_kind:     global_buffer
      - .address_space:  global
        .offset:         48
        .size:           8
        .value_kind:     global_buffer
      - .address_space:  global
        .offset:         56
        .size:           8
        .value_kind:     global_buffer
      - .offset:         64
        .size:           4
        .value_kind:     by_value
      - .offset:         68
        .size:           4
        .value_kind:     by_value
      - .offset:         72
        .size:           4
        .value_kind:     by_value
      - .offset:         76
        .size:           4
        .value_kind:     by_value
      - .offset:         80
        .size:           4
        .value_kind:     by_value
      - .offset:         84
        .size:           4
        .value_kind:     by_value
      - .offset:         88
        .size:           4
        .value_kind:     by_value
      - .offset:         92
        .size:           12
        .value_kind:     by_value
      - .offset:         104
        .size:           4
        .value_kind:     by_value
      - .offset:         108
        .size:           4
        .value_kind:     by_value
      - .offset:         112
        .size:           4
        .value_kind:     by_value
      - .offset:         116
        .size:           4
        .value_kind:     by_value
      - .offset:         120
        .size:           4
        .value_kind:     by_value
      - .offset:         124
        .size:           4
        .value_kind:     by_value
      - .offset:         128
        .size:           4
        .value_kind:     by_value
      - .offset:         132
        .size:           4
        .value_kind:     by_value
      - .offset:         136
        .size:           4
        .value_kind:     by_value
      - .offset:         140
        .size:           4
        .value_kind:     by_value
      - .offset:         144
        .size:           4
        .value_kind:     by_value
      - .offset:         152
        .size:           8
        .value_kind:     by_value
      - .offset:         160
        .size:           4
        .value_kind:     by_value
      - .offset:         164
        .size:           4
        .value_kind:     by_value
      - .offset:         168
        .size:           8
        .value_kind:     by_value
      - .offset:         176
        .size:           4
        .value_kind:     by_value
      - .offset:         180
        .size:           4
        .value_kind:     by_value
      - .offset:         184
        .size:           4
        .value_kind:     by_value
      - .offset:         188
        .size:           4
        .value_kind:     by_value
      - .offset:         192
        .size:           4
        .value_kind:     by_value
      - .offset:         200
        .size:           8
        .value_kind:     by_value
      - .offset:         208
        .size:           4
        .value_kind:     hidden_block_count_x
      - .offset:         212
        .size:           4
        .value_kind:     hidden_block_count_y
      - .offset:         216
        .size:           4
        .value_kind:     hidden_block_count_z
      - .offset:         220
        .size:           2
        .value_kind:     hidden_group_size_x
      - .offset:         222
        .size:           2
        .value_kind:     hidden_group_size_y
      - .offset:         224
        .size:           2
        .value_kind:     hidden_group_size_z
      - .offset:         226
        .size:           2
        .value_kind:     hidden_remainder_x
      - .offset:         228
        .size:           2
        .value_kind:     hidden_remainder_y
      - .offset:         230
        .size:           2
        .value_kind:     hidden_remainder_z
      - .offset:         248
        .size:           8
        .value_kind:     hidden_global_offset_x
      - .offset:         256
        .size:           8
        .value_kind:     hidden_global_offset_y
      - .offset:         264
        .size:           8
        .value_kind:     hidden_global_offset_z
      - .offset:         272
        .size:           2
        .value_kind:     hidden_grid_dims
    .group_segment_fixed_size: 12288
    .kernarg_segment_align: 8
    .kernarg_segment_size: 464
    .language:       OpenCL C
    .language_version:
      - 2
      - 0
    .max_flat_workgroup_size: 128
    .name:           _ZL15flash_attn_tileILi128ELi128ELi2ELi4ELb0EEvPKcS1_S1_S1_S1_PKiPfP15HIP_vector_typeIfLj2EEffffjfiS5_IjLj3EEiiiiiiiiiiiliiliiiiil
    .private_segment_fixed_size: 0
    .sgpr_count:     46
    .sgpr_spill_count: 0
    .symbol:         _ZL15flash_attn_tileILi128ELi128ELi2ELi4ELb0EEvPKcS1_S1_S1_S1_PKiPfP15HIP_vector_typeIfLj2EEffffjfiS5_IjLj3EEiiiiiiiiiiiliiliiiiil.kd
    .uniform_work_group_size: 1
    .uses_dynamic_stack: false
    .vgpr_count:     137
    .vgpr_spill_count: 0
    .wavefront_size: 32
    .workgroup_processor_mode: 1
  - .args:
      - .address_space:  global
        .offset:         0
        .size:           8
        .value_kind:     global_buffer
      - .address_space:  global
        .offset:         8
        .size:           8
        .value_kind:     global_buffer
      - .offset:         16
        .size:           4
        .value_kind:     by_value
      - .offset:         20
        .size:           4
        .value_kind:     by_value
      - .offset:         24
        .size:           4
        .value_kind:     by_value
      - .offset:         28
        .size:           4
        .value_kind:     by_value
      - .offset:         32
        .size:           4
        .value_kind:     by_value
      - .offset:         36
        .size:           4
        .value_kind:     by_value
      - .offset:         40
        .size:           12
        .value_kind:     by_value
      - .offset:         52
        .size:           12
        .value_kind:     by_value
      - .offset:         64
        .size:           12
        .value_kind:     by_value
    .group_segment_fixed_size: 0
    .kernarg_segment_align: 8
    .kernarg_segment_size: 76
    .language:       OpenCL C
    .language_version:
      - 2
      - 0
    .max_flat_workgroup_size: 128
    .name:           _ZL33flash_attn_stream_k_fixup_uniformILi128ELi2ELi4EEvPfPK15HIP_vector_typeIfLj2EEiiiiiiS1_IjLj3EES5_S5_
    .private_segment_fixed_size: 0
    .sgpr_count:     18
    .sgpr_spill_count: 0
    .symbol:         _ZL33flash_attn_stream_k_fixup_uniformILi128ELi2ELi4EEvPfPK15HIP_vector_typeIfLj2EEiiiiiiS1_IjLj3EES5_S5_.kd
    .uniform_work_group_size: 1
    .uses_dynamic_stack: false
    .vgpr_count:     11
    .vgpr_spill_count: 0
    .wavefront_size: 32
    .workgroup_processor_mode: 1
  - .args:
      - .address_space:  global
        .offset:         0
        .size:           8
        .value_kind:     global_buffer
      - .address_space:  global
        .offset:         8
        .size:           8
        .value_kind:     global_buffer
      - .offset:         16
        .size:           4
        .value_kind:     by_value
      - .offset:         20
        .size:           4
        .value_kind:     by_value
      - .offset:         24
        .size:           4
        .value_kind:     by_value
      - .offset:         28
        .size:           4
        .value_kind:     by_value
      - .offset:         32
        .size:           12
        .value_kind:     by_value
      - .offset:         44
        .size:           12
        .value_kind:     by_value
      - .offset:         56
        .size:           12
        .value_kind:     by_value
      - .offset:         68
        .size:           12
        .value_kind:     by_value
      - .offset:         80
        .size:           4
        .value_kind:     hidden_block_count_x
      - .offset:         84
        .size:           4
        .value_kind:     hidden_block_count_y
      - .offset:         88
        .size:           4
        .value_kind:     hidden_block_count_z
      - .offset:         92
        .size:           2
        .value_kind:     hidden_group_size_x
      - .offset:         94
        .size:           2
        .value_kind:     hidden_group_size_y
      - .offset:         96
        .size:           2
        .value_kind:     hidden_group_size_z
      - .offset:         98
        .size:           2
        .value_kind:     hidden_remainder_x
      - .offset:         100
        .size:           2
        .value_kind:     hidden_remainder_y
      - .offset:         102
        .size:           2
        .value_kind:     hidden_remainder_z
      - .offset:         120
        .size:           8
        .value_kind:     hidden_global_offset_x
      - .offset:         128
        .size:           8
        .value_kind:     hidden_global_offset_y
      - .offset:         136
        .size:           8
        .value_kind:     hidden_global_offset_z
      - .offset:         144
        .size:           2
        .value_kind:     hidden_grid_dims
    .group_segment_fixed_size: 0
    .kernarg_segment_align: 8
    .kernarg_segment_size: 336
    .language:       OpenCL C
    .language_version:
      - 2
      - 0
    .max_flat_workgroup_size: 128
    .name:           _ZL33flash_attn_stream_k_fixup_generalILi128ELi2ELi4EEvPfPK15HIP_vector_typeIfLj2EEiiiiS1_IjLj3EES5_S5_S5_
    .private_segment_fixed_size: 0
    .sgpr_count:     46
    .sgpr_spill_count: 0
    .symbol:         _ZL33flash_attn_stream_k_fixup_generalILi128ELi2ELi4EEvPfPK15HIP_vector_typeIfLj2EEiiiiS1_IjLj3EES5_S5_S5_.kd
    .uniform_work_group_size: 1
    .uses_dynamic_stack: false
    .vgpr_count:     9
    .vgpr_spill_count: 0
    .wavefront_size: 32
    .workgroup_processor_mode: 1
  - .args:
      - .address_space:  global
        .offset:         0
        .size:           8
        .value_kind:     global_buffer
      - .address_space:  global
        .offset:         8
        .size:           8
        .value_kind:     global_buffer
      - .address_space:  global
        .offset:         16
        .size:           8
        .value_kind:     global_buffer
      - .address_space:  global
        .offset:         24
        .size:           8
        .value_kind:     global_buffer
      - .address_space:  global
        .offset:         32
        .size:           8
        .value_kind:     global_buffer
      - .address_space:  global
        .offset:         40
        .size:           8
        .value_kind:     global_buffer
      - .address_space:  global
        .offset:         48
        .size:           8
        .value_kind:     global_buffer
      - .address_space:  global
        .offset:         56
        .size:           8
        .value_kind:     global_buffer
      - .offset:         64
        .size:           4
        .value_kind:     by_value
      - .offset:         68
        .size:           4
        .value_kind:     by_value
      - .offset:         72
        .size:           4
        .value_kind:     by_value
      - .offset:         76
        .size:           4
        .value_kind:     by_value
      - .offset:         80
        .size:           4
        .value_kind:     by_value
      - .offset:         84
        .size:           4
        .value_kind:     by_value
      - .offset:         88
        .size:           4
        .value_kind:     by_value
      - .offset:         92
        .size:           12
        .value_kind:     by_value
      - .offset:         104
        .size:           4
        .value_kind:     by_value
      - .offset:         108
        .size:           4
        .value_kind:     by_value
      - .offset:         112
        .size:           4
        .value_kind:     by_value
      - .offset:         116
        .size:           4
        .value_kind:     by_value
      - .offset:         120
        .size:           4
        .value_kind:     by_value
      - .offset:         124
        .size:           4
        .value_kind:     by_value
      - .offset:         128
        .size:           4
        .value_kind:     by_value
      - .offset:         132
        .size:           4
        .value_kind:     by_value
      - .offset:         136
        .size:           4
        .value_kind:     by_value
      - .offset:         140
        .size:           4
        .value_kind:     by_value
      - .offset:         144
        .size:           4
        .value_kind:     by_value
      - .offset:         152
        .size:           8
        .value_kind:     by_value
      - .offset:         160
        .size:           4
        .value_kind:     by_value
      - .offset:         164
        .size:           4
        .value_kind:     by_value
      - .offset:         168
        .size:           8
        .value_kind:     by_value
      - .offset:         176
        .size:           4
        .value_kind:     by_value
      - .offset:         180
        .size:           4
        .value_kind:     by_value
      - .offset:         184
        .size:           4
        .value_kind:     by_value
      - .offset:         188
        .size:           4
        .value_kind:     by_value
      - .offset:         192
        .size:           4
        .value_kind:     by_value
      - .offset:         200
        .size:           8
        .value_kind:     by_value
      - .offset:         208
        .size:           4
        .value_kind:     hidden_block_count_x
      - .offset:         212
        .size:           4
        .value_kind:     hidden_block_count_y
      - .offset:         216
        .size:           4
        .value_kind:     hidden_block_count_z
      - .offset:         220
        .size:           2
        .value_kind:     hidden_group_size_x
      - .offset:         222
        .size:           2
        .value_kind:     hidden_group_size_y
      - .offset:         224
        .size:           2
        .value_kind:     hidden_group_size_z
      - .offset:         226
        .size:           2
        .value_kind:     hidden_remainder_x
      - .offset:         228
        .size:           2
        .value_kind:     hidden_remainder_y
      - .offset:         230
        .size:           2
        .value_kind:     hidden_remainder_z
      - .offset:         248
        .size:           8
        .value_kind:     hidden_global_offset_x
      - .offset:         256
        .size:           8
        .value_kind:     hidden_global_offset_y
      - .offset:         264
        .size:           8
        .value_kind:     hidden_global_offset_z
      - .offset:         272
        .size:           2
        .value_kind:     hidden_grid_dims
    .group_segment_fixed_size: 10752
    .kernarg_segment_align: 8
    .kernarg_segment_size: 464
    .language:       OpenCL C
    .language_version:
      - 2
      - 0
    .max_flat_workgroup_size: 128
    .name:           _ZL15flash_attn_tileILi128ELi128ELi1ELi4ELb0EEvPKcS1_S1_S1_S1_PKiPfP15HIP_vector_typeIfLj2EEffffjfiS5_IjLj3EEiiiiiiiiiiiliiliiiiil
    .private_segment_fixed_size: 0
    .sgpr_count:     44
    .sgpr_spill_count: 0
    .symbol:         _ZL15flash_attn_tileILi128ELi128ELi1ELi4ELb0EEvPKcS1_S1_S1_S1_PKiPfP15HIP_vector_typeIfLj2EEffffjfiS5_IjLj3EEiiiiiiiiiiiliiliiiiil.kd
    .uniform_work_group_size: 1
    .uses_dynamic_stack: false
    .vgpr_count:     127
    .vgpr_spill_count: 0
    .wavefront_size: 32
    .workgroup_processor_mode: 1
  - .args:
      - .address_space:  global
        .offset:         0
        .size:           8
        .value_kind:     global_buffer
      - .address_space:  global
        .offset:         8
        .size:           8
        .value_kind:     global_buffer
      - .offset:         16
        .size:           4
        .value_kind:     by_value
      - .offset:         20
        .size:           4
        .value_kind:     by_value
      - .offset:         24
        .size:           4
        .value_kind:     by_value
      - .offset:         28
        .size:           4
        .value_kind:     by_value
      - .offset:         32
        .size:           4
        .value_kind:     by_value
      - .offset:         36
        .size:           4
        .value_kind:     by_value
      - .offset:         40
        .size:           12
        .value_kind:     by_value
      - .offset:         52
        .size:           12
        .value_kind:     by_value
      - .offset:         64
        .size:           12
        .value_kind:     by_value
    .group_segment_fixed_size: 0
    .kernarg_segment_align: 8
    .kernarg_segment_size: 76
    .language:       OpenCL C
    .language_version:
      - 2
      - 0
    .max_flat_workgroup_size: 128
    .name:           _ZL33flash_attn_stream_k_fixup_uniformILi128ELi1ELi4EEvPfPK15HIP_vector_typeIfLj2EEiiiiiiS1_IjLj3EES5_S5_
    .private_segment_fixed_size: 0
    .sgpr_count:     22
    .sgpr_spill_count: 0
    .symbol:         _ZL33flash_attn_stream_k_fixup_uniformILi128ELi1ELi4EEvPfPK15HIP_vector_typeIfLj2EEiiiiiiS1_IjLj3EES5_S5_.kd
    .uniform_work_group_size: 1
    .uses_dynamic_stack: false
    .vgpr_count:     11
    .vgpr_spill_count: 0
    .wavefront_size: 32
    .workgroup_processor_mode: 1
  - .args:
      - .address_space:  global
        .offset:         0
        .size:           8
        .value_kind:     global_buffer
      - .address_space:  global
        .offset:         8
        .size:           8
        .value_kind:     global_buffer
      - .offset:         16
        .size:           4
        .value_kind:     by_value
      - .offset:         20
        .size:           4
        .value_kind:     by_value
      - .offset:         24
        .size:           4
        .value_kind:     by_value
      - .offset:         28
        .size:           4
        .value_kind:     by_value
      - .offset:         32
        .size:           12
        .value_kind:     by_value
      - .offset:         44
        .size:           12
        .value_kind:     by_value
      - .offset:         56
        .size:           12
        .value_kind:     by_value
      - .offset:         68
        .size:           12
        .value_kind:     by_value
      - .offset:         80
        .size:           4
        .value_kind:     hidden_block_count_x
      - .offset:         84
        .size:           4
        .value_kind:     hidden_block_count_y
      - .offset:         88
        .size:           4
        .value_kind:     hidden_block_count_z
      - .offset:         92
        .size:           2
        .value_kind:     hidden_group_size_x
      - .offset:         94
        .size:           2
        .value_kind:     hidden_group_size_y
      - .offset:         96
        .size:           2
        .value_kind:     hidden_group_size_z
      - .offset:         98
        .size:           2
        .value_kind:     hidden_remainder_x
      - .offset:         100
        .size:           2
        .value_kind:     hidden_remainder_y
      - .offset:         102
        .size:           2
        .value_kind:     hidden_remainder_z
      - .offset:         120
        .size:           8
        .value_kind:     hidden_global_offset_x
      - .offset:         128
        .size:           8
        .value_kind:     hidden_global_offset_y
      - .offset:         136
        .size:           8
        .value_kind:     hidden_global_offset_z
      - .offset:         144
        .size:           2
        .value_kind:     hidden_grid_dims
    .group_segment_fixed_size: 0
    .kernarg_segment_align: 8
    .kernarg_segment_size: 336
    .language:       OpenCL C
    .language_version:
      - 2
      - 0
    .max_flat_workgroup_size: 128
    .name:           _ZL33flash_attn_stream_k_fixup_generalILi128ELi1ELi4EEvPfPK15HIP_vector_typeIfLj2EEiiiiS1_IjLj3EES5_S5_S5_
    .private_segment_fixed_size: 0
    .sgpr_count:     46
    .sgpr_spill_count: 0
    .symbol:         _ZL33flash_attn_stream_k_fixup_generalILi128ELi1ELi4EEvPfPK15HIP_vector_typeIfLj2EEiiiiS1_IjLj3EES5_S5_S5_.kd
    .uniform_work_group_size: 1
    .uses_dynamic_stack: false
    .vgpr_count:     9
    .vgpr_spill_count: 0
    .wavefront_size: 32
    .workgroup_processor_mode: 1
  - .args:
      - .address_space:  global
        .offset:         0
        .size:           8
        .value_kind:     global_buffer
      - .address_space:  global
        .offset:         8
        .size:           8
        .value_kind:     global_buffer
      - .address_space:  global
        .offset:         16
        .size:           8
        .value_kind:     global_buffer
      - .address_space:  global
        .offset:         24
        .size:           8
        .value_kind:     global_buffer
      - .address_space:  global
        .offset:         32
        .size:           8
        .value_kind:     global_buffer
      - .address_space:  global
        .offset:         40
        .size:           8
        .value_kind:     global_buffer
      - .address_space:  global
        .offset:         48
        .size:           8
        .value_kind:     global_buffer
      - .address_space:  global
        .offset:         56
        .size:           8
        .value_kind:     global_buffer
      - .offset:         64
        .size:           4
        .value_kind:     by_value
      - .offset:         68
        .size:           4
        .value_kind:     by_value
      - .offset:         72
        .size:           4
        .value_kind:     by_value
      - .offset:         76
        .size:           4
        .value_kind:     by_value
      - .offset:         80
        .size:           4
        .value_kind:     by_value
      - .offset:         84
        .size:           4
        .value_kind:     by_value
      - .offset:         88
        .size:           4
        .value_kind:     by_value
      - .offset:         92
        .size:           12
        .value_kind:     by_value
      - .offset:         104
        .size:           4
        .value_kind:     by_value
      - .offset:         108
        .size:           4
        .value_kind:     by_value
      - .offset:         112
        .size:           4
        .value_kind:     by_value
      - .offset:         116
        .size:           4
        .value_kind:     by_value
      - .offset:         120
        .size:           4
        .value_kind:     by_value
      - .offset:         124
        .size:           4
        .value_kind:     by_value
      - .offset:         128
        .size:           4
        .value_kind:     by_value
      - .offset:         132
        .size:           4
        .value_kind:     by_value
      - .offset:         136
        .size:           4
        .value_kind:     by_value
      - .offset:         140
        .size:           4
        .value_kind:     by_value
      - .offset:         144
        .size:           4
        .value_kind:     by_value
      - .offset:         152
        .size:           8
        .value_kind:     by_value
      - .offset:         160
        .size:           4
        .value_kind:     by_value
      - .offset:         164
        .size:           4
        .value_kind:     by_value
      - .offset:         168
        .size:           8
        .value_kind:     by_value
      - .offset:         176
        .size:           4
        .value_kind:     by_value
      - .offset:         180
        .size:           4
        .value_kind:     by_value
      - .offset:         184
        .size:           4
        .value_kind:     by_value
      - .offset:         188
        .size:           4
        .value_kind:     by_value
      - .offset:         192
        .size:           4
        .value_kind:     by_value
      - .offset:         200
        .size:           8
        .value_kind:     by_value
      - .offset:         208
        .size:           4
        .value_kind:     hidden_block_count_x
      - .offset:         212
        .size:           4
        .value_kind:     hidden_block_count_y
      - .offset:         216
        .size:           4
        .value_kind:     hidden_block_count_z
      - .offset:         220
        .size:           2
        .value_kind:     hidden_group_size_x
      - .offset:         222
        .size:           2
        .value_kind:     hidden_group_size_y
      - .offset:         224
        .size:           2
        .value_kind:     hidden_group_size_z
      - .offset:         226
        .size:           2
        .value_kind:     hidden_remainder_x
      - .offset:         228
        .size:           2
        .value_kind:     hidden_remainder_y
      - .offset:         230
        .size:           2
        .value_kind:     hidden_remainder_z
      - .offset:         248
        .size:           8
        .value_kind:     hidden_global_offset_x
      - .offset:         256
        .size:           8
        .value_kind:     hidden_global_offset_y
      - .offset:         264
        .size:           8
        .value_kind:     hidden_global_offset_z
      - .offset:         272
        .size:           2
        .value_kind:     hidden_grid_dims
    .group_segment_fixed_size: 33792
    .kernarg_segment_align: 8
    .kernarg_segment_size: 464
    .language:       OpenCL C
    .language_version:
      - 2
      - 0
    .max_flat_workgroup_size: 256
    .name:           _ZL15flash_attn_tileILi128ELi128ELi32ELi2ELb0EEvPKcS1_S1_S1_S1_PKiPfP15HIP_vector_typeIfLj2EEffffjfiS5_IjLj3EEiiiiiiiiiiiliiliiiiil
    .private_segment_fixed_size: 0
    .sgpr_count:     52
    .sgpr_spill_count: 0
    .symbol:         _ZL15flash_attn_tileILi128ELi128ELi32ELi2ELb0EEvPKcS1_S1_S1_S1_PKiPfP15HIP_vector_typeIfLj2EEffffjfiS5_IjLj3EEiiiiiiiiiiiliiliiiiil.kd
    .uniform_work_group_size: 1
    .uses_dynamic_stack: false
    .vgpr_count:     140
    .vgpr_spill_count: 0
    .wavefront_size: 32
    .workgroup_processor_mode: 1
  - .args:
      - .actual_access:  read_only
        .address_space:  global
        .offset:         0
        .size:           8
        .value_kind:     global_buffer
      - .actual_access:  write_only
        .address_space:  global
        .offset:         8
        .size:           8
        .value_kind:     global_buffer
      - .offset:         16
        .size:           4
        .value_kind:     by_value
      - .offset:         20
        .size:           4
        .value_kind:     by_value
      - .offset:         24
        .size:           4
        .value_kind:     by_value
      - .offset:         32
        .size:           4
        .value_kind:     hidden_block_count_x
      - .offset:         36
        .size:           4
        .value_kind:     hidden_block_count_y
      - .offset:         40
        .size:           4
        .value_kind:     hidden_block_count_z
      - .offset:         44
        .size:           2
        .value_kind:     hidden_group_size_x
      - .offset:         46
        .size:           2
        .value_kind:     hidden_group_size_y
      - .offset:         48
        .size:           2
        .value_kind:     hidden_group_size_z
      - .offset:         50
        .size:           2
        .value_kind:     hidden_remainder_x
      - .offset:         52
        .size:           2
        .value_kind:     hidden_remainder_y
      - .offset:         54
        .size:           2
        .value_kind:     hidden_remainder_z
      - .offset:         72
        .size:           8
        .value_kind:     hidden_global_offset_x
      - .offset:         80
        .size:           8
        .value_kind:     hidden_global_offset_y
      - .offset:         88
        .size:           8
        .value_kind:     hidden_global_offset_z
      - .offset:         96
        .size:           2
        .value_kind:     hidden_grid_dims
    .group_segment_fixed_size: 128
    .kernarg_segment_align: 8
    .kernarg_segment_size: 288
    .language:       OpenCL C
    .language_version:
      - 2
      - 0
    .max_flat_workgroup_size: 128
    .name:           _ZL25flash_attn_mask_to_KV_maxILi32EEvPK7__half2Piiii
    .private_segment_fixed_size: 0
    .sgpr_count:     76
    .sgpr_spill_count: 0
    .symbol:         _ZL25flash_attn_mask_to_KV_maxILi32EEvPK7__half2Piiii.kd
    .uniform_work_group_size: 1
    .uses_dynamic_stack: false
    .vgpr_count:     9
    .vgpr_spill_count: 0
    .wavefront_size: 32
    .workgroup_processor_mode: 1
  - .args:
      - .address_space:  global
        .offset:         0
        .size:           8
        .value_kind:     global_buffer
      - .address_space:  global
        .offset:         8
        .size:           8
        .value_kind:     global_buffer
      - .offset:         16
        .size:           4
        .value_kind:     by_value
      - .offset:         20
        .size:           4
        .value_kind:     by_value
      - .offset:         24
        .size:           4
        .value_kind:     by_value
      - .offset:         28
        .size:           4
        .value_kind:     by_value
      - .offset:         32
        .size:           4
        .value_kind:     by_value
      - .offset:         36
        .size:           4
        .value_kind:     by_value
      - .offset:         40
        .size:           12
        .value_kind:     by_value
      - .offset:         52
        .size:           12
        .value_kind:     by_value
      - .offset:         64
        .size:           12
        .value_kind:     by_value
    .group_segment_fixed_size: 0
    .kernarg_segment_align: 8
    .kernarg_segment_size: 76
    .language:       OpenCL C
    .language_version:
      - 2
      - 0
    .max_flat_workgroup_size: 128
    .name:           _ZL33flash_attn_stream_k_fixup_uniformILi128ELi32ELi2EEvPfPK15HIP_vector_typeIfLj2EEiiiiiiS1_IjLj3EES5_S5_
    .private_segment_fixed_size: 0
    .sgpr_count:     18
    .sgpr_spill_count: 0
    .symbol:         _ZL33flash_attn_stream_k_fixup_uniformILi128ELi32ELi2EEvPfPK15HIP_vector_typeIfLj2EEiiiiiiS1_IjLj3EES5_S5_.kd
    .uniform_work_group_size: 1
    .uses_dynamic_stack: false
    .vgpr_count:     11
    .vgpr_spill_count: 0
    .wavefront_size: 32
    .workgroup_processor_mode: 1
  - .args:
      - .address_space:  global
        .offset:         0
        .size:           8
        .value_kind:     global_buffer
      - .address_space:  global
        .offset:         8
        .size:           8
        .value_kind:     global_buffer
      - .offset:         16
        .size:           4
        .value_kind:     by_value
      - .offset:         20
        .size:           4
        .value_kind:     by_value
      - .offset:         24
        .size:           4
        .value_kind:     by_value
      - .offset:         28
        .size:           4
        .value_kind:     by_value
      - .offset:         32
        .size:           12
        .value_kind:     by_value
      - .offset:         44
        .size:           12
        .value_kind:     by_value
      - .offset:         56
        .size:           12
        .value_kind:     by_value
      - .offset:         68
        .size:           12
        .value_kind:     by_value
      - .offset:         80
        .size:           4
        .value_kind:     hidden_block_count_x
      - .offset:         84
        .size:           4
        .value_kind:     hidden_block_count_y
      - .offset:         88
        .size:           4
        .value_kind:     hidden_block_count_z
      - .offset:         92
        .size:           2
        .value_kind:     hidden_group_size_x
      - .offset:         94
        .size:           2
        .value_kind:     hidden_group_size_y
      - .offset:         96
        .size:           2
        .value_kind:     hidden_group_size_z
      - .offset:         98
        .size:           2
        .value_kind:     hidden_remainder_x
      - .offset:         100
        .size:           2
        .value_kind:     hidden_remainder_y
      - .offset:         102
        .size:           2
        .value_kind:     hidden_remainder_z
      - .offset:         120
        .size:           8
        .value_kind:     hidden_global_offset_x
      - .offset:         128
        .size:           8
        .value_kind:     hidden_global_offset_y
      - .offset:         136
        .size:           8
        .value_kind:     hidden_global_offset_z
      - .offset:         144
        .size:           2
        .value_kind:     hidden_grid_dims
    .group_segment_fixed_size: 0
    .kernarg_segment_align: 8
    .kernarg_segment_size: 336
    .language:       OpenCL C
    .language_version:
      - 2
      - 0
    .max_flat_workgroup_size: 128
    .name:           _ZL33flash_attn_stream_k_fixup_generalILi128ELi32ELi2EEvPfPK15HIP_vector_typeIfLj2EEiiiiS1_IjLj3EES5_S5_S5_
    .private_segment_fixed_size: 0
    .sgpr_count:     46
    .sgpr_spill_count: 0
    .symbol:         _ZL33flash_attn_stream_k_fixup_generalILi128ELi32ELi2EEvPfPK15HIP_vector_typeIfLj2EEiiiiS1_IjLj3EES5_S5_S5_.kd
    .uniform_work_group_size: 1
    .uses_dynamic_stack: false
    .vgpr_count:     9
    .vgpr_spill_count: 0
    .wavefront_size: 32
    .workgroup_processor_mode: 1
  - .args:
      - .address_space:  global
        .offset:         0
        .size:           8
        .value_kind:     global_buffer
      - .address_space:  global
        .offset:         8
        .size:           8
        .value_kind:     global_buffer
      - .address_space:  global
        .offset:         16
        .size:           8
        .value_kind:     global_buffer
      - .address_space:  global
        .offset:         24
        .size:           8
        .value_kind:     global_buffer
      - .address_space:  global
        .offset:         32
        .size:           8
        .value_kind:     global_buffer
      - .address_space:  global
        .offset:         40
        .size:           8
        .value_kind:     global_buffer
      - .address_space:  global
        .offset:         48
        .size:           8
        .value_kind:     global_buffer
      - .address_space:  global
        .offset:         56
        .size:           8
        .value_kind:     global_buffer
      - .offset:         64
        .size:           4
        .value_kind:     by_value
      - .offset:         68
        .size:           4
        .value_kind:     by_value
      - .offset:         72
        .size:           4
        .value_kind:     by_value
      - .offset:         76
        .size:           4
        .value_kind:     by_value
      - .offset:         80
        .size:           4
        .value_kind:     by_value
      - .offset:         84
        .size:           4
        .value_kind:     by_value
      - .offset:         88
        .size:           4
        .value_kind:     by_value
      - .offset:         92
        .size:           12
        .value_kind:     by_value
      - .offset:         104
        .size:           4
        .value_kind:     by_value
      - .offset:         108
        .size:           4
        .value_kind:     by_value
      - .offset:         112
        .size:           4
        .value_kind:     by_value
      - .offset:         116
        .size:           4
        .value_kind:     by_value
      - .offset:         120
        .size:           4
        .value_kind:     by_value
      - .offset:         124
        .size:           4
        .value_kind:     by_value
      - .offset:         128
        .size:           4
        .value_kind:     by_value
      - .offset:         132
        .size:           4
        .value_kind:     by_value
      - .offset:         136
        .size:           4
        .value_kind:     by_value
      - .offset:         140
        .size:           4
        .value_kind:     by_value
      - .offset:         144
        .size:           4
        .value_kind:     by_value
      - .offset:         152
        .size:           8
        .value_kind:     by_value
      - .offset:         160
        .size:           4
        .value_kind:     by_value
      - .offset:         164
        .size:           4
        .value_kind:     by_value
      - .offset:         168
        .size:           8
        .value_kind:     by_value
      - .offset:         176
        .size:           4
        .value_kind:     by_value
      - .offset:         180
        .size:           4
        .value_kind:     by_value
      - .offset:         184
        .size:           4
        .value_kind:     by_value
      - .offset:         188
        .size:           4
        .value_kind:     by_value
      - .offset:         192
        .size:           4
        .value_kind:     by_value
      - .offset:         200
        .size:           8
        .value_kind:     by_value
      - .offset:         208
        .size:           4
        .value_kind:     hidden_block_count_x
      - .offset:         212
        .size:           4
        .value_kind:     hidden_block_count_y
      - .offset:         216
        .size:           4
        .value_kind:     hidden_block_count_z
      - .offset:         220
        .size:           2
        .value_kind:     hidden_group_size_x
      - .offset:         222
        .size:           2
        .value_kind:     hidden_group_size_y
      - .offset:         224
        .size:           2
        .value_kind:     hidden_group_size_z
      - .offset:         226
        .size:           2
        .value_kind:     hidden_remainder_x
      - .offset:         228
        .size:           2
        .value_kind:     hidden_remainder_y
      - .offset:         230
        .size:           2
        .value_kind:     hidden_remainder_z
      - .offset:         248
        .size:           8
        .value_kind:     hidden_global_offset_x
      - .offset:         256
        .size:           8
        .value_kind:     hidden_global_offset_y
      - .offset:         264
        .size:           8
        .value_kind:     hidden_global_offset_z
      - .offset:         272
        .size:           2
        .value_kind:     hidden_grid_dims
    .group_segment_fixed_size: 34816
    .kernarg_segment_align: 8
    .kernarg_segment_size: 464
    .language:       OpenCL C
    .language_version:
      - 2
      - 0
    .max_flat_workgroup_size: 256
    .name:           _ZL15flash_attn_tileILi128ELi128ELi16ELi2ELb0EEvPKcS1_S1_S1_S1_PKiPfP15HIP_vector_typeIfLj2EEffffjfiS5_IjLj3EEiiiiiiiiiiiliiliiiiil
    .private_segment_fixed_size: 0
    .sgpr_count:     46
    .sgpr_spill_count: 0
    .symbol:         _ZL15flash_attn_tileILi128ELi128ELi16ELi2ELb0EEvPKcS1_S1_S1_S1_PKiPfP15HIP_vector_typeIfLj2EEffffjfiS5_IjLj3EEiiiiiiiiiiiliiliiiiil.kd
    .uniform_work_group_size: 1
    .uses_dynamic_stack: false
    .vgpr_count:     127
    .vgpr_spill_count: 0
    .wavefront_size: 32
    .workgroup_processor_mode: 1
  - .args:
      - .address_space:  global
        .offset:         0
        .size:           8
        .value_kind:     global_buffer
      - .address_space:  global
        .offset:         8
        .size:           8
        .value_kind:     global_buffer
      - .offset:         16
        .size:           4
        .value_kind:     by_value
      - .offset:         20
        .size:           4
        .value_kind:     by_value
      - .offset:         24
        .size:           4
        .value_kind:     by_value
      - .offset:         28
        .size:           4
        .value_kind:     by_value
      - .offset:         32
        .size:           4
        .value_kind:     by_value
      - .offset:         36
        .size:           4
        .value_kind:     by_value
      - .offset:         40
        .size:           12
        .value_kind:     by_value
      - .offset:         52
        .size:           12
        .value_kind:     by_value
      - .offset:         64
        .size:           12
        .value_kind:     by_value
    .group_segment_fixed_size: 0
    .kernarg_segment_align: 8
    .kernarg_segment_size: 76
    .language:       OpenCL C
    .language_version:
      - 2
      - 0
    .max_flat_workgroup_size: 128
    .name:           _ZL33flash_attn_stream_k_fixup_uniformILi128ELi16ELi2EEvPfPK15HIP_vector_typeIfLj2EEiiiiiiS1_IjLj3EES5_S5_
    .private_segment_fixed_size: 0
    .sgpr_count:     18
    .sgpr_spill_count: 0
    .symbol:         _ZL33flash_attn_stream_k_fixup_uniformILi128ELi16ELi2EEvPfPK15HIP_vector_typeIfLj2EEiiiiiiS1_IjLj3EES5_S5_.kd
    .uniform_work_group_size: 1
    .uses_dynamic_stack: false
    .vgpr_count:     11
    .vgpr_spill_count: 0
    .wavefront_size: 32
    .workgroup_processor_mode: 1
  - .args:
      - .address_space:  global
        .offset:         0
        .size:           8
        .value_kind:     global_buffer
      - .address_space:  global
        .offset:         8
        .size:           8
        .value_kind:     global_buffer
      - .offset:         16
        .size:           4
        .value_kind:     by_value
      - .offset:         20
        .size:           4
        .value_kind:     by_value
      - .offset:         24
        .size:           4
        .value_kind:     by_value
      - .offset:         28
        .size:           4
        .value_kind:     by_value
      - .offset:         32
        .size:           12
        .value_kind:     by_value
      - .offset:         44
        .size:           12
        .value_kind:     by_value
      - .offset:         56
        .size:           12
        .value_kind:     by_value
      - .offset:         68
        .size:           12
        .value_kind:     by_value
      - .offset:         80
        .size:           4
        .value_kind:     hidden_block_count_x
      - .offset:         84
        .size:           4
        .value_kind:     hidden_block_count_y
      - .offset:         88
        .size:           4
        .value_kind:     hidden_block_count_z
      - .offset:         92
        .size:           2
        .value_kind:     hidden_group_size_x
      - .offset:         94
        .size:           2
        .value_kind:     hidden_group_size_y
      - .offset:         96
        .size:           2
        .value_kind:     hidden_group_size_z
      - .offset:         98
        .size:           2
        .value_kind:     hidden_remainder_x
      - .offset:         100
        .size:           2
        .value_kind:     hidden_remainder_y
      - .offset:         102
        .size:           2
        .value_kind:     hidden_remainder_z
      - .offset:         120
        .size:           8
        .value_kind:     hidden_global_offset_x
      - .offset:         128
        .size:           8
        .value_kind:     hidden_global_offset_y
      - .offset:         136
        .size:           8
        .value_kind:     hidden_global_offset_z
      - .offset:         144
        .size:           2
        .value_kind:     hidden_grid_dims
    .group_segment_fixed_size: 0
    .kernarg_segment_align: 8
    .kernarg_segment_size: 336
    .language:       OpenCL C
    .language_version:
      - 2
      - 0
    .max_flat_workgroup_size: 128
    .name:           _ZL33flash_attn_stream_k_fixup_generalILi128ELi16ELi2EEvPfPK15HIP_vector_typeIfLj2EEiiiiS1_IjLj3EES5_S5_S5_
    .private_segment_fixed_size: 0
    .sgpr_count:     46
    .sgpr_spill_count: 0
    .symbol:         _ZL33flash_attn_stream_k_fixup_generalILi128ELi16ELi2EEvPfPK15HIP_vector_typeIfLj2EEiiiiS1_IjLj3EES5_S5_S5_.kd
    .uniform_work_group_size: 1
    .uses_dynamic_stack: false
    .vgpr_count:     9
    .vgpr_spill_count: 0
    .wavefront_size: 32
    .workgroup_processor_mode: 1
  - .args:
      - .address_space:  global
        .offset:         0
        .size:           8
        .value_kind:     global_buffer
      - .address_space:  global
        .offset:         8
        .size:           8
        .value_kind:     global_buffer
      - .address_space:  global
        .offset:         16
        .size:           8
        .value_kind:     global_buffer
      - .address_space:  global
        .offset:         24
        .size:           8
        .value_kind:     global_buffer
      - .address_space:  global
        .offset:         32
        .size:           8
        .value_kind:     global_buffer
      - .address_space:  global
        .offset:         40
        .size:           8
        .value_kind:     global_buffer
      - .address_space:  global
        .offset:         48
        .size:           8
        .value_kind:     global_buffer
      - .address_space:  global
        .offset:         56
        .size:           8
        .value_kind:     global_buffer
      - .offset:         64
        .size:           4
        .value_kind:     by_value
      - .offset:         68
        .size:           4
        .value_kind:     by_value
      - .offset:         72
        .size:           4
        .value_kind:     by_value
      - .offset:         76
        .size:           4
        .value_kind:     by_value
      - .offset:         80
        .size:           4
        .value_kind:     by_value
      - .offset:         84
        .size:           4
        .value_kind:     by_value
      - .offset:         88
        .size:           4
        .value_kind:     by_value
      - .offset:         92
        .size:           12
        .value_kind:     by_value
      - .offset:         104
        .size:           4
        .value_kind:     by_value
      - .offset:         108
        .size:           4
        .value_kind:     by_value
      - .offset:         112
        .size:           4
        .value_kind:     by_value
      - .offset:         116
        .size:           4
        .value_kind:     by_value
      - .offset:         120
        .size:           4
        .value_kind:     by_value
      - .offset:         124
        .size:           4
        .value_kind:     by_value
      - .offset:         128
        .size:           4
        .value_kind:     by_value
      - .offset:         132
        .size:           4
        .value_kind:     by_value
      - .offset:         136
        .size:           4
        .value_kind:     by_value
      - .offset:         140
        .size:           4
        .value_kind:     by_value
      - .offset:         144
        .size:           4
        .value_kind:     by_value
      - .offset:         152
        .size:           8
        .value_kind:     by_value
      - .offset:         160
        .size:           4
        .value_kind:     by_value
      - .offset:         164
        .size:           4
        .value_kind:     by_value
      - .offset:         168
        .size:           8
        .value_kind:     by_value
      - .offset:         176
        .size:           4
        .value_kind:     by_value
      - .offset:         180
        .size:           4
        .value_kind:     by_value
      - .offset:         184
        .size:           4
        .value_kind:     by_value
      - .offset:         188
        .size:           4
        .value_kind:     by_value
      - .offset:         192
        .size:           4
        .value_kind:     by_value
      - .offset:         200
        .size:           8
        .value_kind:     by_value
      - .offset:         208
        .size:           4
        .value_kind:     hidden_block_count_x
      - .offset:         212
        .size:           4
        .value_kind:     hidden_block_count_y
      - .offset:         216
        .size:           4
        .value_kind:     hidden_block_count_z
      - .offset:         220
        .size:           2
        .value_kind:     hidden_group_size_x
      - .offset:         222
        .size:           2
        .value_kind:     hidden_group_size_y
      - .offset:         224
        .size:           2
        .value_kind:     hidden_group_size_z
      - .offset:         226
        .size:           2
        .value_kind:     hidden_remainder_x
      - .offset:         228
        .size:           2
        .value_kind:     hidden_remainder_y
      - .offset:         230
        .size:           2
        .value_kind:     hidden_remainder_z
      - .offset:         248
        .size:           8
        .value_kind:     hidden_global_offset_x
      - .offset:         256
        .size:           8
        .value_kind:     hidden_global_offset_y
      - .offset:         264
        .size:           8
        .value_kind:     hidden_global_offset_z
      - .offset:         272
        .size:           2
        .value_kind:     hidden_grid_dims
    .group_segment_fixed_size: 43008
    .kernarg_segment_align: 8
    .kernarg_segment_size: 464
    .language:       OpenCL C
    .language_version:
      - 2
      - 0
    .max_flat_workgroup_size: 256
    .name:           _ZL15flash_attn_tileILi128ELi128ELi8ELi2ELb0EEvPKcS1_S1_S1_S1_PKiPfP15HIP_vector_typeIfLj2EEffffjfiS5_IjLj3EEiiiiiiiiiiiliiliiiiil
    .private_segment_fixed_size: 156
    .sgpr_count:     46
    .sgpr_spill_count: 0
    .symbol:         _ZL15flash_attn_tileILi128ELi128ELi8ELi2ELb0EEvPKcS1_S1_S1_S1_PKiPfP15HIP_vector_typeIfLj2EEffffjfiS5_IjLj3EEiiiiiiiiiiiliiliiiiil.kd
    .uniform_work_group_size: 1
    .uses_dynamic_stack: false
    .vgpr_count:     256
    .vgpr_spill_count: 38
    .wavefront_size: 32
    .workgroup_processor_mode: 1
  - .args:
      - .address_space:  global
        .offset:         0
        .size:           8
        .value_kind:     global_buffer
      - .address_space:  global
        .offset:         8
        .size:           8
        .value_kind:     global_buffer
      - .offset:         16
        .size:           4
        .value_kind:     by_value
      - .offset:         20
        .size:           4
        .value_kind:     by_value
      - .offset:         24
        .size:           4
        .value_kind:     by_value
      - .offset:         28
        .size:           4
        .value_kind:     by_value
      - .offset:         32
        .size:           4
        .value_kind:     by_value
      - .offset:         36
        .size:           4
        .value_kind:     by_value
      - .offset:         40
        .size:           12
        .value_kind:     by_value
      - .offset:         52
        .size:           12
        .value_kind:     by_value
      - .offset:         64
        .size:           12
        .value_kind:     by_value
    .group_segment_fixed_size: 0
    .kernarg_segment_align: 8
    .kernarg_segment_size: 76
    .language:       OpenCL C
    .language_version:
      - 2
      - 0
    .max_flat_workgroup_size: 128
    .name:           _ZL33flash_attn_stream_k_fixup_uniformILi128ELi8ELi2EEvPfPK15HIP_vector_typeIfLj2EEiiiiiiS1_IjLj3EES5_S5_
    .private_segment_fixed_size: 0
    .sgpr_count:     18
    .sgpr_spill_count: 0
    .symbol:         _ZL33flash_attn_stream_k_fixup_uniformILi128ELi8ELi2EEvPfPK15HIP_vector_typeIfLj2EEiiiiiiS1_IjLj3EES5_S5_.kd
    .uniform_work_group_size: 1
    .uses_dynamic_stack: false
    .vgpr_count:     11
    .vgpr_spill_count: 0
    .wavefront_size: 32
    .workgroup_processor_mode: 1
  - .args:
      - .address_space:  global
        .offset:         0
        .size:           8
        .value_kind:     global_buffer
      - .address_space:  global
        .offset:         8
        .size:           8
        .value_kind:     global_buffer
      - .offset:         16
        .size:           4
        .value_kind:     by_value
      - .offset:         20
        .size:           4
        .value_kind:     by_value
      - .offset:         24
        .size:           4
        .value_kind:     by_value
      - .offset:         28
        .size:           4
        .value_kind:     by_value
      - .offset:         32
        .size:           12
        .value_kind:     by_value
      - .offset:         44
        .size:           12
        .value_kind:     by_value
      - .offset:         56
        .size:           12
        .value_kind:     by_value
      - .offset:         68
        .size:           12
        .value_kind:     by_value
      - .offset:         80
        .size:           4
        .value_kind:     hidden_block_count_x
      - .offset:         84
        .size:           4
        .value_kind:     hidden_block_count_y
      - .offset:         88
        .size:           4
        .value_kind:     hidden_block_count_z
      - .offset:         92
        .size:           2
        .value_kind:     hidden_group_size_x
      - .offset:         94
        .size:           2
        .value_kind:     hidden_group_size_y
      - .offset:         96
        .size:           2
        .value_kind:     hidden_group_size_z
      - .offset:         98
        .size:           2
        .value_kind:     hidden_remainder_x
      - .offset:         100
        .size:           2
        .value_kind:     hidden_remainder_y
      - .offset:         102
        .size:           2
        .value_kind:     hidden_remainder_z
      - .offset:         120
        .size:           8
        .value_kind:     hidden_global_offset_x
      - .offset:         128
        .size:           8
        .value_kind:     hidden_global_offset_y
      - .offset:         136
        .size:           8
        .value_kind:     hidden_global_offset_z
      - .offset:         144
        .size:           2
        .value_kind:     hidden_grid_dims
    .group_segment_fixed_size: 0
    .kernarg_segment_align: 8
    .kernarg_segment_size: 336
    .language:       OpenCL C
    .language_version:
      - 2
      - 0
    .max_flat_workgroup_size: 128
    .name:           _ZL33flash_attn_stream_k_fixup_generalILi128ELi8ELi2EEvPfPK15HIP_vector_typeIfLj2EEiiiiS1_IjLj3EES5_S5_S5_
    .private_segment_fixed_size: 0
    .sgpr_count:     46
    .sgpr_spill_count: 0
    .symbol:         _ZL33flash_attn_stream_k_fixup_generalILi128ELi8ELi2EEvPfPK15HIP_vector_typeIfLj2EEiiiiS1_IjLj3EES5_S5_S5_.kd
    .uniform_work_group_size: 1
    .uses_dynamic_stack: false
    .vgpr_count:     9
    .vgpr_spill_count: 0
    .wavefront_size: 32
    .workgroup_processor_mode: 1
  - .args:
      - .address_space:  global
        .offset:         0
        .size:           8
        .value_kind:     global_buffer
      - .address_space:  global
        .offset:         8
        .size:           8
        .value_kind:     global_buffer
      - .address_space:  global
        .offset:         16
        .size:           8
        .value_kind:     global_buffer
      - .address_space:  global
        .offset:         24
        .size:           8
        .value_kind:     global_buffer
      - .address_space:  global
        .offset:         32
        .size:           8
        .value_kind:     global_buffer
      - .address_space:  global
        .offset:         40
        .size:           8
        .value_kind:     global_buffer
      - .address_space:  global
        .offset:         48
        .size:           8
        .value_kind:     global_buffer
      - .address_space:  global
        .offset:         56
        .size:           8
        .value_kind:     global_buffer
      - .offset:         64
        .size:           4
        .value_kind:     by_value
      - .offset:         68
        .size:           4
        .value_kind:     by_value
      - .offset:         72
        .size:           4
        .value_kind:     by_value
      - .offset:         76
        .size:           4
        .value_kind:     by_value
      - .offset:         80
        .size:           4
        .value_kind:     by_value
      - .offset:         84
        .size:           4
        .value_kind:     by_value
      - .offset:         88
        .size:           4
        .value_kind:     by_value
      - .offset:         92
        .size:           12
        .value_kind:     by_value
      - .offset:         104
        .size:           4
        .value_kind:     by_value
      - .offset:         108
        .size:           4
        .value_kind:     by_value
      - .offset:         112
        .size:           4
        .value_kind:     by_value
      - .offset:         116
        .size:           4
        .value_kind:     by_value
      - .offset:         120
        .size:           4
        .value_kind:     by_value
      - .offset:         124
        .size:           4
        .value_kind:     by_value
      - .offset:         128
        .size:           4
        .value_kind:     by_value
      - .offset:         132
        .size:           4
        .value_kind:     by_value
      - .offset:         136
        .size:           4
        .value_kind:     by_value
      - .offset:         140
        .size:           4
        .value_kind:     by_value
      - .offset:         144
        .size:           4
        .value_kind:     by_value
      - .offset:         152
        .size:           8
        .value_kind:     by_value
      - .offset:         160
        .size:           4
        .value_kind:     by_value
      - .offset:         164
        .size:           4
        .value_kind:     by_value
      - .offset:         168
        .size:           8
        .value_kind:     by_value
      - .offset:         176
        .size:           4
        .value_kind:     by_value
      - .offset:         180
        .size:           4
        .value_kind:     by_value
      - .offset:         184
        .size:           4
        .value_kind:     by_value
      - .offset:         188
        .size:           4
        .value_kind:     by_value
      - .offset:         192
        .size:           4
        .value_kind:     by_value
      - .offset:         200
        .size:           8
        .value_kind:     by_value
      - .offset:         208
        .size:           4
        .value_kind:     hidden_block_count_x
      - .offset:         212
        .size:           4
        .value_kind:     hidden_block_count_y
      - .offset:         216
        .size:           4
        .value_kind:     hidden_block_count_z
      - .offset:         220
        .size:           2
        .value_kind:     hidden_group_size_x
      - .offset:         222
        .size:           2
        .value_kind:     hidden_group_size_y
      - .offset:         224
        .size:           2
        .value_kind:     hidden_group_size_z
      - .offset:         226
        .size:           2
        .value_kind:     hidden_remainder_x
      - .offset:         228
        .size:           2
        .value_kind:     hidden_remainder_y
      - .offset:         230
        .size:           2
        .value_kind:     hidden_remainder_z
      - .offset:         248
        .size:           8
        .value_kind:     hidden_global_offset_x
      - .offset:         256
        .size:           8
        .value_kind:     hidden_global_offset_y
      - .offset:         264
        .size:           8
        .value_kind:     hidden_global_offset_z
      - .offset:         272
        .size:           2
        .value_kind:     hidden_grid_dims
    .group_segment_fixed_size: 12288
    .kernarg_segment_align: 8
    .kernarg_segment_size: 464
    .language:       OpenCL C
    .language_version:
      - 2
      - 0
    .max_flat_workgroup_size: 128
    .name:           _ZL15flash_attn_tileILi128ELi128ELi4ELi2ELb0EEvPKcS1_S1_S1_S1_PKiPfP15HIP_vector_typeIfLj2EEffffjfiS5_IjLj3EEiiiiiiiiiiiliiliiiiil
    .private_segment_fixed_size: 0
    .sgpr_count:     44
    .sgpr_spill_count: 0
    .symbol:         _ZL15flash_attn_tileILi128ELi128ELi4ELi2ELb0EEvPKcS1_S1_S1_S1_PKiPfP15HIP_vector_typeIfLj2EEffffjfiS5_IjLj3EEiiiiiiiiiiiliiliiiiil.kd
    .uniform_work_group_size: 1
    .uses_dynamic_stack: false
    .vgpr_count:     160
    .vgpr_spill_count: 0
    .wavefront_size: 32
    .workgroup_processor_mode: 1
  - .args:
      - .address_space:  global
        .offset:         0
        .size:           8
        .value_kind:     global_buffer
      - .address_space:  global
        .offset:         8
        .size:           8
        .value_kind:     global_buffer
      - .offset:         16
        .size:           4
        .value_kind:     by_value
      - .offset:         20
        .size:           4
        .value_kind:     by_value
      - .offset:         24
        .size:           4
        .value_kind:     by_value
      - .offset:         28
        .size:           4
        .value_kind:     by_value
      - .offset:         32
        .size:           4
        .value_kind:     by_value
      - .offset:         36
        .size:           4
        .value_kind:     by_value
      - .offset:         40
        .size:           12
        .value_kind:     by_value
      - .offset:         52
        .size:           12
        .value_kind:     by_value
      - .offset:         64
        .size:           12
        .value_kind:     by_value
    .group_segment_fixed_size: 0
    .kernarg_segment_align: 8
    .kernarg_segment_size: 76
    .language:       OpenCL C
    .language_version:
      - 2
      - 0
    .max_flat_workgroup_size: 128
    .name:           _ZL33flash_attn_stream_k_fixup_uniformILi128ELi4ELi2EEvPfPK15HIP_vector_typeIfLj2EEiiiiiiS1_IjLj3EES5_S5_
    .private_segment_fixed_size: 0
    .sgpr_count:     18
    .sgpr_spill_count: 0
    .symbol:         _ZL33flash_attn_stream_k_fixup_uniformILi128ELi4ELi2EEvPfPK15HIP_vector_typeIfLj2EEiiiiiiS1_IjLj3EES5_S5_.kd
    .uniform_work_group_size: 1
    .uses_dynamic_stack: false
    .vgpr_count:     11
    .vgpr_spill_count: 0
    .wavefront_size: 32
    .workgroup_processor_mode: 1
  - .args:
      - .address_space:  global
        .offset:         0
        .size:           8
        .value_kind:     global_buffer
      - .address_space:  global
        .offset:         8
        .size:           8
        .value_kind:     global_buffer
      - .offset:         16
        .size:           4
        .value_kind:     by_value
      - .offset:         20
        .size:           4
        .value_kind:     by_value
      - .offset:         24
        .size:           4
        .value_kind:     by_value
      - .offset:         28
        .size:           4
        .value_kind:     by_value
      - .offset:         32
        .size:           12
        .value_kind:     by_value
      - .offset:         44
        .size:           12
        .value_kind:     by_value
      - .offset:         56
        .size:           12
        .value_kind:     by_value
      - .offset:         68
        .size:           12
        .value_kind:     by_value
      - .offset:         80
        .size:           4
        .value_kind:     hidden_block_count_x
      - .offset:         84
        .size:           4
        .value_kind:     hidden_block_count_y
      - .offset:         88
        .size:           4
        .value_kind:     hidden_block_count_z
      - .offset:         92
        .size:           2
        .value_kind:     hidden_group_size_x
      - .offset:         94
        .size:           2
        .value_kind:     hidden_group_size_y
      - .offset:         96
        .size:           2
        .value_kind:     hidden_group_size_z
      - .offset:         98
        .size:           2
        .value_kind:     hidden_remainder_x
      - .offset:         100
        .size:           2
        .value_kind:     hidden_remainder_y
      - .offset:         102
        .size:           2
        .value_kind:     hidden_remainder_z
      - .offset:         120
        .size:           8
        .value_kind:     hidden_global_offset_x
      - .offset:         128
        .size:           8
        .value_kind:     hidden_global_offset_y
      - .offset:         136
        .size:           8
        .value_kind:     hidden_global_offset_z
      - .offset:         144
        .size:           2
        .value_kind:     hidden_grid_dims
    .group_segment_fixed_size: 0
    .kernarg_segment_align: 8
    .kernarg_segment_size: 336
    .language:       OpenCL C
    .language_version:
      - 2
      - 0
    .max_flat_workgroup_size: 128
    .name:           _ZL33flash_attn_stream_k_fixup_generalILi128ELi4ELi2EEvPfPK15HIP_vector_typeIfLj2EEiiiiS1_IjLj3EES5_S5_S5_
    .private_segment_fixed_size: 0
    .sgpr_count:     46
    .sgpr_spill_count: 0
    .symbol:         _ZL33flash_attn_stream_k_fixup_generalILi128ELi4ELi2EEvPfPK15HIP_vector_typeIfLj2EEiiiiS1_IjLj3EES5_S5_S5_.kd
    .uniform_work_group_size: 1
    .uses_dynamic_stack: false
    .vgpr_count:     9
    .vgpr_spill_count: 0
    .wavefront_size: 32
    .workgroup_processor_mode: 1
  - .args:
      - .address_space:  global
        .offset:         0
        .size:           8
        .value_kind:     global_buffer
      - .address_space:  global
        .offset:         8
        .size:           8
        .value_kind:     global_buffer
      - .address_space:  global
        .offset:         16
        .size:           8
        .value_kind:     global_buffer
      - .address_space:  global
        .offset:         24
        .size:           8
        .value_kind:     global_buffer
      - .address_space:  global
        .offset:         32
        .size:           8
        .value_kind:     global_buffer
      - .address_space:  global
        .offset:         40
        .size:           8
        .value_kind:     global_buffer
      - .address_space:  global
        .offset:         48
        .size:           8
        .value_kind:     global_buffer
      - .address_space:  global
        .offset:         56
        .size:           8
        .value_kind:     global_buffer
      - .offset:         64
        .size:           4
        .value_kind:     by_value
      - .offset:         68
        .size:           4
        .value_kind:     by_value
      - .offset:         72
        .size:           4
        .value_kind:     by_value
      - .offset:         76
        .size:           4
        .value_kind:     by_value
      - .offset:         80
        .size:           4
        .value_kind:     by_value
      - .offset:         84
        .size:           4
        .value_kind:     by_value
      - .offset:         88
        .size:           4
        .value_kind:     by_value
      - .offset:         92
        .size:           12
        .value_kind:     by_value
      - .offset:         104
        .size:           4
        .value_kind:     by_value
      - .offset:         108
        .size:           4
        .value_kind:     by_value
      - .offset:         112
        .size:           4
        .value_kind:     by_value
      - .offset:         116
        .size:           4
        .value_kind:     by_value
      - .offset:         120
        .size:           4
        .value_kind:     by_value
      - .offset:         124
        .size:           4
        .value_kind:     by_value
      - .offset:         128
        .size:           4
        .value_kind:     by_value
      - .offset:         132
        .size:           4
        .value_kind:     by_value
      - .offset:         136
        .size:           4
        .value_kind:     by_value
      - .offset:         140
        .size:           4
        .value_kind:     by_value
      - .offset:         144
        .size:           4
        .value_kind:     by_value
      - .offset:         152
        .size:           8
        .value_kind:     by_value
      - .offset:         160
        .size:           4
        .value_kind:     by_value
      - .offset:         164
        .size:           4
        .value_kind:     by_value
      - .offset:         168
        .size:           8
        .value_kind:     by_value
      - .offset:         176
        .size:           4
        .value_kind:     by_value
      - .offset:         180
        .size:           4
        .value_kind:     by_value
      - .offset:         184
        .size:           4
        .value_kind:     by_value
      - .offset:         188
        .size:           4
        .value_kind:     by_value
      - .offset:         192
        .size:           4
        .value_kind:     by_value
      - .offset:         200
        .size:           8
        .value_kind:     by_value
      - .offset:         208
        .size:           4
        .value_kind:     hidden_block_count_x
      - .offset:         212
        .size:           4
        .value_kind:     hidden_block_count_y
      - .offset:         216
        .size:           4
        .value_kind:     hidden_block_count_z
      - .offset:         220
        .size:           2
        .value_kind:     hidden_group_size_x
      - .offset:         222
        .size:           2
        .value_kind:     hidden_group_size_y
      - .offset:         224
        .size:           2
        .value_kind:     hidden_group_size_z
      - .offset:         226
        .size:           2
        .value_kind:     hidden_remainder_x
      - .offset:         228
        .size:           2
        .value_kind:     hidden_remainder_y
      - .offset:         230
        .size:           2
        .value_kind:     hidden_remainder_z
      - .offset:         248
        .size:           8
        .value_kind:     hidden_global_offset_x
      - .offset:         256
        .size:           8
        .value_kind:     hidden_global_offset_y
      - .offset:         264
        .size:           8
        .value_kind:     hidden_global_offset_z
      - .offset:         272
        .size:           2
        .value_kind:     hidden_grid_dims
    .group_segment_fixed_size: 10752
    .kernarg_segment_align: 8
    .kernarg_segment_size: 464
    .language:       OpenCL C
    .language_version:
      - 2
      - 0
    .max_flat_workgroup_size: 128
    .name:           _ZL15flash_attn_tileILi128ELi128ELi2ELi2ELb0EEvPKcS1_S1_S1_S1_PKiPfP15HIP_vector_typeIfLj2EEffffjfiS5_IjLj3EEiiiiiiiiiiiliiliiiiil
    .private_segment_fixed_size: 0
    .sgpr_count:     44
    .sgpr_spill_count: 0
    .symbol:         _ZL15flash_attn_tileILi128ELi128ELi2ELi2ELb0EEvPKcS1_S1_S1_S1_PKiPfP15HIP_vector_typeIfLj2EEffffjfiS5_IjLj3EEiiiiiiiiiiiliiliiiiil.kd
    .uniform_work_group_size: 1
    .uses_dynamic_stack: false
    .vgpr_count:     127
    .vgpr_spill_count: 0
    .wavefront_size: 32
    .workgroup_processor_mode: 1
  - .args:
      - .address_space:  global
        .offset:         0
        .size:           8
        .value_kind:     global_buffer
      - .address_space:  global
        .offset:         8
        .size:           8
        .value_kind:     global_buffer
      - .offset:         16
        .size:           4
        .value_kind:     by_value
      - .offset:         20
        .size:           4
        .value_kind:     by_value
      - .offset:         24
        .size:           4
        .value_kind:     by_value
      - .offset:         28
        .size:           4
        .value_kind:     by_value
      - .offset:         32
        .size:           4
        .value_kind:     by_value
      - .offset:         36
        .size:           4
        .value_kind:     by_value
      - .offset:         40
        .size:           12
        .value_kind:     by_value
      - .offset:         52
        .size:           12
        .value_kind:     by_value
      - .offset:         64
        .size:           12
        .value_kind:     by_value
    .group_segment_fixed_size: 0
    .kernarg_segment_align: 8
    .kernarg_segment_size: 76
    .language:       OpenCL C
    .language_version:
      - 2
      - 0
    .max_flat_workgroup_size: 128
    .name:           _ZL33flash_attn_stream_k_fixup_uniformILi128ELi2ELi2EEvPfPK15HIP_vector_typeIfLj2EEiiiiiiS1_IjLj3EES5_S5_
    .private_segment_fixed_size: 0
    .sgpr_count:     18
    .sgpr_spill_count: 0
    .symbol:         _ZL33flash_attn_stream_k_fixup_uniformILi128ELi2ELi2EEvPfPK15HIP_vector_typeIfLj2EEiiiiiiS1_IjLj3EES5_S5_.kd
    .uniform_work_group_size: 1
    .uses_dynamic_stack: false
    .vgpr_count:     11
    .vgpr_spill_count: 0
    .wavefront_size: 32
    .workgroup_processor_mode: 1
  - .args:
      - .address_space:  global
        .offset:         0
        .size:           8
        .value_kind:     global_buffer
      - .address_space:  global
        .offset:         8
        .size:           8
        .value_kind:     global_buffer
      - .offset:         16
        .size:           4
        .value_kind:     by_value
      - .offset:         20
        .size:           4
        .value_kind:     by_value
      - .offset:         24
        .size:           4
        .value_kind:     by_value
      - .offset:         28
        .size:           4
        .value_kind:     by_value
      - .offset:         32
        .size:           12
        .value_kind:     by_value
      - .offset:         44
        .size:           12
        .value_kind:     by_value
      - .offset:         56
        .size:           12
        .value_kind:     by_value
      - .offset:         68
        .size:           12
        .value_kind:     by_value
      - .offset:         80
        .size:           4
        .value_kind:     hidden_block_count_x
      - .offset:         84
        .size:           4
        .value_kind:     hidden_block_count_y
      - .offset:         88
        .size:           4
        .value_kind:     hidden_block_count_z
      - .offset:         92
        .size:           2
        .value_kind:     hidden_group_size_x
      - .offset:         94
        .size:           2
        .value_kind:     hidden_group_size_y
      - .offset:         96
        .size:           2
        .value_kind:     hidden_group_size_z
      - .offset:         98
        .size:           2
        .value_kind:     hidden_remainder_x
      - .offset:         100
        .size:           2
        .value_kind:     hidden_remainder_y
      - .offset:         102
        .size:           2
        .value_kind:     hidden_remainder_z
      - .offset:         120
        .size:           8
        .value_kind:     hidden_global_offset_x
      - .offset:         128
        .size:           8
        .value_kind:     hidden_global_offset_y
      - .offset:         136
        .size:           8
        .value_kind:     hidden_global_offset_z
      - .offset:         144
        .size:           2
        .value_kind:     hidden_grid_dims
    .group_segment_fixed_size: 0
    .kernarg_segment_align: 8
    .kernarg_segment_size: 336
    .language:       OpenCL C
    .language_version:
      - 2
      - 0
    .max_flat_workgroup_size: 128
    .name:           _ZL33flash_attn_stream_k_fixup_generalILi128ELi2ELi2EEvPfPK15HIP_vector_typeIfLj2EEiiiiS1_IjLj3EES5_S5_S5_
    .private_segment_fixed_size: 0
    .sgpr_count:     46
    .sgpr_spill_count: 0
    .symbol:         _ZL33flash_attn_stream_k_fixup_generalILi128ELi2ELi2EEvPfPK15HIP_vector_typeIfLj2EEiiiiS1_IjLj3EES5_S5_S5_.kd
    .uniform_work_group_size: 1
    .uses_dynamic_stack: false
    .vgpr_count:     9
    .vgpr_spill_count: 0
    .wavefront_size: 32
    .workgroup_processor_mode: 1
  - .args:
      - .address_space:  global
        .offset:         0
        .size:           8
        .value_kind:     global_buffer
      - .address_space:  global
        .offset:         8
        .size:           8
        .value_kind:     global_buffer
      - .address_space:  global
        .offset:         16
        .size:           8
        .value_kind:     global_buffer
      - .address_space:  global
        .offset:         24
        .size:           8
        .value_kind:     global_buffer
      - .address_space:  global
        .offset:         32
        .size:           8
        .value_kind:     global_buffer
      - .address_space:  global
        .offset:         40
        .size:           8
        .value_kind:     global_buffer
      - .address_space:  global
        .offset:         48
        .size:           8
        .value_kind:     global_buffer
      - .address_space:  global
        .offset:         56
        .size:           8
        .value_kind:     global_buffer
      - .offset:         64
        .size:           4
        .value_kind:     by_value
      - .offset:         68
        .size:           4
        .value_kind:     by_value
      - .offset:         72
        .size:           4
        .value_kind:     by_value
      - .offset:         76
        .size:           4
        .value_kind:     by_value
      - .offset:         80
        .size:           4
        .value_kind:     by_value
      - .offset:         84
        .size:           4
        .value_kind:     by_value
      - .offset:         88
        .size:           4
        .value_kind:     by_value
      - .offset:         92
        .size:           12
        .value_kind:     by_value
      - .offset:         104
        .size:           4
        .value_kind:     by_value
      - .offset:         108
        .size:           4
        .value_kind:     by_value
      - .offset:         112
        .size:           4
        .value_kind:     by_value
      - .offset:         116
        .size:           4
        .value_kind:     by_value
      - .offset:         120
        .size:           4
        .value_kind:     by_value
      - .offset:         124
        .size:           4
        .value_kind:     by_value
      - .offset:         128
        .size:           4
        .value_kind:     by_value
      - .offset:         132
        .size:           4
        .value_kind:     by_value
      - .offset:         136
        .size:           4
        .value_kind:     by_value
      - .offset:         140
        .size:           4
        .value_kind:     by_value
      - .offset:         144
        .size:           4
        .value_kind:     by_value
      - .offset:         152
        .size:           8
        .value_kind:     by_value
      - .offset:         160
        .size:           4
        .value_kind:     by_value
      - .offset:         164
        .size:           4
        .value_kind:     by_value
      - .offset:         168
        .size:           8
        .value_kind:     by_value
      - .offset:         176
        .size:           4
        .value_kind:     by_value
      - .offset:         180
        .size:           4
        .value_kind:     by_value
      - .offset:         184
        .size:           4
        .value_kind:     by_value
      - .offset:         188
        .size:           4
        .value_kind:     by_value
      - .offset:         192
        .size:           4
        .value_kind:     by_value
      - .offset:         200
        .size:           8
        .value_kind:     by_value
      - .offset:         208
        .size:           4
        .value_kind:     hidden_block_count_x
      - .offset:         212
        .size:           4
        .value_kind:     hidden_block_count_y
      - .offset:         216
        .size:           4
        .value_kind:     hidden_block_count_z
      - .offset:         220
        .size:           2
        .value_kind:     hidden_group_size_x
      - .offset:         222
        .size:           2
        .value_kind:     hidden_group_size_y
      - .offset:         224
        .size:           2
        .value_kind:     hidden_group_size_z
      - .offset:         226
        .size:           2
        .value_kind:     hidden_remainder_x
      - .offset:         228
        .size:           2
        .value_kind:     hidden_remainder_y
      - .offset:         230
        .size:           2
        .value_kind:     hidden_remainder_z
      - .offset:         248
        .size:           8
        .value_kind:     hidden_global_offset_x
      - .offset:         256
        .size:           8
        .value_kind:     hidden_global_offset_y
      - .offset:         264
        .size:           8
        .value_kind:     hidden_global_offset_z
      - .offset:         272
        .size:           2
        .value_kind:     hidden_grid_dims
    .group_segment_fixed_size: 5248
    .kernarg_segment_align: 8
    .kernarg_segment_size: 464
    .language:       OpenCL C
    .language_version:
      - 2
      - 0
    .max_flat_workgroup_size: 64
    .name:           _ZL15flash_attn_tileILi128ELi128ELi1ELi2ELb0EEvPKcS1_S1_S1_S1_PKiPfP15HIP_vector_typeIfLj2EEffffjfiS5_IjLj3EEiiiiiiiiiiiliiliiiiil
    .private_segment_fixed_size: 0
    .sgpr_count:     45
    .sgpr_spill_count: 0
    .symbol:         _ZL15flash_attn_tileILi128ELi128ELi1ELi2ELb0EEvPKcS1_S1_S1_S1_PKiPfP15HIP_vector_typeIfLj2EEffffjfiS5_IjLj3EEiiiiiiiiiiiliiliiiiil.kd
    .uniform_work_group_size: 1
    .uses_dynamic_stack: false
    .vgpr_count:     115
    .vgpr_spill_count: 0
    .wavefront_size: 32
    .workgroup_processor_mode: 1
  - .args:
      - .address_space:  global
        .offset:         0
        .size:           8
        .value_kind:     global_buffer
      - .address_space:  global
        .offset:         8
        .size:           8
        .value_kind:     global_buffer
      - .offset:         16
        .size:           4
        .value_kind:     by_value
      - .offset:         20
        .size:           4
        .value_kind:     by_value
      - .offset:         24
        .size:           4
        .value_kind:     by_value
      - .offset:         28
        .size:           4
        .value_kind:     by_value
      - .offset:         32
        .size:           4
        .value_kind:     by_value
      - .offset:         36
        .size:           4
        .value_kind:     by_value
      - .offset:         40
        .size:           12
        .value_kind:     by_value
      - .offset:         52
        .size:           12
        .value_kind:     by_value
      - .offset:         64
        .size:           12
        .value_kind:     by_value
    .group_segment_fixed_size: 0
    .kernarg_segment_align: 8
    .kernarg_segment_size: 76
    .language:       OpenCL C
    .language_version:
      - 2
      - 0
    .max_flat_workgroup_size: 128
    .name:           _ZL33flash_attn_stream_k_fixup_uniformILi128ELi1ELi2EEvPfPK15HIP_vector_typeIfLj2EEiiiiiiS1_IjLj3EES5_S5_
    .private_segment_fixed_size: 0
    .sgpr_count:     22
    .sgpr_spill_count: 0
    .symbol:         _ZL33flash_attn_stream_k_fixup_uniformILi128ELi1ELi2EEvPfPK15HIP_vector_typeIfLj2EEiiiiiiS1_IjLj3EES5_S5_.kd
    .uniform_work_group_size: 1
    .uses_dynamic_stack: false
    .vgpr_count:     11
    .vgpr_spill_count: 0
    .wavefront_size: 32
    .workgroup_processor_mode: 1
  - .args:
      - .address_space:  global
        .offset:         0
        .size:           8
        .value_kind:     global_buffer
      - .address_space:  global
        .offset:         8
        .size:           8
        .value_kind:     global_buffer
      - .offset:         16
        .size:           4
        .value_kind:     by_value
      - .offset:         20
        .size:           4
        .value_kind:     by_value
      - .offset:         24
        .size:           4
        .value_kind:     by_value
      - .offset:         28
        .size:           4
        .value_kind:     by_value
      - .offset:         32
        .size:           12
        .value_kind:     by_value
      - .offset:         44
        .size:           12
        .value_kind:     by_value
      - .offset:         56
        .size:           12
        .value_kind:     by_value
      - .offset:         68
        .size:           12
        .value_kind:     by_value
      - .offset:         80
        .size:           4
        .value_kind:     hidden_block_count_x
      - .offset:         84
        .size:           4
        .value_kind:     hidden_block_count_y
      - .offset:         88
        .size:           4
        .value_kind:     hidden_block_count_z
      - .offset:         92
        .size:           2
        .value_kind:     hidden_group_size_x
      - .offset:         94
        .size:           2
        .value_kind:     hidden_group_size_y
      - .offset:         96
        .size:           2
        .value_kind:     hidden_group_size_z
      - .offset:         98
        .size:           2
        .value_kind:     hidden_remainder_x
      - .offset:         100
        .size:           2
        .value_kind:     hidden_remainder_y
      - .offset:         102
        .size:           2
        .value_kind:     hidden_remainder_z
      - .offset:         120
        .size:           8
        .value_kind:     hidden_global_offset_x
      - .offset:         128
        .size:           8
        .value_kind:     hidden_global_offset_y
      - .offset:         136
        .size:           8
        .value_kind:     hidden_global_offset_z
      - .offset:         144
        .size:           2
        .value_kind:     hidden_grid_dims
    .group_segment_fixed_size: 0
    .kernarg_segment_align: 8
    .kernarg_segment_size: 336
    .language:       OpenCL C
    .language_version:
      - 2
      - 0
    .max_flat_workgroup_size: 128
    .name:           _ZL33flash_attn_stream_k_fixup_generalILi128ELi1ELi2EEvPfPK15HIP_vector_typeIfLj2EEiiiiS1_IjLj3EES5_S5_S5_
    .private_segment_fixed_size: 0
    .sgpr_count:     46
    .sgpr_spill_count: 0
    .symbol:         _ZL33flash_attn_stream_k_fixup_generalILi128ELi1ELi2EEvPfPK15HIP_vector_typeIfLj2EEiiiiS1_IjLj3EES5_S5_S5_.kd
    .uniform_work_group_size: 1
    .uses_dynamic_stack: false
    .vgpr_count:     9
    .vgpr_spill_count: 0
    .wavefront_size: 32
    .workgroup_processor_mode: 1
  - .args:
      - .address_space:  global
        .offset:         0
        .size:           8
        .value_kind:     global_buffer
      - .address_space:  global
        .offset:         8
        .size:           8
        .value_kind:     global_buffer
      - .address_space:  global
        .offset:         16
        .size:           8
        .value_kind:     global_buffer
      - .address_space:  global
        .offset:         24
        .size:           8
        .value_kind:     global_buffer
      - .address_space:  global
        .offset:         32
        .size:           8
        .value_kind:     global_buffer
      - .address_space:  global
        .offset:         40
        .size:           8
        .value_kind:     global_buffer
      - .address_space:  global
        .offset:         48
        .size:           8
        .value_kind:     global_buffer
      - .address_space:  global
        .offset:         56
        .size:           8
        .value_kind:     global_buffer
      - .offset:         64
        .size:           4
        .value_kind:     by_value
      - .offset:         68
        .size:           4
        .value_kind:     by_value
      - .offset:         72
        .size:           4
        .value_kind:     by_value
      - .offset:         76
        .size:           4
        .value_kind:     by_value
      - .offset:         80
        .size:           4
        .value_kind:     by_value
      - .offset:         84
        .size:           4
        .value_kind:     by_value
      - .offset:         88
        .size:           4
        .value_kind:     by_value
      - .offset:         92
        .size:           12
        .value_kind:     by_value
      - .offset:         104
        .size:           4
        .value_kind:     by_value
      - .offset:         108
        .size:           4
        .value_kind:     by_value
      - .offset:         112
        .size:           4
        .value_kind:     by_value
      - .offset:         116
        .size:           4
        .value_kind:     by_value
      - .offset:         120
        .size:           4
        .value_kind:     by_value
      - .offset:         124
        .size:           4
        .value_kind:     by_value
      - .offset:         128
        .size:           4
        .value_kind:     by_value
      - .offset:         132
        .size:           4
        .value_kind:     by_value
      - .offset:         136
        .size:           4
        .value_kind:     by_value
      - .offset:         140
        .size:           4
        .value_kind:     by_value
      - .offset:         144
        .size:           4
        .value_kind:     by_value
      - .offset:         152
        .size:           8
        .value_kind:     by_value
      - .offset:         160
        .size:           4
        .value_kind:     by_value
      - .offset:         164
        .size:           4
        .value_kind:     by_value
      - .offset:         168
        .size:           8
        .value_kind:     by_value
      - .offset:         176
        .size:           4
        .value_kind:     by_value
      - .offset:         180
        .size:           4
        .value_kind:     by_value
      - .offset:         184
        .size:           4
        .value_kind:     by_value
      - .offset:         188
        .size:           4
        .value_kind:     by_value
      - .offset:         192
        .size:           4
        .value_kind:     by_value
      - .offset:         200
        .size:           8
        .value_kind:     by_value
      - .offset:         208
        .size:           4
        .value_kind:     hidden_block_count_x
      - .offset:         212
        .size:           4
        .value_kind:     hidden_block_count_y
      - .offset:         216
        .size:           4
        .value_kind:     hidden_block_count_z
      - .offset:         220
        .size:           2
        .value_kind:     hidden_group_size_x
      - .offset:         222
        .size:           2
        .value_kind:     hidden_group_size_y
      - .offset:         224
        .size:           2
        .value_kind:     hidden_group_size_z
      - .offset:         226
        .size:           2
        .value_kind:     hidden_remainder_x
      - .offset:         228
        .size:           2
        .value_kind:     hidden_remainder_y
      - .offset:         230
        .size:           2
        .value_kind:     hidden_remainder_z
      - .offset:         248
        .size:           8
        .value_kind:     hidden_global_offset_x
      - .offset:         256
        .size:           8
        .value_kind:     hidden_global_offset_y
      - .offset:         264
        .size:           8
        .value_kind:     hidden_global_offset_z
      - .offset:         272
        .size:           2
        .value_kind:     hidden_grid_dims
    .group_segment_fixed_size: 33792
    .kernarg_segment_align: 8
    .kernarg_segment_size: 464
    .language:       OpenCL C
    .language_version:
      - 2
      - 0
    .max_flat_workgroup_size: 256
    .name:           _ZL15flash_attn_tileILi128ELi128ELi64ELi1ELb0EEvPKcS1_S1_S1_S1_PKiPfP15HIP_vector_typeIfLj2EEffffjfiS5_IjLj3EEiiiiiiiiiiiliiliiiiil
    .private_segment_fixed_size: 32
    .sgpr_count:     49
    .sgpr_spill_count: 0
    .symbol:         _ZL15flash_attn_tileILi128ELi128ELi64ELi1ELb0EEvPKcS1_S1_S1_S1_PKiPfP15HIP_vector_typeIfLj2EEffffjfiS5_IjLj3EEiiiiiiiiiiiliiliiiiil.kd
    .uniform_work_group_size: 1
    .uses_dynamic_stack: false
    .vgpr_count:     175
    .vgpr_spill_count: 0
    .wavefront_size: 32
    .workgroup_processor_mode: 1
  - .args:
      - .actual_access:  read_only
        .address_space:  global
        .offset:         0
        .size:           8
        .value_kind:     global_buffer
      - .actual_access:  write_only
        .address_space:  global
        .offset:         8
        .size:           8
        .value_kind:     global_buffer
      - .offset:         16
        .size:           4
        .value_kind:     by_value
      - .offset:         20
        .size:           4
        .value_kind:     by_value
      - .offset:         24
        .size:           4
        .value_kind:     by_value
      - .offset:         32
        .size:           4
        .value_kind:     hidden_block_count_x
      - .offset:         36
        .size:           4
        .value_kind:     hidden_block_count_y
      - .offset:         40
        .size:           4
        .value_kind:     hidden_block_count_z
      - .offset:         44
        .size:           2
        .value_kind:     hidden_group_size_x
      - .offset:         46
        .size:           2
        .value_kind:     hidden_group_size_y
      - .offset:         48
        .size:           2
        .value_kind:     hidden_group_size_z
      - .offset:         50
        .size:           2
        .value_kind:     hidden_remainder_x
      - .offset:         52
        .size:           2
        .value_kind:     hidden_remainder_y
      - .offset:         54
        .size:           2
        .value_kind:     hidden_remainder_z
      - .offset:         72
        .size:           8
        .value_kind:     hidden_global_offset_x
      - .offset:         80
        .size:           8
        .value_kind:     hidden_global_offset_y
      - .offset:         88
        .size:           8
        .value_kind:     hidden_global_offset_z
      - .offset:         96
        .size:           2
        .value_kind:     hidden_grid_dims
    .group_segment_fixed_size: 128
    .kernarg_segment_align: 8
    .kernarg_segment_size: 288
    .language:       OpenCL C
    .language_version:
      - 2
      - 0
    .max_flat_workgroup_size: 128
    .name:           _ZL25flash_attn_mask_to_KV_maxILi64EEvPK7__half2Piiii
    .private_segment_fixed_size: 0
    .sgpr_count:     107
    .sgpr_spill_count: 31
    .symbol:         _ZL25flash_attn_mask_to_KV_maxILi64EEvPK7__half2Piiii.kd
    .uniform_work_group_size: 1
    .uses_dynamic_stack: false
    .vgpr_count:     10
    .vgpr_spill_count: 0
    .wavefront_size: 32
    .workgroup_processor_mode: 1
  - .args:
      - .address_space:  global
        .offset:         0
        .size:           8
        .value_kind:     global_buffer
      - .address_space:  global
        .offset:         8
        .size:           8
        .value_kind:     global_buffer
      - .offset:         16
        .size:           4
        .value_kind:     by_value
      - .offset:         20
        .size:           4
        .value_kind:     by_value
      - .offset:         24
        .size:           4
        .value_kind:     by_value
      - .offset:         28
        .size:           4
        .value_kind:     by_value
      - .offset:         32
        .size:           4
        .value_kind:     by_value
      - .offset:         36
        .size:           4
        .value_kind:     by_value
      - .offset:         40
        .size:           12
        .value_kind:     by_value
      - .offset:         52
        .size:           12
        .value_kind:     by_value
      - .offset:         64
        .size:           12
        .value_kind:     by_value
    .group_segment_fixed_size: 0
    .kernarg_segment_align: 8
    .kernarg_segment_size: 76
    .language:       OpenCL C
    .language_version:
      - 2
      - 0
    .max_flat_workgroup_size: 128
    .name:           _ZL33flash_attn_stream_k_fixup_uniformILi128ELi64ELi1EEvPfPK15HIP_vector_typeIfLj2EEiiiiiiS1_IjLj3EES5_S5_
    .private_segment_fixed_size: 0
    .sgpr_count:     18
    .sgpr_spill_count: 0
    .symbol:         _ZL33flash_attn_stream_k_fixup_uniformILi128ELi64ELi1EEvPfPK15HIP_vector_typeIfLj2EEiiiiiiS1_IjLj3EES5_S5_.kd
    .uniform_work_group_size: 1
    .uses_dynamic_stack: false
    .vgpr_count:     11
    .vgpr_spill_count: 0
    .wavefront_size: 32
    .workgroup_processor_mode: 1
  - .args:
      - .address_space:  global
        .offset:         0
        .size:           8
        .value_kind:     global_buffer
      - .address_space:  global
        .offset:         8
        .size:           8
        .value_kind:     global_buffer
      - .offset:         16
        .size:           4
        .value_kind:     by_value
      - .offset:         20
        .size:           4
        .value_kind:     by_value
      - .offset:         24
        .size:           4
        .value_kind:     by_value
      - .offset:         28
        .size:           4
        .value_kind:     by_value
      - .offset:         32
        .size:           12
        .value_kind:     by_value
      - .offset:         44
        .size:           12
        .value_kind:     by_value
      - .offset:         56
        .size:           12
        .value_kind:     by_value
      - .offset:         68
        .size:           12
        .value_kind:     by_value
      - .offset:         80
        .size:           4
        .value_kind:     hidden_block_count_x
      - .offset:         84
        .size:           4
        .value_kind:     hidden_block_count_y
      - .offset:         88
        .size:           4
        .value_kind:     hidden_block_count_z
      - .offset:         92
        .size:           2
        .value_kind:     hidden_group_size_x
      - .offset:         94
        .size:           2
        .value_kind:     hidden_group_size_y
      - .offset:         96
        .size:           2
        .value_kind:     hidden_group_size_z
      - .offset:         98
        .size:           2
        .value_kind:     hidden_remainder_x
      - .offset:         100
        .size:           2
        .value_kind:     hidden_remainder_y
      - .offset:         102
        .size:           2
        .value_kind:     hidden_remainder_z
      - .offset:         120
        .size:           8
        .value_kind:     hidden_global_offset_x
      - .offset:         128
        .size:           8
        .value_kind:     hidden_global_offset_y
      - .offset:         136
        .size:           8
        .value_kind:     hidden_global_offset_z
      - .offset:         144
        .size:           2
        .value_kind:     hidden_grid_dims
    .group_segment_fixed_size: 0
    .kernarg_segment_align: 8
    .kernarg_segment_size: 336
    .language:       OpenCL C
    .language_version:
      - 2
      - 0
    .max_flat_workgroup_size: 128
    .name:           _ZL33flash_attn_stream_k_fixup_generalILi128ELi64ELi1EEvPfPK15HIP_vector_typeIfLj2EEiiiiS1_IjLj3EES5_S5_S5_
    .private_segment_fixed_size: 0
    .sgpr_count:     46
    .sgpr_spill_count: 0
    .symbol:         _ZL33flash_attn_stream_k_fixup_generalILi128ELi64ELi1EEvPfPK15HIP_vector_typeIfLj2EEiiiiS1_IjLj3EES5_S5_S5_.kd
    .uniform_work_group_size: 1
    .uses_dynamic_stack: false
    .vgpr_count:     9
    .vgpr_spill_count: 0
    .wavefront_size: 32
    .workgroup_processor_mode: 1
  - .args:
      - .address_space:  global
        .offset:         0
        .size:           8
        .value_kind:     global_buffer
      - .address_space:  global
        .offset:         8
        .size:           8
        .value_kind:     global_buffer
      - .address_space:  global
        .offset:         16
        .size:           8
        .value_kind:     global_buffer
      - .address_space:  global
        .offset:         24
        .size:           8
        .value_kind:     global_buffer
      - .address_space:  global
        .offset:         32
        .size:           8
        .value_kind:     global_buffer
      - .address_space:  global
        .offset:         40
        .size:           8
        .value_kind:     global_buffer
      - .address_space:  global
        .offset:         48
        .size:           8
        .value_kind:     global_buffer
      - .address_space:  global
        .offset:         56
        .size:           8
        .value_kind:     global_buffer
      - .offset:         64
        .size:           4
        .value_kind:     by_value
      - .offset:         68
        .size:           4
        .value_kind:     by_value
      - .offset:         72
        .size:           4
        .value_kind:     by_value
      - .offset:         76
        .size:           4
        .value_kind:     by_value
      - .offset:         80
        .size:           4
        .value_kind:     by_value
      - .offset:         84
        .size:           4
        .value_kind:     by_value
      - .offset:         88
        .size:           4
        .value_kind:     by_value
      - .offset:         92
        .size:           12
        .value_kind:     by_value
      - .offset:         104
        .size:           4
        .value_kind:     by_value
      - .offset:         108
        .size:           4
        .value_kind:     by_value
      - .offset:         112
        .size:           4
        .value_kind:     by_value
      - .offset:         116
        .size:           4
        .value_kind:     by_value
      - .offset:         120
        .size:           4
        .value_kind:     by_value
      - .offset:         124
        .size:           4
        .value_kind:     by_value
      - .offset:         128
        .size:           4
        .value_kind:     by_value
      - .offset:         132
        .size:           4
        .value_kind:     by_value
      - .offset:         136
        .size:           4
        .value_kind:     by_value
      - .offset:         140
        .size:           4
        .value_kind:     by_value
      - .offset:         144
        .size:           4
        .value_kind:     by_value
      - .offset:         152
        .size:           8
        .value_kind:     by_value
      - .offset:         160
        .size:           4
        .value_kind:     by_value
      - .offset:         164
        .size:           4
        .value_kind:     by_value
      - .offset:         168
        .size:           8
        .value_kind:     by_value
      - .offset:         176
        .size:           4
        .value_kind:     by_value
      - .offset:         180
        .size:           4
        .value_kind:     by_value
      - .offset:         184
        .size:           4
        .value_kind:     by_value
      - .offset:         188
        .size:           4
        .value_kind:     by_value
      - .offset:         192
        .size:           4
        .value_kind:     by_value
      - .offset:         200
        .size:           8
        .value_kind:     by_value
      - .offset:         208
        .size:           4
        .value_kind:     hidden_block_count_x
      - .offset:         212
        .size:           4
        .value_kind:     hidden_block_count_y
      - .offset:         216
        .size:           4
        .value_kind:     hidden_block_count_z
      - .offset:         220
        .size:           2
        .value_kind:     hidden_group_size_x
      - .offset:         222
        .size:           2
        .value_kind:     hidden_group_size_y
      - .offset:         224
        .size:           2
        .value_kind:     hidden_group_size_z
      - .offset:         226
        .size:           2
        .value_kind:     hidden_remainder_x
      - .offset:         228
        .size:           2
        .value_kind:     hidden_remainder_y
      - .offset:         230
        .size:           2
        .value_kind:     hidden_remainder_z
      - .offset:         248
        .size:           8
        .value_kind:     hidden_global_offset_x
      - .offset:         256
        .size:           8
        .value_kind:     hidden_global_offset_y
      - .offset:         264
        .size:           8
        .value_kind:     hidden_global_offset_z
      - .offset:         272
        .size:           2
        .value_kind:     hidden_grid_dims
    .group_segment_fixed_size: 34816
    .kernarg_segment_align: 8
    .kernarg_segment_size: 464
    .language:       OpenCL C
    .language_version:
      - 2
      - 0
    .max_flat_workgroup_size: 256
    .name:           _ZL15flash_attn_tileILi128ELi128ELi32ELi1ELb0EEvPKcS1_S1_S1_S1_PKiPfP15HIP_vector_typeIfLj2EEffffjfiS5_IjLj3EEiiiiiiiiiiiliiliiiiil
    .private_segment_fixed_size: 32
    .sgpr_count:     50
    .sgpr_spill_count: 0
    .symbol:         _ZL15flash_attn_tileILi128ELi128ELi32ELi1ELb0EEvPKcS1_S1_S1_S1_PKiPfP15HIP_vector_typeIfLj2EEffffjfiS5_IjLj3EEiiiiiiiiiiiliiliiiiil.kd
    .uniform_work_group_size: 1
    .uses_dynamic_stack: false
    .vgpr_count:     185
    .vgpr_spill_count: 0
    .wavefront_size: 32
    .workgroup_processor_mode: 1
  - .args:
      - .address_space:  global
        .offset:         0
        .size:           8
        .value_kind:     global_buffer
      - .address_space:  global
        .offset:         8
        .size:           8
        .value_kind:     global_buffer
      - .offset:         16
        .size:           4
        .value_kind:     by_value
      - .offset:         20
        .size:           4
        .value_kind:     by_value
      - .offset:         24
        .size:           4
        .value_kind:     by_value
      - .offset:         28
        .size:           4
        .value_kind:     by_value
      - .offset:         32
        .size:           4
        .value_kind:     by_value
      - .offset:         36
        .size:           4
        .value_kind:     by_value
      - .offset:         40
        .size:           12
        .value_kind:     by_value
      - .offset:         52
        .size:           12
        .value_kind:     by_value
      - .offset:         64
        .size:           12
        .value_kind:     by_value
    .group_segment_fixed_size: 0
    .kernarg_segment_align: 8
    .kernarg_segment_size: 76
    .language:       OpenCL C
    .language_version:
      - 2
      - 0
    .max_flat_workgroup_size: 128
    .name:           _ZL33flash_attn_stream_k_fixup_uniformILi128ELi32ELi1EEvPfPK15HIP_vector_typeIfLj2EEiiiiiiS1_IjLj3EES5_S5_
    .private_segment_fixed_size: 0
    .sgpr_count:     18
    .sgpr_spill_count: 0
    .symbol:         _ZL33flash_attn_stream_k_fixup_uniformILi128ELi32ELi1EEvPfPK15HIP_vector_typeIfLj2EEiiiiiiS1_IjLj3EES5_S5_.kd
    .uniform_work_group_size: 1
    .uses_dynamic_stack: false
    .vgpr_count:     11
    .vgpr_spill_count: 0
    .wavefront_size: 32
    .workgroup_processor_mode: 1
  - .args:
      - .address_space:  global
        .offset:         0
        .size:           8
        .value_kind:     global_buffer
      - .address_space:  global
        .offset:         8
        .size:           8
        .value_kind:     global_buffer
      - .offset:         16
        .size:           4
        .value_kind:     by_value
      - .offset:         20
        .size:           4
        .value_kind:     by_value
      - .offset:         24
        .size:           4
        .value_kind:     by_value
      - .offset:         28
        .size:           4
        .value_kind:     by_value
      - .offset:         32
        .size:           12
        .value_kind:     by_value
      - .offset:         44
        .size:           12
        .value_kind:     by_value
      - .offset:         56
        .size:           12
        .value_kind:     by_value
      - .offset:         68
        .size:           12
        .value_kind:     by_value
      - .offset:         80
        .size:           4
        .value_kind:     hidden_block_count_x
      - .offset:         84
        .size:           4
        .value_kind:     hidden_block_count_y
      - .offset:         88
        .size:           4
        .value_kind:     hidden_block_count_z
      - .offset:         92
        .size:           2
        .value_kind:     hidden_group_size_x
      - .offset:         94
        .size:           2
        .value_kind:     hidden_group_size_y
      - .offset:         96
        .size:           2
        .value_kind:     hidden_group_size_z
      - .offset:         98
        .size:           2
        .value_kind:     hidden_remainder_x
      - .offset:         100
        .size:           2
        .value_kind:     hidden_remainder_y
      - .offset:         102
        .size:           2
        .value_kind:     hidden_remainder_z
      - .offset:         120
        .size:           8
        .value_kind:     hidden_global_offset_x
      - .offset:         128
        .size:           8
        .value_kind:     hidden_global_offset_y
      - .offset:         136
        .size:           8
        .value_kind:     hidden_global_offset_z
      - .offset:         144
        .size:           2
        .value_kind:     hidden_grid_dims
    .group_segment_fixed_size: 0
    .kernarg_segment_align: 8
    .kernarg_segment_size: 336
    .language:       OpenCL C
    .language_version:
      - 2
      - 0
    .max_flat_workgroup_size: 128
    .name:           _ZL33flash_attn_stream_k_fixup_generalILi128ELi32ELi1EEvPfPK15HIP_vector_typeIfLj2EEiiiiS1_IjLj3EES5_S5_S5_
    .private_segment_fixed_size: 0
    .sgpr_count:     46
    .sgpr_spill_count: 0
    .symbol:         _ZL33flash_attn_stream_k_fixup_generalILi128ELi32ELi1EEvPfPK15HIP_vector_typeIfLj2EEiiiiS1_IjLj3EES5_S5_S5_.kd
    .uniform_work_group_size: 1
    .uses_dynamic_stack: false
    .vgpr_count:     9
    .vgpr_spill_count: 0
    .wavefront_size: 32
    .workgroup_processor_mode: 1
  - .args:
      - .address_space:  global
        .offset:         0
        .size:           8
        .value_kind:     global_buffer
      - .address_space:  global
        .offset:         8
        .size:           8
        .value_kind:     global_buffer
      - .address_space:  global
        .offset:         16
        .size:           8
        .value_kind:     global_buffer
      - .address_space:  global
        .offset:         24
        .size:           8
        .value_kind:     global_buffer
      - .address_space:  global
        .offset:         32
        .size:           8
        .value_kind:     global_buffer
      - .address_space:  global
        .offset:         40
        .size:           8
        .value_kind:     global_buffer
      - .address_space:  global
        .offset:         48
        .size:           8
        .value_kind:     global_buffer
      - .address_space:  global
        .offset:         56
        .size:           8
        .value_kind:     global_buffer
      - .offset:         64
        .size:           4
        .value_kind:     by_value
      - .offset:         68
        .size:           4
        .value_kind:     by_value
      - .offset:         72
        .size:           4
        .value_kind:     by_value
      - .offset:         76
        .size:           4
        .value_kind:     by_value
      - .offset:         80
        .size:           4
        .value_kind:     by_value
      - .offset:         84
        .size:           4
        .value_kind:     by_value
      - .offset:         88
        .size:           4
        .value_kind:     by_value
      - .offset:         92
        .size:           12
        .value_kind:     by_value
      - .offset:         104
        .size:           4
        .value_kind:     by_value
      - .offset:         108
        .size:           4
        .value_kind:     by_value
      - .offset:         112
        .size:           4
        .value_kind:     by_value
      - .offset:         116
        .size:           4
        .value_kind:     by_value
      - .offset:         120
        .size:           4
        .value_kind:     by_value
      - .offset:         124
        .size:           4
        .value_kind:     by_value
      - .offset:         128
        .size:           4
        .value_kind:     by_value
      - .offset:         132
        .size:           4
        .value_kind:     by_value
      - .offset:         136
        .size:           4
        .value_kind:     by_value
      - .offset:         140
        .size:           4
        .value_kind:     by_value
      - .offset:         144
        .size:           4
        .value_kind:     by_value
      - .offset:         152
        .size:           8
        .value_kind:     by_value
      - .offset:         160
        .size:           4
        .value_kind:     by_value
      - .offset:         164
        .size:           4
        .value_kind:     by_value
      - .offset:         168
        .size:           8
        .value_kind:     by_value
      - .offset:         176
        .size:           4
        .value_kind:     by_value
      - .offset:         180
        .size:           4
        .value_kind:     by_value
      - .offset:         184
        .size:           4
        .value_kind:     by_value
      - .offset:         188
        .size:           4
        .value_kind:     by_value
      - .offset:         192
        .size:           4
        .value_kind:     by_value
      - .offset:         200
        .size:           8
        .value_kind:     by_value
      - .offset:         208
        .size:           4
        .value_kind:     hidden_block_count_x
      - .offset:         212
        .size:           4
        .value_kind:     hidden_block_count_y
      - .offset:         216
        .size:           4
        .value_kind:     hidden_block_count_z
      - .offset:         220
        .size:           2
        .value_kind:     hidden_group_size_x
      - .offset:         222
        .size:           2
        .value_kind:     hidden_group_size_y
      - .offset:         224
        .size:           2
        .value_kind:     hidden_group_size_z
      - .offset:         226
        .size:           2
        .value_kind:     hidden_remainder_x
      - .offset:         228
        .size:           2
        .value_kind:     hidden_remainder_y
      - .offset:         230
        .size:           2
        .value_kind:     hidden_remainder_z
      - .offset:         248
        .size:           8
        .value_kind:     hidden_global_offset_x
      - .offset:         256
        .size:           8
        .value_kind:     hidden_global_offset_y
      - .offset:         264
        .size:           8
        .value_kind:     hidden_global_offset_z
      - .offset:         272
        .size:           2
        .value_kind:     hidden_grid_dims
    .group_segment_fixed_size: 43008
    .kernarg_segment_align: 8
    .kernarg_segment_size: 464
    .language:       OpenCL C
    .language_version:
      - 2
      - 0
    .max_flat_workgroup_size: 256
    .name:           _ZL15flash_attn_tileILi128ELi128ELi16ELi1ELb0EEvPKcS1_S1_S1_S1_PKiPfP15HIP_vector_typeIfLj2EEffffjfiS5_IjLj3EEiiiiiiiiiiiliiliiiiil
    .private_segment_fixed_size: 144
    .sgpr_count:     49
    .sgpr_spill_count: 0
    .symbol:         _ZL15flash_attn_tileILi128ELi128ELi16ELi1ELb0EEvPKcS1_S1_S1_S1_PKiPfP15HIP_vector_typeIfLj2EEffffjfiS5_IjLj3EEiiiiiiiiiiiliiliiiiil.kd
    .uniform_work_group_size: 1
    .uses_dynamic_stack: false
    .vgpr_count:     256
    .vgpr_spill_count: 29
    .wavefront_size: 32
    .workgroup_processor_mode: 1
  - .args:
      - .address_space:  global
        .offset:         0
        .size:           8
        .value_kind:     global_buffer
      - .address_space:  global
        .offset:         8
        .size:           8
        .value_kind:     global_buffer
      - .offset:         16
        .size:           4
        .value_kind:     by_value
      - .offset:         20
        .size:           4
        .value_kind:     by_value
      - .offset:         24
        .size:           4
        .value_kind:     by_value
      - .offset:         28
        .size:           4
        .value_kind:     by_value
      - .offset:         32
        .size:           4
        .value_kind:     by_value
      - .offset:         36
        .size:           4
        .value_kind:     by_value
      - .offset:         40
        .size:           12
        .value_kind:     by_value
      - .offset:         52
        .size:           12
        .value_kind:     by_value
      - .offset:         64
        .size:           12
        .value_kind:     by_value
    .group_segment_fixed_size: 0
    .kernarg_segment_align: 8
    .kernarg_segment_size: 76
    .language:       OpenCL C
    .language_version:
      - 2
      - 0
    .max_flat_workgroup_size: 128
    .name:           _ZL33flash_attn_stream_k_fixup_uniformILi128ELi16ELi1EEvPfPK15HIP_vector_typeIfLj2EEiiiiiiS1_IjLj3EES5_S5_
    .private_segment_fixed_size: 0
    .sgpr_count:     18
    .sgpr_spill_count: 0
    .symbol:         _ZL33flash_attn_stream_k_fixup_uniformILi128ELi16ELi1EEvPfPK15HIP_vector_typeIfLj2EEiiiiiiS1_IjLj3EES5_S5_.kd
    .uniform_work_group_size: 1
    .uses_dynamic_stack: false
    .vgpr_count:     11
    .vgpr_spill_count: 0
    .wavefront_size: 32
    .workgroup_processor_mode: 1
  - .args:
      - .address_space:  global
        .offset:         0
        .size:           8
        .value_kind:     global_buffer
      - .address_space:  global
        .offset:         8
        .size:           8
        .value_kind:     global_buffer
      - .offset:         16
        .size:           4
        .value_kind:     by_value
      - .offset:         20
        .size:           4
        .value_kind:     by_value
      - .offset:         24
        .size:           4
        .value_kind:     by_value
      - .offset:         28
        .size:           4
        .value_kind:     by_value
      - .offset:         32
        .size:           12
        .value_kind:     by_value
      - .offset:         44
        .size:           12
        .value_kind:     by_value
      - .offset:         56
        .size:           12
        .value_kind:     by_value
      - .offset:         68
        .size:           12
        .value_kind:     by_value
      - .offset:         80
        .size:           4
        .value_kind:     hidden_block_count_x
      - .offset:         84
        .size:           4
        .value_kind:     hidden_block_count_y
      - .offset:         88
        .size:           4
        .value_kind:     hidden_block_count_z
      - .offset:         92
        .size:           2
        .value_kind:     hidden_group_size_x
      - .offset:         94
        .size:           2
        .value_kind:     hidden_group_size_y
      - .offset:         96
        .size:           2
        .value_kind:     hidden_group_size_z
      - .offset:         98
        .size:           2
        .value_kind:     hidden_remainder_x
      - .offset:         100
        .size:           2
        .value_kind:     hidden_remainder_y
      - .offset:         102
        .size:           2
        .value_kind:     hidden_remainder_z
      - .offset:         120
        .size:           8
        .value_kind:     hidden_global_offset_x
      - .offset:         128
        .size:           8
        .value_kind:     hidden_global_offset_y
      - .offset:         136
        .size:           8
        .value_kind:     hidden_global_offset_z
      - .offset:         144
        .size:           2
        .value_kind:     hidden_grid_dims
    .group_segment_fixed_size: 0
    .kernarg_segment_align: 8
    .kernarg_segment_size: 336
    .language:       OpenCL C
    .language_version:
      - 2
      - 0
    .max_flat_workgroup_size: 128
    .name:           _ZL33flash_attn_stream_k_fixup_generalILi128ELi16ELi1EEvPfPK15HIP_vector_typeIfLj2EEiiiiS1_IjLj3EES5_S5_S5_
    .private_segment_fixed_size: 0
    .sgpr_count:     46
    .sgpr_spill_count: 0
    .symbol:         _ZL33flash_attn_stream_k_fixup_generalILi128ELi16ELi1EEvPfPK15HIP_vector_typeIfLj2EEiiiiS1_IjLj3EES5_S5_S5_.kd
    .uniform_work_group_size: 1
    .uses_dynamic_stack: false
    .vgpr_count:     9
    .vgpr_spill_count: 0
    .wavefront_size: 32
    .workgroup_processor_mode: 1
  - .args:
      - .address_space:  global
        .offset:         0
        .size:           8
        .value_kind:     global_buffer
      - .address_space:  global
        .offset:         8
        .size:           8
        .value_kind:     global_buffer
      - .address_space:  global
        .offset:         16
        .size:           8
        .value_kind:     global_buffer
      - .address_space:  global
        .offset:         24
        .size:           8
        .value_kind:     global_buffer
      - .address_space:  global
        .offset:         32
        .size:           8
        .value_kind:     global_buffer
      - .address_space:  global
        .offset:         40
        .size:           8
        .value_kind:     global_buffer
      - .address_space:  global
        .offset:         48
        .size:           8
        .value_kind:     global_buffer
      - .address_space:  global
        .offset:         56
        .size:           8
        .value_kind:     global_buffer
      - .offset:         64
        .size:           4
        .value_kind:     by_value
      - .offset:         68
        .size:           4
        .value_kind:     by_value
      - .offset:         72
        .size:           4
        .value_kind:     by_value
      - .offset:         76
        .size:           4
        .value_kind:     by_value
      - .offset:         80
        .size:           4
        .value_kind:     by_value
      - .offset:         84
        .size:           4
        .value_kind:     by_value
      - .offset:         88
        .size:           4
        .value_kind:     by_value
      - .offset:         92
        .size:           12
        .value_kind:     by_value
      - .offset:         104
        .size:           4
        .value_kind:     by_value
      - .offset:         108
        .size:           4
        .value_kind:     by_value
      - .offset:         112
        .size:           4
        .value_kind:     by_value
      - .offset:         116
        .size:           4
        .value_kind:     by_value
      - .offset:         120
        .size:           4
        .value_kind:     by_value
      - .offset:         124
        .size:           4
        .value_kind:     by_value
      - .offset:         128
        .size:           4
        .value_kind:     by_value
      - .offset:         132
        .size:           4
        .value_kind:     by_value
      - .offset:         136
        .size:           4
        .value_kind:     by_value
      - .offset:         140
        .size:           4
        .value_kind:     by_value
      - .offset:         144
        .size:           4
        .value_kind:     by_value
      - .offset:         152
        .size:           8
        .value_kind:     by_value
      - .offset:         160
        .size:           4
        .value_kind:     by_value
      - .offset:         164
        .size:           4
        .value_kind:     by_value
      - .offset:         168
        .size:           8
        .value_kind:     by_value
      - .offset:         176
        .size:           4
        .value_kind:     by_value
      - .offset:         180
        .size:           4
        .value_kind:     by_value
      - .offset:         184
        .size:           4
        .value_kind:     by_value
      - .offset:         188
        .size:           4
        .value_kind:     by_value
      - .offset:         192
        .size:           4
        .value_kind:     by_value
      - .offset:         200
        .size:           8
        .value_kind:     by_value
      - .offset:         208
        .size:           4
        .value_kind:     hidden_block_count_x
      - .offset:         212
        .size:           4
        .value_kind:     hidden_block_count_y
      - .offset:         216
        .size:           4
        .value_kind:     hidden_block_count_z
      - .offset:         220
        .size:           2
        .value_kind:     hidden_group_size_x
      - .offset:         222
        .size:           2
        .value_kind:     hidden_group_size_y
      - .offset:         224
        .size:           2
        .value_kind:     hidden_group_size_z
      - .offset:         226
        .size:           2
        .value_kind:     hidden_remainder_x
      - .offset:         228
        .size:           2
        .value_kind:     hidden_remainder_y
      - .offset:         230
        .size:           2
        .value_kind:     hidden_remainder_z
      - .offset:         248
        .size:           8
        .value_kind:     hidden_global_offset_x
      - .offset:         256
        .size:           8
        .value_kind:     hidden_global_offset_y
      - .offset:         264
        .size:           8
        .value_kind:     hidden_global_offset_z
      - .offset:         272
        .size:           2
        .value_kind:     hidden_grid_dims
    .group_segment_fixed_size: 12288
    .kernarg_segment_align: 8
    .kernarg_segment_size: 464
    .language:       OpenCL C
    .language_version:
      - 2
      - 0
    .max_flat_workgroup_size: 128
    .name:           _ZL15flash_attn_tileILi128ELi128ELi8ELi1ELb0EEvPKcS1_S1_S1_S1_PKiPfP15HIP_vector_typeIfLj2EEffffjfiS5_IjLj3EEiiiiiiiiiiiliiliiiiil
    .private_segment_fixed_size: 32
    .sgpr_count:     49
    .sgpr_spill_count: 0
    .symbol:         _ZL15flash_attn_tileILi128ELi128ELi8ELi1ELb0EEvPKcS1_S1_S1_S1_PKiPfP15HIP_vector_typeIfLj2EEffffjfiS5_IjLj3EEiiiiiiiiiiiliiliiiiil.kd
    .uniform_work_group_size: 1
    .uses_dynamic_stack: false
    .vgpr_count:     164
    .vgpr_spill_count: 0
    .wavefront_size: 32
    .workgroup_processor_mode: 1
  - .args:
      - .address_space:  global
        .offset:         0
        .size:           8
        .value_kind:     global_buffer
      - .address_space:  global
        .offset:         8
        .size:           8
        .value_kind:     global_buffer
      - .offset:         16
        .size:           4
        .value_kind:     by_value
      - .offset:         20
        .size:           4
        .value_kind:     by_value
      - .offset:         24
        .size:           4
        .value_kind:     by_value
      - .offset:         28
        .size:           4
        .value_kind:     by_value
      - .offset:         32
        .size:           4
        .value_kind:     by_value
      - .offset:         36
        .size:           4
        .value_kind:     by_value
      - .offset:         40
        .size:           12
        .value_kind:     by_value
      - .offset:         52
        .size:           12
        .value_kind:     by_value
      - .offset:         64
        .size:           12
        .value_kind:     by_value
    .group_segment_fixed_size: 0
    .kernarg_segment_align: 8
    .kernarg_segment_size: 76
    .language:       OpenCL C
    .language_version:
      - 2
      - 0
    .max_flat_workgroup_size: 128
    .name:           _ZL33flash_attn_stream_k_fixup_uniformILi128ELi8ELi1EEvPfPK15HIP_vector_typeIfLj2EEiiiiiiS1_IjLj3EES5_S5_
    .private_segment_fixed_size: 0
    .sgpr_count:     18
    .sgpr_spill_count: 0
    .symbol:         _ZL33flash_attn_stream_k_fixup_uniformILi128ELi8ELi1EEvPfPK15HIP_vector_typeIfLj2EEiiiiiiS1_IjLj3EES5_S5_.kd
    .uniform_work_group_size: 1
    .uses_dynamic_stack: false
    .vgpr_count:     11
    .vgpr_spill_count: 0
    .wavefront_size: 32
    .workgroup_processor_mode: 1
  - .args:
      - .address_space:  global
        .offset:         0
        .size:           8
        .value_kind:     global_buffer
      - .address_space:  global
        .offset:         8
        .size:           8
        .value_kind:     global_buffer
      - .offset:         16
        .size:           4
        .value_kind:     by_value
      - .offset:         20
        .size:           4
        .value_kind:     by_value
      - .offset:         24
        .size:           4
        .value_kind:     by_value
      - .offset:         28
        .size:           4
        .value_kind:     by_value
      - .offset:         32
        .size:           12
        .value_kind:     by_value
      - .offset:         44
        .size:           12
        .value_kind:     by_value
      - .offset:         56
        .size:           12
        .value_kind:     by_value
      - .offset:         68
        .size:           12
        .value_kind:     by_value
      - .offset:         80
        .size:           4
        .value_kind:     hidden_block_count_x
      - .offset:         84
        .size:           4
        .value_kind:     hidden_block_count_y
      - .offset:         88
        .size:           4
        .value_kind:     hidden_block_count_z
      - .offset:         92
        .size:           2
        .value_kind:     hidden_group_size_x
      - .offset:         94
        .size:           2
        .value_kind:     hidden_group_size_y
      - .offset:         96
        .size:           2
        .value_kind:     hidden_group_size_z
      - .offset:         98
        .size:           2
        .value_kind:     hidden_remainder_x
      - .offset:         100
        .size:           2
        .value_kind:     hidden_remainder_y
      - .offset:         102
        .size:           2
        .value_kind:     hidden_remainder_z
      - .offset:         120
        .size:           8
        .value_kind:     hidden_global_offset_x
      - .offset:         128
        .size:           8
        .value_kind:     hidden_global_offset_y
      - .offset:         136
        .size:           8
        .value_kind:     hidden_global_offset_z
      - .offset:         144
        .size:           2
        .value_kind:     hidden_grid_dims
    .group_segment_fixed_size: 0
    .kernarg_segment_align: 8
    .kernarg_segment_size: 336
    .language:       OpenCL C
    .language_version:
      - 2
      - 0
    .max_flat_workgroup_size: 128
    .name:           _ZL33flash_attn_stream_k_fixup_generalILi128ELi8ELi1EEvPfPK15HIP_vector_typeIfLj2EEiiiiS1_IjLj3EES5_S5_S5_
    .private_segment_fixed_size: 0
    .sgpr_count:     46
    .sgpr_spill_count: 0
    .symbol:         _ZL33flash_attn_stream_k_fixup_generalILi128ELi8ELi1EEvPfPK15HIP_vector_typeIfLj2EEiiiiS1_IjLj3EES5_S5_S5_.kd
    .uniform_work_group_size: 1
    .uses_dynamic_stack: false
    .vgpr_count:     9
    .vgpr_spill_count: 0
    .wavefront_size: 32
    .workgroup_processor_mode: 1
  - .args:
      - .address_space:  global
        .offset:         0
        .size:           8
        .value_kind:     global_buffer
      - .address_space:  global
        .offset:         8
        .size:           8
        .value_kind:     global_buffer
      - .address_space:  global
        .offset:         16
        .size:           8
        .value_kind:     global_buffer
      - .address_space:  global
        .offset:         24
        .size:           8
        .value_kind:     global_buffer
      - .address_space:  global
        .offset:         32
        .size:           8
        .value_kind:     global_buffer
      - .address_space:  global
        .offset:         40
        .size:           8
        .value_kind:     global_buffer
      - .address_space:  global
        .offset:         48
        .size:           8
        .value_kind:     global_buffer
      - .address_space:  global
        .offset:         56
        .size:           8
        .value_kind:     global_buffer
      - .offset:         64
        .size:           4
        .value_kind:     by_value
      - .offset:         68
        .size:           4
        .value_kind:     by_value
      - .offset:         72
        .size:           4
        .value_kind:     by_value
      - .offset:         76
        .size:           4
        .value_kind:     by_value
      - .offset:         80
        .size:           4
        .value_kind:     by_value
      - .offset:         84
        .size:           4
        .value_kind:     by_value
      - .offset:         88
        .size:           4
        .value_kind:     by_value
      - .offset:         92
        .size:           12
        .value_kind:     by_value
      - .offset:         104
        .size:           4
        .value_kind:     by_value
      - .offset:         108
        .size:           4
        .value_kind:     by_value
      - .offset:         112
        .size:           4
        .value_kind:     by_value
      - .offset:         116
        .size:           4
        .value_kind:     by_value
      - .offset:         120
        .size:           4
        .value_kind:     by_value
      - .offset:         124
        .size:           4
        .value_kind:     by_value
      - .offset:         128
        .size:           4
        .value_kind:     by_value
      - .offset:         132
        .size:           4
        .value_kind:     by_value
      - .offset:         136
        .size:           4
        .value_kind:     by_value
      - .offset:         140
        .size:           4
        .value_kind:     by_value
      - .offset:         144
        .size:           4
        .value_kind:     by_value
      - .offset:         152
        .size:           8
        .value_kind:     by_value
      - .offset:         160
        .size:           4
        .value_kind:     by_value
      - .offset:         164
        .size:           4
        .value_kind:     by_value
      - .offset:         168
        .size:           8
        .value_kind:     by_value
      - .offset:         176
        .size:           4
        .value_kind:     by_value
      - .offset:         180
        .size:           4
        .value_kind:     by_value
      - .offset:         184
        .size:           4
        .value_kind:     by_value
      - .offset:         188
        .size:           4
        .value_kind:     by_value
      - .offset:         192
        .size:           4
        .value_kind:     by_value
      - .offset:         200
        .size:           8
        .value_kind:     by_value
      - .offset:         208
        .size:           4
        .value_kind:     hidden_block_count_x
      - .offset:         212
        .size:           4
        .value_kind:     hidden_block_count_y
      - .offset:         216
        .size:           4
        .value_kind:     hidden_block_count_z
      - .offset:         220
        .size:           2
        .value_kind:     hidden_group_size_x
      - .offset:         222
        .size:           2
        .value_kind:     hidden_group_size_y
      - .offset:         224
        .size:           2
        .value_kind:     hidden_group_size_z
      - .offset:         226
        .size:           2
        .value_kind:     hidden_remainder_x
      - .offset:         228
        .size:           2
        .value_kind:     hidden_remainder_y
      - .offset:         230
        .size:           2
        .value_kind:     hidden_remainder_z
      - .offset:         248
        .size:           8
        .value_kind:     hidden_global_offset_x
      - .offset:         256
        .size:           8
        .value_kind:     hidden_global_offset_y
      - .offset:         264
        .size:           8
        .value_kind:     hidden_global_offset_z
      - .offset:         272
        .size:           2
        .value_kind:     hidden_grid_dims
    .group_segment_fixed_size: 10752
    .kernarg_segment_align: 8
    .kernarg_segment_size: 464
    .language:       OpenCL C
    .language_version:
      - 2
      - 0
    .max_flat_workgroup_size: 128
    .name:           _ZL15flash_attn_tileILi128ELi128ELi4ELi1ELb0EEvPKcS1_S1_S1_S1_PKiPfP15HIP_vector_typeIfLj2EEffffjfiS5_IjLj3EEiiiiiiiiiiiliiliiiiil
    .private_segment_fixed_size: 32
    .sgpr_count:     49
    .sgpr_spill_count: 0
    .symbol:         _ZL15flash_attn_tileILi128ELi128ELi4ELi1ELb0EEvPKcS1_S1_S1_S1_PKiPfP15HIP_vector_typeIfLj2EEffffjfiS5_IjLj3EEiiiiiiiiiiiliiliiiiil.kd
    .uniform_work_group_size: 1
    .uses_dynamic_stack: false
    .vgpr_count:     154
    .vgpr_spill_count: 0
    .wavefront_size: 32
    .workgroup_processor_mode: 1
  - .args:
      - .address_space:  global
        .offset:         0
        .size:           8
        .value_kind:     global_buffer
      - .address_space:  global
        .offset:         8
        .size:           8
        .value_kind:     global_buffer
      - .offset:         16
        .size:           4
        .value_kind:     by_value
      - .offset:         20
        .size:           4
        .value_kind:     by_value
      - .offset:         24
        .size:           4
        .value_kind:     by_value
      - .offset:         28
        .size:           4
        .value_kind:     by_value
      - .offset:         32
        .size:           4
        .value_kind:     by_value
      - .offset:         36
        .size:           4
        .value_kind:     by_value
      - .offset:         40
        .size:           12
        .value_kind:     by_value
      - .offset:         52
        .size:           12
        .value_kind:     by_value
      - .offset:         64
        .size:           12
        .value_kind:     by_value
    .group_segment_fixed_size: 0
    .kernarg_segment_align: 8
    .kernarg_segment_size: 76
    .language:       OpenCL C
    .language_version:
      - 2
      - 0
    .max_flat_workgroup_size: 128
    .name:           _ZL33flash_attn_stream_k_fixup_uniformILi128ELi4ELi1EEvPfPK15HIP_vector_typeIfLj2EEiiiiiiS1_IjLj3EES5_S5_
    .private_segment_fixed_size: 0
    .sgpr_count:     18
    .sgpr_spill_count: 0
    .symbol:         _ZL33flash_attn_stream_k_fixup_uniformILi128ELi4ELi1EEvPfPK15HIP_vector_typeIfLj2EEiiiiiiS1_IjLj3EES5_S5_.kd
    .uniform_work_group_size: 1
    .uses_dynamic_stack: false
    .vgpr_count:     11
    .vgpr_spill_count: 0
    .wavefront_size: 32
    .workgroup_processor_mode: 1
  - .args:
      - .address_space:  global
        .offset:         0
        .size:           8
        .value_kind:     global_buffer
      - .address_space:  global
        .offset:         8
        .size:           8
        .value_kind:     global_buffer
      - .offset:         16
        .size:           4
        .value_kind:     by_value
      - .offset:         20
        .size:           4
        .value_kind:     by_value
      - .offset:         24
        .size:           4
        .value_kind:     by_value
      - .offset:         28
        .size:           4
        .value_kind:     by_value
      - .offset:         32
        .size:           12
        .value_kind:     by_value
      - .offset:         44
        .size:           12
        .value_kind:     by_value
      - .offset:         56
        .size:           12
        .value_kind:     by_value
      - .offset:         68
        .size:           12
        .value_kind:     by_value
      - .offset:         80
        .size:           4
        .value_kind:     hidden_block_count_x
      - .offset:         84
        .size:           4
        .value_kind:     hidden_block_count_y
      - .offset:         88
        .size:           4
        .value_kind:     hidden_block_count_z
      - .offset:         92
        .size:           2
        .value_kind:     hidden_group_size_x
      - .offset:         94
        .size:           2
        .value_kind:     hidden_group_size_y
      - .offset:         96
        .size:           2
        .value_kind:     hidden_group_size_z
      - .offset:         98
        .size:           2
        .value_kind:     hidden_remainder_x
      - .offset:         100
        .size:           2
        .value_kind:     hidden_remainder_y
      - .offset:         102
        .size:           2
        .value_kind:     hidden_remainder_z
      - .offset:         120
        .size:           8
        .value_kind:     hidden_global_offset_x
      - .offset:         128
        .size:           8
        .value_kind:     hidden_global_offset_y
      - .offset:         136
        .size:           8
        .value_kind:     hidden_global_offset_z
      - .offset:         144
        .size:           2
        .value_kind:     hidden_grid_dims
    .group_segment_fixed_size: 0
    .kernarg_segment_align: 8
    .kernarg_segment_size: 336
    .language:       OpenCL C
    .language_version:
      - 2
      - 0
    .max_flat_workgroup_size: 128
    .name:           _ZL33flash_attn_stream_k_fixup_generalILi128ELi4ELi1EEvPfPK15HIP_vector_typeIfLj2EEiiiiS1_IjLj3EES5_S5_S5_
    .private_segment_fixed_size: 0
    .sgpr_count:     46
    .sgpr_spill_count: 0
    .symbol:         _ZL33flash_attn_stream_k_fixup_generalILi128ELi4ELi1EEvPfPK15HIP_vector_typeIfLj2EEiiiiS1_IjLj3EES5_S5_S5_.kd
    .uniform_work_group_size: 1
    .uses_dynamic_stack: false
    .vgpr_count:     9
    .vgpr_spill_count: 0
    .wavefront_size: 32
    .workgroup_processor_mode: 1
  - .args:
      - .address_space:  global
        .offset:         0
        .size:           8
        .value_kind:     global_buffer
      - .address_space:  global
        .offset:         8
        .size:           8
        .value_kind:     global_buffer
      - .address_space:  global
        .offset:         16
        .size:           8
        .value_kind:     global_buffer
      - .address_space:  global
        .offset:         24
        .size:           8
        .value_kind:     global_buffer
      - .address_space:  global
        .offset:         32
        .size:           8
        .value_kind:     global_buffer
      - .address_space:  global
        .offset:         40
        .size:           8
        .value_kind:     global_buffer
      - .address_space:  global
        .offset:         48
        .size:           8
        .value_kind:     global_buffer
      - .address_space:  global
        .offset:         56
        .size:           8
        .value_kind:     global_buffer
      - .offset:         64
        .size:           4
        .value_kind:     by_value
      - .offset:         68
        .size:           4
        .value_kind:     by_value
      - .offset:         72
        .size:           4
        .value_kind:     by_value
      - .offset:         76
        .size:           4
        .value_kind:     by_value
      - .offset:         80
        .size:           4
        .value_kind:     by_value
      - .offset:         84
        .size:           4
        .value_kind:     by_value
      - .offset:         88
        .size:           4
        .value_kind:     by_value
      - .offset:         92
        .size:           12
        .value_kind:     by_value
      - .offset:         104
        .size:           4
        .value_kind:     by_value
      - .offset:         108
        .size:           4
        .value_kind:     by_value
      - .offset:         112
        .size:           4
        .value_kind:     by_value
      - .offset:         116
        .size:           4
        .value_kind:     by_value
      - .offset:         120
        .size:           4
        .value_kind:     by_value
      - .offset:         124
        .size:           4
        .value_kind:     by_value
      - .offset:         128
        .size:           4
        .value_kind:     by_value
      - .offset:         132
        .size:           4
        .value_kind:     by_value
      - .offset:         136
        .size:           4
        .value_kind:     by_value
      - .offset:         140
        .size:           4
        .value_kind:     by_value
      - .offset:         144
        .size:           4
        .value_kind:     by_value
      - .offset:         152
        .size:           8
        .value_kind:     by_value
      - .offset:         160
        .size:           4
        .value_kind:     by_value
      - .offset:         164
        .size:           4
        .value_kind:     by_value
      - .offset:         168
        .size:           8
        .value_kind:     by_value
      - .offset:         176
        .size:           4
        .value_kind:     by_value
      - .offset:         180
        .size:           4
        .value_kind:     by_value
      - .offset:         184
        .size:           4
        .value_kind:     by_value
      - .offset:         188
        .size:           4
        .value_kind:     by_value
      - .offset:         192
        .size:           4
        .value_kind:     by_value
      - .offset:         200
        .size:           8
        .value_kind:     by_value
      - .offset:         208
        .size:           4
        .value_kind:     hidden_block_count_x
      - .offset:         212
        .size:           4
        .value_kind:     hidden_block_count_y
      - .offset:         216
        .size:           4
        .value_kind:     hidden_block_count_z
      - .offset:         220
        .size:           2
        .value_kind:     hidden_group_size_x
      - .offset:         222
        .size:           2
        .value_kind:     hidden_group_size_y
      - .offset:         224
        .size:           2
        .value_kind:     hidden_group_size_z
      - .offset:         226
        .size:           2
        .value_kind:     hidden_remainder_x
      - .offset:         228
        .size:           2
        .value_kind:     hidden_remainder_y
      - .offset:         230
        .size:           2
        .value_kind:     hidden_remainder_z
      - .offset:         248
        .size:           8
        .value_kind:     hidden_global_offset_x
      - .offset:         256
        .size:           8
        .value_kind:     hidden_global_offset_y
      - .offset:         264
        .size:           8
        .value_kind:     hidden_global_offset_z
      - .offset:         272
        .size:           2
        .value_kind:     hidden_grid_dims
    .group_segment_fixed_size: 5248
    .kernarg_segment_align: 8
    .kernarg_segment_size: 464
    .language:       OpenCL C
    .language_version:
      - 2
      - 0
    .max_flat_workgroup_size: 64
    .name:           _ZL15flash_attn_tileILi128ELi128ELi2ELi1ELb0EEvPKcS1_S1_S1_S1_PKiPfP15HIP_vector_typeIfLj2EEffffjfiS5_IjLj3EEiiiiiiiiiiiliiliiiiil
    .private_segment_fixed_size: 32
    .sgpr_count:     49
    .sgpr_spill_count: 0
    .symbol:         _ZL15flash_attn_tileILi128ELi128ELi2ELi1ELb0EEvPKcS1_S1_S1_S1_PKiPfP15HIP_vector_typeIfLj2EEffffjfiS5_IjLj3EEiiiiiiiiiiiliiliiiiil.kd
    .uniform_work_group_size: 1
    .uses_dynamic_stack: false
    .vgpr_count:     110
    .vgpr_spill_count: 0
    .wavefront_size: 32
    .workgroup_processor_mode: 1
  - .args:
      - .address_space:  global
        .offset:         0
        .size:           8
        .value_kind:     global_buffer
      - .address_space:  global
        .offset:         8
        .size:           8
        .value_kind:     global_buffer
      - .offset:         16
        .size:           4
        .value_kind:     by_value
      - .offset:         20
        .size:           4
        .value_kind:     by_value
      - .offset:         24
        .size:           4
        .value_kind:     by_value
      - .offset:         28
        .size:           4
        .value_kind:     by_value
      - .offset:         32
        .size:           4
        .value_kind:     by_value
      - .offset:         36
        .size:           4
        .value_kind:     by_value
      - .offset:         40
        .size:           12
        .value_kind:     by_value
      - .offset:         52
        .size:           12
        .value_kind:     by_value
      - .offset:         64
        .size:           12
        .value_kind:     by_value
    .group_segment_fixed_size: 0
    .kernarg_segment_align: 8
    .kernarg_segment_size: 76
    .language:       OpenCL C
    .language_version:
      - 2
      - 0
    .max_flat_workgroup_size: 128
    .name:           _ZL33flash_attn_stream_k_fixup_uniformILi128ELi2ELi1EEvPfPK15HIP_vector_typeIfLj2EEiiiiiiS1_IjLj3EES5_S5_
    .private_segment_fixed_size: 0
    .sgpr_count:     18
    .sgpr_spill_count: 0
    .symbol:         _ZL33flash_attn_stream_k_fixup_uniformILi128ELi2ELi1EEvPfPK15HIP_vector_typeIfLj2EEiiiiiiS1_IjLj3EES5_S5_.kd
    .uniform_work_group_size: 1
    .uses_dynamic_stack: false
    .vgpr_count:     11
    .vgpr_spill_count: 0
    .wavefront_size: 32
    .workgroup_processor_mode: 1
  - .args:
      - .address_space:  global
        .offset:         0
        .size:           8
        .value_kind:     global_buffer
      - .address_space:  global
        .offset:         8
        .size:           8
        .value_kind:     global_buffer
      - .offset:         16
        .size:           4
        .value_kind:     by_value
      - .offset:         20
        .size:           4
        .value_kind:     by_value
      - .offset:         24
        .size:           4
        .value_kind:     by_value
      - .offset:         28
        .size:           4
        .value_kind:     by_value
      - .offset:         32
        .size:           12
        .value_kind:     by_value
      - .offset:         44
        .size:           12
        .value_kind:     by_value
      - .offset:         56
        .size:           12
        .value_kind:     by_value
      - .offset:         68
        .size:           12
        .value_kind:     by_value
      - .offset:         80
        .size:           4
        .value_kind:     hidden_block_count_x
      - .offset:         84
        .size:           4
        .value_kind:     hidden_block_count_y
      - .offset:         88
        .size:           4
        .value_kind:     hidden_block_count_z
      - .offset:         92
        .size:           2
        .value_kind:     hidden_group_size_x
      - .offset:         94
        .size:           2
        .value_kind:     hidden_group_size_y
      - .offset:         96
        .size:           2
        .value_kind:     hidden_group_size_z
      - .offset:         98
        .size:           2
        .value_kind:     hidden_remainder_x
      - .offset:         100
        .size:           2
        .value_kind:     hidden_remainder_y
      - .offset:         102
        .size:           2
        .value_kind:     hidden_remainder_z
      - .offset:         120
        .size:           8
        .value_kind:     hidden_global_offset_x
      - .offset:         128
        .size:           8
        .value_kind:     hidden_global_offset_y
      - .offset:         136
        .size:           8
        .value_kind:     hidden_global_offset_z
      - .offset:         144
        .size:           2
        .value_kind:     hidden_grid_dims
    .group_segment_fixed_size: 0
    .kernarg_segment_align: 8
    .kernarg_segment_size: 336
    .language:       OpenCL C
    .language_version:
      - 2
      - 0
    .max_flat_workgroup_size: 128
    .name:           _ZL33flash_attn_stream_k_fixup_generalILi128ELi2ELi1EEvPfPK15HIP_vector_typeIfLj2EEiiiiS1_IjLj3EES5_S5_S5_
    .private_segment_fixed_size: 0
    .sgpr_count:     46
    .sgpr_spill_count: 0
    .symbol:         _ZL33flash_attn_stream_k_fixup_generalILi128ELi2ELi1EEvPfPK15HIP_vector_typeIfLj2EEiiiiS1_IjLj3EES5_S5_S5_.kd
    .uniform_work_group_size: 1
    .uses_dynamic_stack: false
    .vgpr_count:     9
    .vgpr_spill_count: 0
    .wavefront_size: 32
    .workgroup_processor_mode: 1
  - .args:
      - .address_space:  global
        .offset:         0
        .size:           8
        .value_kind:     global_buffer
      - .address_space:  global
        .offset:         8
        .size:           8
        .value_kind:     global_buffer
      - .address_space:  global
        .offset:         16
        .size:           8
        .value_kind:     global_buffer
      - .address_space:  global
        .offset:         24
        .size:           8
        .value_kind:     global_buffer
      - .address_space:  global
        .offset:         32
        .size:           8
        .value_kind:     global_buffer
      - .address_space:  global
        .offset:         40
        .size:           8
        .value_kind:     global_buffer
      - .address_space:  global
        .offset:         48
        .size:           8
        .value_kind:     global_buffer
      - .address_space:  global
        .offset:         56
        .size:           8
        .value_kind:     global_buffer
      - .offset:         64
        .size:           4
        .value_kind:     by_value
      - .offset:         68
        .size:           4
        .value_kind:     by_value
      - .offset:         72
        .size:           4
        .value_kind:     by_value
      - .offset:         76
        .size:           4
        .value_kind:     by_value
      - .offset:         80
        .size:           4
        .value_kind:     by_value
      - .offset:         84
        .size:           4
        .value_kind:     by_value
      - .offset:         88
        .size:           4
        .value_kind:     by_value
      - .offset:         92
        .size:           12
        .value_kind:     by_value
      - .offset:         104
        .size:           4
        .value_kind:     by_value
      - .offset:         108
        .size:           4
        .value_kind:     by_value
      - .offset:         112
        .size:           4
        .value_kind:     by_value
      - .offset:         116
        .size:           4
        .value_kind:     by_value
      - .offset:         120
        .size:           4
        .value_kind:     by_value
      - .offset:         124
        .size:           4
        .value_kind:     by_value
      - .offset:         128
        .size:           4
        .value_kind:     by_value
      - .offset:         132
        .size:           4
        .value_kind:     by_value
      - .offset:         136
        .size:           4
        .value_kind:     by_value
      - .offset:         140
        .size:           4
        .value_kind:     by_value
      - .offset:         144
        .size:           4
        .value_kind:     by_value
      - .offset:         152
        .size:           8
        .value_kind:     by_value
      - .offset:         160
        .size:           4
        .value_kind:     by_value
      - .offset:         164
        .size:           4
        .value_kind:     by_value
      - .offset:         168
        .size:           8
        .value_kind:     by_value
      - .offset:         176
        .size:           4
        .value_kind:     by_value
      - .offset:         180
        .size:           4
        .value_kind:     by_value
      - .offset:         184
        .size:           4
        .value_kind:     by_value
      - .offset:         188
        .size:           4
        .value_kind:     by_value
      - .offset:         192
        .size:           4
        .value_kind:     by_value
      - .offset:         200
        .size:           8
        .value_kind:     by_value
      - .offset:         208
        .size:           4
        .value_kind:     hidden_block_count_x
      - .offset:         212
        .size:           4
        .value_kind:     hidden_block_count_y
      - .offset:         216
        .size:           4
        .value_kind:     hidden_block_count_z
      - .offset:         220
        .size:           2
        .value_kind:     hidden_group_size_x
      - .offset:         222
        .size:           2
        .value_kind:     hidden_group_size_y
      - .offset:         224
        .size:           2
        .value_kind:     hidden_group_size_z
      - .offset:         226
        .size:           2
        .value_kind:     hidden_remainder_x
      - .offset:         228
        .size:           2
        .value_kind:     hidden_remainder_y
      - .offset:         230
        .size:           2
        .value_kind:     hidden_remainder_z
      - .offset:         248
        .size:           8
        .value_kind:     hidden_global_offset_x
      - .offset:         256
        .size:           8
        .value_kind:     hidden_global_offset_y
      - .offset:         264
        .size:           8
        .value_kind:     hidden_global_offset_z
      - .offset:         272
        .size:           2
        .value_kind:     hidden_grid_dims
    .group_segment_fixed_size: 33792
    .kernarg_segment_align: 8
    .kernarg_segment_size: 464
    .language:       OpenCL C
    .language_version:
      - 2
      - 0
    .max_flat_workgroup_size: 256
    .name:           _ZL15flash_attn_tileILi128ELi128ELi8ELi8ELb1EEvPKcS1_S1_S1_S1_PKiPfP15HIP_vector_typeIfLj2EEffffjfiS5_IjLj3EEiiiiiiiiiiiliiliiiiil
    .private_segment_fixed_size: 0
    .sgpr_count:     44
    .sgpr_spill_count: 0
    .symbol:         _ZL15flash_attn_tileILi128ELi128ELi8ELi8ELb1EEvPKcS1_S1_S1_S1_PKiPfP15HIP_vector_typeIfLj2EEffffjfiS5_IjLj3EEiiiiiiiiiiiliiliiiiil.kd
    .uniform_work_group_size: 1
    .uses_dynamic_stack: false
    .vgpr_count:     145
    .vgpr_spill_count: 0
    .wavefront_size: 32
    .workgroup_processor_mode: 1
  - .args:
      - .address_space:  global
        .offset:         0
        .size:           8
        .value_kind:     global_buffer
      - .address_space:  global
        .offset:         8
        .size:           8
        .value_kind:     global_buffer
      - .address_space:  global
        .offset:         16
        .size:           8
        .value_kind:     global_buffer
      - .address_space:  global
        .offset:         24
        .size:           8
        .value_kind:     global_buffer
      - .address_space:  global
        .offset:         32
        .size:           8
        .value_kind:     global_buffer
      - .address_space:  global
        .offset:         40
        .size:           8
        .value_kind:     global_buffer
      - .address_space:  global
        .offset:         48
        .size:           8
        .value_kind:     global_buffer
      - .address_space:  global
        .offset:         56
        .size:           8
        .value_kind:     global_buffer
      - .offset:         64
        .size:           4
        .value_kind:     by_value
      - .offset:         68
        .size:           4
        .value_kind:     by_value
      - .offset:         72
        .size:           4
        .value_kind:     by_value
      - .offset:         76
        .size:           4
        .value_kind:     by_value
      - .offset:         80
        .size:           4
        .value_kind:     by_value
      - .offset:         84
        .size:           4
        .value_kind:     by_value
      - .offset:         88
        .size:           4
        .value_kind:     by_value
      - .offset:         92
        .size:           12
        .value_kind:     by_value
      - .offset:         104
        .size:           4
        .value_kind:     by_value
      - .offset:         108
        .size:           4
        .value_kind:     by_value
      - .offset:         112
        .size:           4
        .value_kind:     by_value
      - .offset:         116
        .size:           4
        .value_kind:     by_value
      - .offset:         120
        .size:           4
        .value_kind:     by_value
      - .offset:         124
        .size:           4
        .value_kind:     by_value
      - .offset:         128
        .size:           4
        .value_kind:     by_value
      - .offset:         132
        .size:           4
        .value_kind:     by_value
      - .offset:         136
        .size:           4
        .value_kind:     by_value
      - .offset:         140
        .size:           4
        .value_kind:     by_value
      - .offset:         144
        .size:           4
        .value_kind:     by_value
      - .offset:         152
        .size:           8
        .value_kind:     by_value
      - .offset:         160
        .size:           4
        .value_kind:     by_value
      - .offset:         164
        .size:           4
        .value_kind:     by_value
      - .offset:         168
        .size:           8
        .value_kind:     by_value
      - .offset:         176
        .size:           4
        .value_kind:     by_value
      - .offset:         180
        .size:           4
        .value_kind:     by_value
      - .offset:         184
        .size:           4
        .value_kind:     by_value
      - .offset:         188
        .size:           4
        .value_kind:     by_value
      - .offset:         192
        .size:           4
        .value_kind:     by_value
      - .offset:         200
        .size:           8
        .value_kind:     by_value
      - .offset:         208
        .size:           4
        .value_kind:     hidden_block_count_x
      - .offset:         212
        .size:           4
        .value_kind:     hidden_block_count_y
      - .offset:         216
        .size:           4
        .value_kind:     hidden_block_count_z
      - .offset:         220
        .size:           2
        .value_kind:     hidden_group_size_x
      - .offset:         222
        .size:           2
        .value_kind:     hidden_group_size_y
      - .offset:         224
        .size:           2
        .value_kind:     hidden_group_size_z
      - .offset:         226
        .size:           2
        .value_kind:     hidden_remainder_x
      - .offset:         228
        .size:           2
        .value_kind:     hidden_remainder_y
      - .offset:         230
        .size:           2
        .value_kind:     hidden_remainder_z
      - .offset:         248
        .size:           8
        .value_kind:     hidden_global_offset_x
      - .offset:         256
        .size:           8
        .value_kind:     hidden_global_offset_y
      - .offset:         264
        .size:           8
        .value_kind:     hidden_global_offset_z
      - .offset:         272
        .size:           2
        .value_kind:     hidden_grid_dims
    .group_segment_fixed_size: 34816
    .kernarg_segment_align: 8
    .kernarg_segment_size: 464
    .language:       OpenCL C
    .language_version:
      - 2
      - 0
    .max_flat_workgroup_size: 256
    .name:           _ZL15flash_attn_tileILi128ELi128ELi4ELi8ELb1EEvPKcS1_S1_S1_S1_PKiPfP15HIP_vector_typeIfLj2EEffffjfiS5_IjLj3EEiiiiiiiiiiiliiliiiiil
    .private_segment_fixed_size: 0
    .sgpr_count:     48
    .sgpr_spill_count: 0
    .symbol:         _ZL15flash_attn_tileILi128ELi128ELi4ELi8ELb1EEvPKcS1_S1_S1_S1_PKiPfP15HIP_vector_typeIfLj2EEffffjfiS5_IjLj3EEiiiiiiiiiiiliiliiiiil.kd
    .uniform_work_group_size: 1
    .uses_dynamic_stack: false
    .vgpr_count:     170
    .vgpr_spill_count: 0
    .wavefront_size: 32
    .workgroup_processor_mode: 1
  - .args:
      - .address_space:  global
        .offset:         0
        .size:           8
        .value_kind:     global_buffer
      - .address_space:  global
        .offset:         8
        .size:           8
        .value_kind:     global_buffer
      - .address_space:  global
        .offset:         16
        .size:           8
        .value_kind:     global_buffer
      - .address_space:  global
        .offset:         24
        .size:           8
        .value_kind:     global_buffer
      - .address_space:  global
        .offset:         32
        .size:           8
        .value_kind:     global_buffer
      - .address_space:  global
        .offset:         40
        .size:           8
        .value_kind:     global_buffer
      - .address_space:  global
        .offset:         48
        .size:           8
        .value_kind:     global_buffer
      - .address_space:  global
        .offset:         56
        .size:           8
        .value_kind:     global_buffer
      - .offset:         64
        .size:           4
        .value_kind:     by_value
      - .offset:         68
        .size:           4
        .value_kind:     by_value
      - .offset:         72
        .size:           4
        .value_kind:     by_value
      - .offset:         76
        .size:           4
        .value_kind:     by_value
      - .offset:         80
        .size:           4
        .value_kind:     by_value
      - .offset:         84
        .size:           4
        .value_kind:     by_value
      - .offset:         88
        .size:           4
        .value_kind:     by_value
      - .offset:         92
        .size:           12
        .value_kind:     by_value
      - .offset:         104
        .size:           4
        .value_kind:     by_value
      - .offset:         108
        .size:           4
        .value_kind:     by_value
      - .offset:         112
        .size:           4
        .value_kind:     by_value
      - .offset:         116
        .size:           4
        .value_kind:     by_value
      - .offset:         120
        .size:           4
        .value_kind:     by_value
      - .offset:         124
        .size:           4
        .value_kind:     by_value
      - .offset:         128
        .size:           4
        .value_kind:     by_value
      - .offset:         132
        .size:           4
        .value_kind:     by_value
      - .offset:         136
        .size:           4
        .value_kind:     by_value
      - .offset:         140
        .size:           4
        .value_kind:     by_value
      - .offset:         144
        .size:           4
        .value_kind:     by_value
      - .offset:         152
        .size:           8
        .value_kind:     by_value
      - .offset:         160
        .size:           4
        .value_kind:     by_value
      - .offset:         164
        .size:           4
        .value_kind:     by_value
      - .offset:         168
        .size:           8
        .value_kind:     by_value
      - .offset:         176
        .size:           4
        .value_kind:     by_value
      - .offset:         180
        .size:           4
        .value_kind:     by_value
      - .offset:         184
        .size:           4
        .value_kind:     by_value
      - .offset:         188
        .size:           4
        .value_kind:     by_value
      - .offset:         192
        .size:           4
        .value_kind:     by_value
      - .offset:         200
        .size:           8
        .value_kind:     by_value
      - .offset:         208
        .size:           4
        .value_kind:     hidden_block_count_x
      - .offset:         212
        .size:           4
        .value_kind:     hidden_block_count_y
      - .offset:         216
        .size:           4
        .value_kind:     hidden_block_count_z
      - .offset:         220
        .size:           2
        .value_kind:     hidden_group_size_x
      - .offset:         222
        .size:           2
        .value_kind:     hidden_group_size_y
      - .offset:         224
        .size:           2
        .value_kind:     hidden_group_size_z
      - .offset:         226
        .size:           2
        .value_kind:     hidden_remainder_x
      - .offset:         228
        .size:           2
        .value_kind:     hidden_remainder_y
      - .offset:         230
        .size:           2
        .value_kind:     hidden_remainder_z
      - .offset:         248
        .size:           8
        .value_kind:     hidden_global_offset_x
      - .offset:         256
        .size:           8
        .value_kind:     hidden_global_offset_y
      - .offset:         264
        .size:           8
        .value_kind:     hidden_global_offset_z
      - .offset:         272
        .size:           2
        .value_kind:     hidden_grid_dims
    .group_segment_fixed_size: 43008
    .kernarg_segment_align: 8
    .kernarg_segment_size: 464
    .language:       OpenCL C
    .language_version:
      - 2
      - 0
    .max_flat_workgroup_size: 256
    .name:           _ZL15flash_attn_tileILi128ELi128ELi2ELi8ELb1EEvPKcS1_S1_S1_S1_PKiPfP15HIP_vector_typeIfLj2EEffffjfiS5_IjLj3EEiiiiiiiiiiiliiliiiiil
    .private_segment_fixed_size: 0
    .sgpr_count:     44
    .sgpr_spill_count: 0
    .symbol:         _ZL15flash_attn_tileILi128ELi128ELi2ELi8ELb1EEvPKcS1_S1_S1_S1_PKiPfP15HIP_vector_typeIfLj2EEffffjfiS5_IjLj3EEiiiiiiiiiiiliiliiiiil.kd
    .uniform_work_group_size: 1
    .uses_dynamic_stack: false
    .vgpr_count:     163
    .vgpr_spill_count: 0
    .wavefront_size: 32
    .workgroup_processor_mode: 1
  - .args:
      - .address_space:  global
        .offset:         0
        .size:           8
        .value_kind:     global_buffer
      - .address_space:  global
        .offset:         8
        .size:           8
        .value_kind:     global_buffer
      - .address_space:  global
        .offset:         16
        .size:           8
        .value_kind:     global_buffer
      - .address_space:  global
        .offset:         24
        .size:           8
        .value_kind:     global_buffer
      - .address_space:  global
        .offset:         32
        .size:           8
        .value_kind:     global_buffer
      - .address_space:  global
        .offset:         40
        .size:           8
        .value_kind:     global_buffer
      - .address_space:  global
        .offset:         48
        .size:           8
        .value_kind:     global_buffer
      - .address_space:  global
        .offset:         56
        .size:           8
        .value_kind:     global_buffer
      - .offset:         64
        .size:           4
        .value_kind:     by_value
      - .offset:         68
        .size:           4
        .value_kind:     by_value
      - .offset:         72
        .size:           4
        .value_kind:     by_value
      - .offset:         76
        .size:           4
        .value_kind:     by_value
      - .offset:         80
        .size:           4
        .value_kind:     by_value
      - .offset:         84
        .size:           4
        .value_kind:     by_value
      - .offset:         88
        .size:           4
        .value_kind:     by_value
      - .offset:         92
        .size:           12
        .value_kind:     by_value
      - .offset:         104
        .size:           4
        .value_kind:     by_value
      - .offset:         108
        .size:           4
        .value_kind:     by_value
      - .offset:         112
        .size:           4
        .value_kind:     by_value
      - .offset:         116
        .size:           4
        .value_kind:     by_value
      - .offset:         120
        .size:           4
        .value_kind:     by_value
      - .offset:         124
        .size:           4
        .value_kind:     by_value
      - .offset:         128
        .size:           4
        .value_kind:     by_value
      - .offset:         132
        .size:           4
        .value_kind:     by_value
      - .offset:         136
        .size:           4
        .value_kind:     by_value
      - .offset:         140
        .size:           4
        .value_kind:     by_value
      - .offset:         144
        .size:           4
        .value_kind:     by_value
      - .offset:         152
        .size:           8
        .value_kind:     by_value
      - .offset:         160
        .size:           4
        .value_kind:     by_value
      - .offset:         164
        .size:           4
        .value_kind:     by_value
      - .offset:         168
        .size:           8
        .value_kind:     by_value
      - .offset:         176
        .size:           4
        .value_kind:     by_value
      - .offset:         180
        .size:           4
        .value_kind:     by_value
      - .offset:         184
        .size:           4
        .value_kind:     by_value
      - .offset:         188
        .size:           4
        .value_kind:     by_value
      - .offset:         192
        .size:           4
        .value_kind:     by_value
      - .offset:         200
        .size:           8
        .value_kind:     by_value
      - .offset:         208
        .size:           4
        .value_kind:     hidden_block_count_x
      - .offset:         212
        .size:           4
        .value_kind:     hidden_block_count_y
      - .offset:         216
        .size:           4
        .value_kind:     hidden_block_count_z
      - .offset:         220
        .size:           2
        .value_kind:     hidden_group_size_x
      - .offset:         222
        .size:           2
        .value_kind:     hidden_group_size_y
      - .offset:         224
        .size:           2
        .value_kind:     hidden_group_size_z
      - .offset:         226
        .size:           2
        .value_kind:     hidden_remainder_x
      - .offset:         228
        .size:           2
        .value_kind:     hidden_remainder_y
      - .offset:         230
        .size:           2
        .value_kind:     hidden_remainder_z
      - .offset:         248
        .size:           8
        .value_kind:     hidden_global_offset_x
      - .offset:         256
        .size:           8
        .value_kind:     hidden_global_offset_y
      - .offset:         264
        .size:           8
        .value_kind:     hidden_global_offset_z
      - .offset:         272
        .size:           2
        .value_kind:     hidden_grid_dims
    .group_segment_fixed_size: 12288
    .kernarg_segment_align: 8
    .kernarg_segment_size: 464
    .language:       OpenCL C
    .language_version:
      - 2
      - 0
    .max_flat_workgroup_size: 128
    .name:           _ZL15flash_attn_tileILi128ELi128ELi1ELi8ELb1EEvPKcS1_S1_S1_S1_PKiPfP15HIP_vector_typeIfLj2EEffffjfiS5_IjLj3EEiiiiiiiiiiiliiliiiiil
    .private_segment_fixed_size: 0
    .sgpr_count:     44
    .sgpr_spill_count: 0
    .symbol:         _ZL15flash_attn_tileILi128ELi128ELi1ELi8ELb1EEvPKcS1_S1_S1_S1_PKiPfP15HIP_vector_typeIfLj2EEffffjfiS5_IjLj3EEiiiiiiiiiiiliiliiiiil.kd
    .uniform_work_group_size: 1
    .uses_dynamic_stack: false
    .vgpr_count:     192
    .vgpr_spill_count: 0
    .wavefront_size: 32
    .workgroup_processor_mode: 1
  - .args:
      - .address_space:  global
        .offset:         0
        .size:           8
        .value_kind:     global_buffer
      - .address_space:  global
        .offset:         8
        .size:           8
        .value_kind:     global_buffer
      - .address_space:  global
        .offset:         16
        .size:           8
        .value_kind:     global_buffer
      - .address_space:  global
        .offset:         24
        .size:           8
        .value_kind:     global_buffer
      - .address_space:  global
        .offset:         32
        .size:           8
        .value_kind:     global_buffer
      - .address_space:  global
        .offset:         40
        .size:           8
        .value_kind:     global_buffer
      - .address_space:  global
        .offset:         48
        .size:           8
        .value_kind:     global_buffer
      - .address_space:  global
        .offset:         56
        .size:           8
        .value_kind:     global_buffer
      - .offset:         64
        .size:           4
        .value_kind:     by_value
      - .offset:         68
        .size:           4
        .value_kind:     by_value
      - .offset:         72
        .size:           4
        .value_kind:     by_value
      - .offset:         76
        .size:           4
        .value_kind:     by_value
      - .offset:         80
        .size:           4
        .value_kind:     by_value
      - .offset:         84
        .size:           4
        .value_kind:     by_value
      - .offset:         88
        .size:           4
        .value_kind:     by_value
      - .offset:         92
        .size:           12
        .value_kind:     by_value
      - .offset:         104
        .size:           4
        .value_kind:     by_value
      - .offset:         108
        .size:           4
        .value_kind:     by_value
      - .offset:         112
        .size:           4
        .value_kind:     by_value
      - .offset:         116
        .size:           4
        .value_kind:     by_value
      - .offset:         120
        .size:           4
        .value_kind:     by_value
      - .offset:         124
        .size:           4
        .value_kind:     by_value
      - .offset:         128
        .size:           4
        .value_kind:     by_value
      - .offset:         132
        .size:           4
        .value_kind:     by_value
      - .offset:         136
        .size:           4
        .value_kind:     by_value
      - .offset:         140
        .size:           4
        .value_kind:     by_value
      - .offset:         144
        .size:           4
        .value_kind:     by_value
      - .offset:         152
        .size:           8
        .value_kind:     by_value
      - .offset:         160
        .size:           4
        .value_kind:     by_value
      - .offset:         164
        .size:           4
        .value_kind:     by_value
      - .offset:         168
        .size:           8
        .value_kind:     by_value
      - .offset:         176
        .size:           4
        .value_kind:     by_value
      - .offset:         180
        .size:           4
        .value_kind:     by_value
      - .offset:         184
        .size:           4
        .value_kind:     by_value
      - .offset:         188
        .size:           4
        .value_kind:     by_value
      - .offset:         192
        .size:           4
        .value_kind:     by_value
      - .offset:         200
        .size:           8
        .value_kind:     by_value
      - .offset:         208
        .size:           4
        .value_kind:     hidden_block_count_x
      - .offset:         212
        .size:           4
        .value_kind:     hidden_block_count_y
      - .offset:         216
        .size:           4
        .value_kind:     hidden_block_count_z
      - .offset:         220
        .size:           2
        .value_kind:     hidden_group_size_x
      - .offset:         222
        .size:           2
        .value_kind:     hidden_group_size_y
      - .offset:         224
        .size:           2
        .value_kind:     hidden_group_size_z
      - .offset:         226
        .size:           2
        .value_kind:     hidden_remainder_x
      - .offset:         228
        .size:           2
        .value_kind:     hidden_remainder_y
      - .offset:         230
        .size:           2
        .value_kind:     hidden_remainder_z
      - .offset:         248
        .size:           8
        .value_kind:     hidden_global_offset_x
      - .offset:         256
        .size:           8
        .value_kind:     hidden_global_offset_y
      - .offset:         264
        .size:           8
        .value_kind:     hidden_global_offset_z
      - .offset:         272
        .size:           2
        .value_kind:     hidden_grid_dims
    .group_segment_fixed_size: 33792
    .kernarg_segment_align: 8
    .kernarg_segment_size: 464
    .language:       OpenCL C
    .language_version:
      - 2
      - 0
    .max_flat_workgroup_size: 256
    .name:           _ZL15flash_attn_tileILi128ELi128ELi16ELi4ELb1EEvPKcS1_S1_S1_S1_PKiPfP15HIP_vector_typeIfLj2EEffffjfiS5_IjLj3EEiiiiiiiiiiiliiliiiiil
    .private_segment_fixed_size: 0
    .sgpr_count:     52
    .sgpr_spill_count: 0
    .symbol:         _ZL15flash_attn_tileILi128ELi128ELi16ELi4ELb1EEvPKcS1_S1_S1_S1_PKiPfP15HIP_vector_typeIfLj2EEffffjfiS5_IjLj3EEiiiiiiiiiiiliiliiiiil.kd
    .uniform_work_group_size: 1
    .uses_dynamic_stack: false
    .vgpr_count:     155
    .vgpr_spill_count: 0
    .wavefront_size: 32
    .workgroup_processor_mode: 1
  - .args:
      - .address_space:  global
        .offset:         0
        .size:           8
        .value_kind:     global_buffer
      - .address_space:  global
        .offset:         8
        .size:           8
        .value_kind:     global_buffer
      - .address_space:  global
        .offset:         16
        .size:           8
        .value_kind:     global_buffer
      - .address_space:  global
        .offset:         24
        .size:           8
        .value_kind:     global_buffer
      - .address_space:  global
        .offset:         32
        .size:           8
        .value_kind:     global_buffer
      - .address_space:  global
        .offset:         40
        .size:           8
        .value_kind:     global_buffer
      - .address_space:  global
        .offset:         48
        .size:           8
        .value_kind:     global_buffer
      - .address_space:  global
        .offset:         56
        .size:           8
        .value_kind:     global_buffer
      - .offset:         64
        .size:           4
        .value_kind:     by_value
      - .offset:         68
        .size:           4
        .value_kind:     by_value
      - .offset:         72
        .size:           4
        .value_kind:     by_value
      - .offset:         76
        .size:           4
        .value_kind:     by_value
      - .offset:         80
        .size:           4
        .value_kind:     by_value
      - .offset:         84
        .size:           4
        .value_kind:     by_value
      - .offset:         88
        .size:           4
        .value_kind:     by_value
      - .offset:         92
        .size:           12
        .value_kind:     by_value
      - .offset:         104
        .size:           4
        .value_kind:     by_value
      - .offset:         108
        .size:           4
        .value_kind:     by_value
      - .offset:         112
        .size:           4
        .value_kind:     by_value
      - .offset:         116
        .size:           4
        .value_kind:     by_value
      - .offset:         120
        .size:           4
        .value_kind:     by_value
      - .offset:         124
        .size:           4
        .value_kind:     by_value
      - .offset:         128
        .size:           4
        .value_kind:     by_value
      - .offset:         132
        .size:           4
        .value_kind:     by_value
      - .offset:         136
        .size:           4
        .value_kind:     by_value
      - .offset:         140
        .size:           4
        .value_kind:     by_value
      - .offset:         144
        .size:           4
        .value_kind:     by_value
      - .offset:         152
        .size:           8
        .value_kind:     by_value
      - .offset:         160
        .size:           4
        .value_kind:     by_value
      - .offset:         164
        .size:           4
        .value_kind:     by_value
      - .offset:         168
        .size:           8
        .value_kind:     by_value
      - .offset:         176
        .size:           4
        .value_kind:     by_value
      - .offset:         180
        .size:           4
        .value_kind:     by_value
      - .offset:         184
        .size:           4
        .value_kind:     by_value
      - .offset:         188
        .size:           4
        .value_kind:     by_value
      - .offset:         192
        .size:           4
        .value_kind:     by_value
      - .offset:         200
        .size:           8
        .value_kind:     by_value
      - .offset:         208
        .size:           4
        .value_kind:     hidden_block_count_x
      - .offset:         212
        .size:           4
        .value_kind:     hidden_block_count_y
      - .offset:         216
        .size:           4
        .value_kind:     hidden_block_count_z
      - .offset:         220
        .size:           2
        .value_kind:     hidden_group_size_x
      - .offset:         222
        .size:           2
        .value_kind:     hidden_group_size_y
      - .offset:         224
        .size:           2
        .value_kind:     hidden_group_size_z
      - .offset:         226
        .size:           2
        .value_kind:     hidden_remainder_x
      - .offset:         228
        .size:           2
        .value_kind:     hidden_remainder_y
      - .offset:         230
        .size:           2
        .value_kind:     hidden_remainder_z
      - .offset:         248
        .size:           8
        .value_kind:     hidden_global_offset_x
      - .offset:         256
        .size:           8
        .value_kind:     hidden_global_offset_y
      - .offset:         264
        .size:           8
        .value_kind:     hidden_global_offset_z
      - .offset:         272
        .size:           2
        .value_kind:     hidden_grid_dims
    .group_segment_fixed_size: 34816
    .kernarg_segment_align: 8
    .kernarg_segment_size: 464
    .language:       OpenCL C
    .language_version:
      - 2
      - 0
    .max_flat_workgroup_size: 256
    .name:           _ZL15flash_attn_tileILi128ELi128ELi8ELi4ELb1EEvPKcS1_S1_S1_S1_PKiPfP15HIP_vector_typeIfLj2EEffffjfiS5_IjLj3EEiiiiiiiiiiiliiliiiiil
    .private_segment_fixed_size: 0
    .sgpr_count:     44
    .sgpr_spill_count: 0
    .symbol:         _ZL15flash_attn_tileILi128ELi128ELi8ELi4ELb1EEvPKcS1_S1_S1_S1_PKiPfP15HIP_vector_typeIfLj2EEffffjfiS5_IjLj3EEiiiiiiiiiiiliiliiiiil.kd
    .uniform_work_group_size: 1
    .uses_dynamic_stack: false
    .vgpr_count:     169
    .vgpr_spill_count: 0
    .wavefront_size: 32
    .workgroup_processor_mode: 1
  - .args:
      - .address_space:  global
        .offset:         0
        .size:           8
        .value_kind:     global_buffer
      - .address_space:  global
        .offset:         8
        .size:           8
        .value_kind:     global_buffer
      - .address_space:  global
        .offset:         16
        .size:           8
        .value_kind:     global_buffer
      - .address_space:  global
        .offset:         24
        .size:           8
        .value_kind:     global_buffer
      - .address_space:  global
        .offset:         32
        .size:           8
        .value_kind:     global_buffer
      - .address_space:  global
        .offset:         40
        .size:           8
        .value_kind:     global_buffer
      - .address_space:  global
        .offset:         48
        .size:           8
        .value_kind:     global_buffer
      - .address_space:  global
        .offset:         56
        .size:           8
        .value_kind:     global_buffer
      - .offset:         64
        .size:           4
        .value_kind:     by_value
      - .offset:         68
        .size:           4
        .value_kind:     by_value
      - .offset:         72
        .size:           4
        .value_kind:     by_value
      - .offset:         76
        .size:           4
        .value_kind:     by_value
      - .offset:         80
        .size:           4
        .value_kind:     by_value
      - .offset:         84
        .size:           4
        .value_kind:     by_value
      - .offset:         88
        .size:           4
        .value_kind:     by_value
      - .offset:         92
        .size:           12
        .value_kind:     by_value
      - .offset:         104
        .size:           4
        .value_kind:     by_value
      - .offset:         108
        .size:           4
        .value_kind:     by_value
      - .offset:         112
        .size:           4
        .value_kind:     by_value
      - .offset:         116
        .size:           4
        .value_kind:     by_value
      - .offset:         120
        .size:           4
        .value_kind:     by_value
      - .offset:         124
        .size:           4
        .value_kind:     by_value
      - .offset:         128
        .size:           4
        .value_kind:     by_value
      - .offset:         132
        .size:           4
        .value_kind:     by_value
      - .offset:         136
        .size:           4
        .value_kind:     by_value
      - .offset:         140
        .size:           4
        .value_kind:     by_value
      - .offset:         144
        .size:           4
        .value_kind:     by_value
      - .offset:         152
        .size:           8
        .value_kind:     by_value
      - .offset:         160
        .size:           4
        .value_kind:     by_value
      - .offset:         164
        .size:           4
        .value_kind:     by_value
      - .offset:         168
        .size:           8
        .value_kind:     by_value
      - .offset:         176
        .size:           4
        .value_kind:     by_value
      - .offset:         180
        .size:           4
        .value_kind:     by_value
      - .offset:         184
        .size:           4
        .value_kind:     by_value
      - .offset:         188
        .size:           4
        .value_kind:     by_value
      - .offset:         192
        .size:           4
        .value_kind:     by_value
      - .offset:         200
        .size:           8
        .value_kind:     by_value
      - .offset:         208
        .size:           4
        .value_kind:     hidden_block_count_x
      - .offset:         212
        .size:           4
        .value_kind:     hidden_block_count_y
      - .offset:         216
        .size:           4
        .value_kind:     hidden_block_count_z
      - .offset:         220
        .size:           2
        .value_kind:     hidden_group_size_x
      - .offset:         222
        .size:           2
        .value_kind:     hidden_group_size_y
      - .offset:         224
        .size:           2
        .value_kind:     hidden_group_size_z
      - .offset:         226
        .size:           2
        .value_kind:     hidden_remainder_x
      - .offset:         228
        .size:           2
        .value_kind:     hidden_remainder_y
      - .offset:         230
        .size:           2
        .value_kind:     hidden_remainder_z
      - .offset:         248
        .size:           8
        .value_kind:     hidden_global_offset_x
      - .offset:         256
        .size:           8
        .value_kind:     hidden_global_offset_y
      - .offset:         264
        .size:           8
        .value_kind:     hidden_global_offset_z
      - .offset:         272
        .size:           2
        .value_kind:     hidden_grid_dims
    .group_segment_fixed_size: 43008
    .kernarg_segment_align: 8
    .kernarg_segment_size: 464
    .language:       OpenCL C
    .language_version:
      - 2
      - 0
    .max_flat_workgroup_size: 256
    .name:           _ZL15flash_attn_tileILi128ELi128ELi4ELi4ELb1EEvPKcS1_S1_S1_S1_PKiPfP15HIP_vector_typeIfLj2EEffffjfiS5_IjLj3EEiiiiiiiiiiiliiliiiiil
    .private_segment_fixed_size: 0
    .sgpr_count:     44
    .sgpr_spill_count: 0
    .symbol:         _ZL15flash_attn_tileILi128ELi128ELi4ELi4ELb1EEvPKcS1_S1_S1_S1_PKiPfP15HIP_vector_typeIfLj2EEffffjfiS5_IjLj3EEiiiiiiiiiiiliiliiiiil.kd
    .uniform_work_group_size: 1
    .uses_dynamic_stack: false
    .vgpr_count:     163
    .vgpr_spill_count: 0
    .wavefront_size: 32
    .workgroup_processor_mode: 1
  - .args:
      - .address_space:  global
        .offset:         0
        .size:           8
        .value_kind:     global_buffer
      - .address_space:  global
        .offset:         8
        .size:           8
        .value_kind:     global_buffer
      - .address_space:  global
        .offset:         16
        .size:           8
        .value_kind:     global_buffer
      - .address_space:  global
        .offset:         24
        .size:           8
        .value_kind:     global_buffer
      - .address_space:  global
        .offset:         32
        .size:           8
        .value_kind:     global_buffer
      - .address_space:  global
        .offset:         40
        .size:           8
        .value_kind:     global_buffer
      - .address_space:  global
        .offset:         48
        .size:           8
        .value_kind:     global_buffer
      - .address_space:  global
        .offset:         56
        .size:           8
        .value_kind:     global_buffer
      - .offset:         64
        .size:           4
        .value_kind:     by_value
      - .offset:         68
        .size:           4
        .value_kind:     by_value
      - .offset:         72
        .size:           4
        .value_kind:     by_value
      - .offset:         76
        .size:           4
        .value_kind:     by_value
      - .offset:         80
        .size:           4
        .value_kind:     by_value
      - .offset:         84
        .size:           4
        .value_kind:     by_value
      - .offset:         88
        .size:           4
        .value_kind:     by_value
      - .offset:         92
        .size:           12
        .value_kind:     by_value
      - .offset:         104
        .size:           4
        .value_kind:     by_value
      - .offset:         108
        .size:           4
        .value_kind:     by_value
      - .offset:         112
        .size:           4
        .value_kind:     by_value
      - .offset:         116
        .size:           4
        .value_kind:     by_value
      - .offset:         120
        .size:           4
        .value_kind:     by_value
      - .offset:         124
        .size:           4
        .value_kind:     by_value
      - .offset:         128
        .size:           4
        .value_kind:     by_value
      - .offset:         132
        .size:           4
        .value_kind:     by_value
      - .offset:         136
        .size:           4
        .value_kind:     by_value
      - .offset:         140
        .size:           4
        .value_kind:     by_value
      - .offset:         144
        .size:           4
        .value_kind:     by_value
      - .offset:         152
        .size:           8
        .value_kind:     by_value
      - .offset:         160
        .size:           4
        .value_kind:     by_value
      - .offset:         164
        .size:           4
        .value_kind:     by_value
      - .offset:         168
        .size:           8
        .value_kind:     by_value
      - .offset:         176
        .size:           4
        .value_kind:     by_value
      - .offset:         180
        .size:           4
        .value_kind:     by_value
      - .offset:         184
        .size:           4
        .value_kind:     by_value
      - .offset:         188
        .size:           4
        .value_kind:     by_value
      - .offset:         192
        .size:           4
        .value_kind:     by_value
      - .offset:         200
        .size:           8
        .value_kind:     by_value
      - .offset:         208
        .size:           4
        .value_kind:     hidden_block_count_x
      - .offset:         212
        .size:           4
        .value_kind:     hidden_block_count_y
      - .offset:         216
        .size:           4
        .value_kind:     hidden_block_count_z
      - .offset:         220
        .size:           2
        .value_kind:     hidden_group_size_x
      - .offset:         222
        .size:           2
        .value_kind:     hidden_group_size_y
      - .offset:         224
        .size:           2
        .value_kind:     hidden_group_size_z
      - .offset:         226
        .size:           2
        .value_kind:     hidden_remainder_x
      - .offset:         228
        .size:           2
        .value_kind:     hidden_remainder_y
      - .offset:         230
        .size:           2
        .value_kind:     hidden_remainder_z
      - .offset:         248
        .size:           8
        .value_kind:     hidden_global_offset_x
      - .offset:         256
        .size:           8
        .value_kind:     hidden_global_offset_y
      - .offset:         264
        .size:           8
        .value_kind:     hidden_global_offset_z
      - .offset:         272
        .size:           2
        .value_kind:     hidden_grid_dims
    .group_segment_fixed_size: 12288
    .kernarg_segment_align: 8
    .kernarg_segment_size: 464
    .language:       OpenCL C
    .language_version:
      - 2
      - 0
    .max_flat_workgroup_size: 128
    .name:           _ZL15flash_attn_tileILi128ELi128ELi2ELi4ELb1EEvPKcS1_S1_S1_S1_PKiPfP15HIP_vector_typeIfLj2EEffffjfiS5_IjLj3EEiiiiiiiiiiiliiliiiiil
    .private_segment_fixed_size: 0
    .sgpr_count:     44
    .sgpr_spill_count: 0
    .symbol:         _ZL15flash_attn_tileILi128ELi128ELi2ELi4ELb1EEvPKcS1_S1_S1_S1_PKiPfP15HIP_vector_typeIfLj2EEffffjfiS5_IjLj3EEiiiiiiiiiiiliiliiiiil.kd
    .uniform_work_group_size: 1
    .uses_dynamic_stack: false
    .vgpr_count:     192
    .vgpr_spill_count: 0
    .wavefront_size: 32
    .workgroup_processor_mode: 1
  - .args:
      - .address_space:  global
        .offset:         0
        .size:           8
        .value_kind:     global_buffer
      - .address_space:  global
        .offset:         8
        .size:           8
        .value_kind:     global_buffer
      - .address_space:  global
        .offset:         16
        .size:           8
        .value_kind:     global_buffer
      - .address_space:  global
        .offset:         24
        .size:           8
        .value_kind:     global_buffer
      - .address_space:  global
        .offset:         32
        .size:           8
        .value_kind:     global_buffer
      - .address_space:  global
        .offset:         40
        .size:           8
        .value_kind:     global_buffer
      - .address_space:  global
        .offset:         48
        .size:           8
        .value_kind:     global_buffer
      - .address_space:  global
        .offset:         56
        .size:           8
        .value_kind:     global_buffer
      - .offset:         64
        .size:           4
        .value_kind:     by_value
      - .offset:         68
        .size:           4
        .value_kind:     by_value
      - .offset:         72
        .size:           4
        .value_kind:     by_value
      - .offset:         76
        .size:           4
        .value_kind:     by_value
      - .offset:         80
        .size:           4
        .value_kind:     by_value
      - .offset:         84
        .size:           4
        .value_kind:     by_value
      - .offset:         88
        .size:           4
        .value_kind:     by_value
      - .offset:         92
        .size:           12
        .value_kind:     by_value
      - .offset:         104
        .size:           4
        .value_kind:     by_value
      - .offset:         108
        .size:           4
        .value_kind:     by_value
      - .offset:         112
        .size:           4
        .value_kind:     by_value
      - .offset:         116
        .size:           4
        .value_kind:     by_value
      - .offset:         120
        .size:           4
        .value_kind:     by_value
      - .offset:         124
        .size:           4
        .value_kind:     by_value
      - .offset:         128
        .size:           4
        .value_kind:     by_value
      - .offset:         132
        .size:           4
        .value_kind:     by_value
      - .offset:         136
        .size:           4
        .value_kind:     by_value
      - .offset:         140
        .size:           4
        .value_kind:     by_value
      - .offset:         144
        .size:           4
        .value_kind:     by_value
      - .offset:         152
        .size:           8
        .value_kind:     by_value
      - .offset:         160
        .size:           4
        .value_kind:     by_value
      - .offset:         164
        .size:           4
        .value_kind:     by_value
      - .offset:         168
        .size:           8
        .value_kind:     by_value
      - .offset:         176
        .size:           4
        .value_kind:     by_value
      - .offset:         180
        .size:           4
        .value_kind:     by_value
      - .offset:         184
        .size:           4
        .value_kind:     by_value
      - .offset:         188
        .size:           4
        .value_kind:     by_value
      - .offset:         192
        .size:           4
        .value_kind:     by_value
      - .offset:         200
        .size:           8
        .value_kind:     by_value
      - .offset:         208
        .size:           4
        .value_kind:     hidden_block_count_x
      - .offset:         212
        .size:           4
        .value_kind:     hidden_block_count_y
      - .offset:         216
        .size:           4
        .value_kind:     hidden_block_count_z
      - .offset:         220
        .size:           2
        .value_kind:     hidden_group_size_x
      - .offset:         222
        .size:           2
        .value_kind:     hidden_group_size_y
      - .offset:         224
        .size:           2
        .value_kind:     hidden_group_size_z
      - .offset:         226
        .size:           2
        .value_kind:     hidden_remainder_x
      - .offset:         228
        .size:           2
        .value_kind:     hidden_remainder_y
      - .offset:         230
        .size:           2
        .value_kind:     hidden_remainder_z
      - .offset:         248
        .size:           8
        .value_kind:     hidden_global_offset_x
      - .offset:         256
        .size:           8
        .value_kind:     hidden_global_offset_y
      - .offset:         264
        .size:           8
        .value_kind:     hidden_global_offset_z
      - .offset:         272
        .size:           2
        .value_kind:     hidden_grid_dims
    .group_segment_fixed_size: 10752
    .kernarg_segment_align: 8
    .kernarg_segment_size: 464
    .language:       OpenCL C
    .language_version:
      - 2
      - 0
    .max_flat_workgroup_size: 128
    .name:           _ZL15flash_attn_tileILi128ELi128ELi1ELi4ELb1EEvPKcS1_S1_S1_S1_PKiPfP15HIP_vector_typeIfLj2EEffffjfiS5_IjLj3EEiiiiiiiiiiiliiliiiiil
    .private_segment_fixed_size: 0
    .sgpr_count:     45
    .sgpr_spill_count: 0
    .symbol:         _ZL15flash_attn_tileILi128ELi128ELi1ELi4ELb1EEvPKcS1_S1_S1_S1_PKiPfP15HIP_vector_typeIfLj2EEffffjfiS5_IjLj3EEiiiiiiiiiiiliiliiiiil.kd
    .uniform_work_group_size: 1
    .uses_dynamic_stack: false
    .vgpr_count:     152
    .vgpr_spill_count: 0
    .wavefront_size: 32
    .workgroup_processor_mode: 1
  - .args:
      - .address_space:  global
        .offset:         0
        .size:           8
        .value_kind:     global_buffer
      - .address_space:  global
        .offset:         8
        .size:           8
        .value_kind:     global_buffer
      - .address_space:  global
        .offset:         16
        .size:           8
        .value_kind:     global_buffer
      - .address_space:  global
        .offset:         24
        .size:           8
        .value_kind:     global_buffer
      - .address_space:  global
        .offset:         32
        .size:           8
        .value_kind:     global_buffer
      - .address_space:  global
        .offset:         40
        .size:           8
        .value_kind:     global_buffer
      - .address_space:  global
        .offset:         48
        .size:           8
        .value_kind:     global_buffer
      - .address_space:  global
        .offset:         56
        .size:           8
        .value_kind:     global_buffer
      - .offset:         64
        .size:           4
        .value_kind:     by_value
      - .offset:         68
        .size:           4
        .value_kind:     by_value
      - .offset:         72
        .size:           4
        .value_kind:     by_value
      - .offset:         76
        .size:           4
        .value_kind:     by_value
      - .offset:         80
        .size:           4
        .value_kind:     by_value
      - .offset:         84
        .size:           4
        .value_kind:     by_value
      - .offset:         88
        .size:           4
        .value_kind:     by_value
      - .offset:         92
        .size:           12
        .value_kind:     by_value
      - .offset:         104
        .size:           4
        .value_kind:     by_value
      - .offset:         108
        .size:           4
        .value_kind:     by_value
      - .offset:         112
        .size:           4
        .value_kind:     by_value
      - .offset:         116
        .size:           4
        .value_kind:     by_value
      - .offset:         120
        .size:           4
        .value_kind:     by_value
      - .offset:         124
        .size:           4
        .value_kind:     by_value
      - .offset:         128
        .size:           4
        .value_kind:     by_value
      - .offset:         132
        .size:           4
        .value_kind:     by_value
      - .offset:         136
        .size:           4
        .value_kind:     by_value
      - .offset:         140
        .size:           4
        .value_kind:     by_value
      - .offset:         144
        .size:           4
        .value_kind:     by_value
      - .offset:         152
        .size:           8
        .value_kind:     by_value
      - .offset:         160
        .size:           4
        .value_kind:     by_value
      - .offset:         164
        .size:           4
        .value_kind:     by_value
      - .offset:         168
        .size:           8
        .value_kind:     by_value
      - .offset:         176
        .size:           4
        .value_kind:     by_value
      - .offset:         180
        .size:           4
        .value_kind:     by_value
      - .offset:         184
        .size:           4
        .value_kind:     by_value
      - .offset:         188
        .size:           4
        .value_kind:     by_value
      - .offset:         192
        .size:           4
        .value_kind:     by_value
      - .offset:         200
        .size:           8
        .value_kind:     by_value
      - .offset:         208
        .size:           4
        .value_kind:     hidden_block_count_x
      - .offset:         212
        .size:           4
        .value_kind:     hidden_block_count_y
      - .offset:         216
        .size:           4
        .value_kind:     hidden_block_count_z
      - .offset:         220
        .size:           2
        .value_kind:     hidden_group_size_x
      - .offset:         222
        .size:           2
        .value_kind:     hidden_group_size_y
      - .offset:         224
        .size:           2
        .value_kind:     hidden_group_size_z
      - .offset:         226
        .size:           2
        .value_kind:     hidden_remainder_x
      - .offset:         228
        .size:           2
        .value_kind:     hidden_remainder_y
      - .offset:         230
        .size:           2
        .value_kind:     hidden_remainder_z
      - .offset:         248
        .size:           8
        .value_kind:     hidden_global_offset_x
      - .offset:         256
        .size:           8
        .value_kind:     hidden_global_offset_y
      - .offset:         264
        .size:           8
        .value_kind:     hidden_global_offset_z
      - .offset:         272
        .size:           2
        .value_kind:     hidden_grid_dims
    .group_segment_fixed_size: 33792
    .kernarg_segment_align: 8
    .kernarg_segment_size: 464
    .language:       OpenCL C
    .language_version:
      - 2
      - 0
    .max_flat_workgroup_size: 256
    .name:           _ZL15flash_attn_tileILi128ELi128ELi32ELi2ELb1EEvPKcS1_S1_S1_S1_PKiPfP15HIP_vector_typeIfLj2EEffffjfiS5_IjLj3EEiiiiiiiiiiiliiliiiiil
    .private_segment_fixed_size: 0
    .sgpr_count:     50
    .sgpr_spill_count: 0
    .symbol:         _ZL15flash_attn_tileILi128ELi128ELi32ELi2ELb1EEvPKcS1_S1_S1_S1_PKiPfP15HIP_vector_typeIfLj2EEffffjfiS5_IjLj3EEiiiiiiiiiiiliiliiiiil.kd
    .uniform_work_group_size: 1
    .uses_dynamic_stack: false
    .vgpr_count:     161
    .vgpr_spill_count: 0
    .wavefront_size: 32
    .workgroup_processor_mode: 1
  - .args:
      - .address_space:  global
        .offset:         0
        .size:           8
        .value_kind:     global_buffer
      - .address_space:  global
        .offset:         8
        .size:           8
        .value_kind:     global_buffer
      - .address_space:  global
        .offset:         16
        .size:           8
        .value_kind:     global_buffer
      - .address_space:  global
        .offset:         24
        .size:           8
        .value_kind:     global_buffer
      - .address_space:  global
        .offset:         32
        .size:           8
        .value_kind:     global_buffer
      - .address_space:  global
        .offset:         40
        .size:           8
        .value_kind:     global_buffer
      - .address_space:  global
        .offset:         48
        .size:           8
        .value_kind:     global_buffer
      - .address_space:  global
        .offset:         56
        .size:           8
        .value_kind:     global_buffer
      - .offset:         64
        .size:           4
        .value_kind:     by_value
      - .offset:         68
        .size:           4
        .value_kind:     by_value
      - .offset:         72
        .size:           4
        .value_kind:     by_value
      - .offset:         76
        .size:           4
        .value_kind:     by_value
      - .offset:         80
        .size:           4
        .value_kind:     by_value
      - .offset:         84
        .size:           4
        .value_kind:     by_value
      - .offset:         88
        .size:           4
        .value_kind:     by_value
      - .offset:         92
        .size:           12
        .value_kind:     by_value
      - .offset:         104
        .size:           4
        .value_kind:     by_value
      - .offset:         108
        .size:           4
        .value_kind:     by_value
      - .offset:         112
        .size:           4
        .value_kind:     by_value
      - .offset:         116
        .size:           4
        .value_kind:     by_value
      - .offset:         120
        .size:           4
        .value_kind:     by_value
      - .offset:         124
        .size:           4
        .value_kind:     by_value
      - .offset:         128
        .size:           4
        .value_kind:     by_value
      - .offset:         132
        .size:           4
        .value_kind:     by_value
      - .offset:         136
        .size:           4
        .value_kind:     by_value
      - .offset:         140
        .size:           4
        .value_kind:     by_value
      - .offset:         144
        .size:           4
        .value_kind:     by_value
      - .offset:         152
        .size:           8
        .value_kind:     by_value
      - .offset:         160
        .size:           4
        .value_kind:     by_value
      - .offset:         164
        .size:           4
        .value_kind:     by_value
      - .offset:         168
        .size:           8
        .value_kind:     by_value
      - .offset:         176
        .size:           4
        .value_kind:     by_value
      - .offset:         180
        .size:           4
        .value_kind:     by_value
      - .offset:         184
        .size:           4
        .value_kind:     by_value
      - .offset:         188
        .size:           4
        .value_kind:     by_value
      - .offset:         192
        .size:           4
        .value_kind:     by_value
      - .offset:         200
        .size:           8
        .value_kind:     by_value
      - .offset:         208
        .size:           4
        .value_kind:     hidden_block_count_x
      - .offset:         212
        .size:           4
        .value_kind:     hidden_block_count_y
      - .offset:         216
        .size:           4
        .value_kind:     hidden_block_count_z
      - .offset:         220
        .size:           2
        .value_kind:     hidden_group_size_x
      - .offset:         222
        .size:           2
        .value_kind:     hidden_group_size_y
      - .offset:         224
        .size:           2
        .value_kind:     hidden_group_size_z
      - .offset:         226
        .size:           2
        .value_kind:     hidden_remainder_x
      - .offset:         228
        .size:           2
        .value_kind:     hidden_remainder_y
      - .offset:         230
        .size:           2
        .value_kind:     hidden_remainder_z
      - .offset:         248
        .size:           8
        .value_kind:     hidden_global_offset_x
      - .offset:         256
        .size:           8
        .value_kind:     hidden_global_offset_y
      - .offset:         264
        .size:           8
        .value_kind:     hidden_global_offset_z
      - .offset:         272
        .size:           2
        .value_kind:     hidden_grid_dims
    .group_segment_fixed_size: 34816
    .kernarg_segment_align: 8
    .kernarg_segment_size: 464
    .language:       OpenCL C
    .language_version:
      - 2
      - 0
    .max_flat_workgroup_size: 256
    .name:           _ZL15flash_attn_tileILi128ELi128ELi16ELi2ELb1EEvPKcS1_S1_S1_S1_PKiPfP15HIP_vector_typeIfLj2EEffffjfiS5_IjLj3EEiiiiiiiiiiiliiliiiiil
    .private_segment_fixed_size: 0
    .sgpr_count:     46
    .sgpr_spill_count: 0
    .symbol:         _ZL15flash_attn_tileILi128ELi128ELi16ELi2ELb1EEvPKcS1_S1_S1_S1_PKiPfP15HIP_vector_typeIfLj2EEffffjfiS5_IjLj3EEiiiiiiiiiiiliiliiiiil.kd
    .uniform_work_group_size: 1
    .uses_dynamic_stack: false
    .vgpr_count:     175
    .vgpr_spill_count: 0
    .wavefront_size: 32
    .workgroup_processor_mode: 1
  - .args:
      - .address_space:  global
        .offset:         0
        .size:           8
        .value_kind:     global_buffer
      - .address_space:  global
        .offset:         8
        .size:           8
        .value_kind:     global_buffer
      - .address_space:  global
        .offset:         16
        .size:           8
        .value_kind:     global_buffer
      - .address_space:  global
        .offset:         24
        .size:           8
        .value_kind:     global_buffer
      - .address_space:  global
        .offset:         32
        .size:           8
        .value_kind:     global_buffer
      - .address_space:  global
        .offset:         40
        .size:           8
        .value_kind:     global_buffer
      - .address_space:  global
        .offset:         48
        .size:           8
        .value_kind:     global_buffer
      - .address_space:  global
        .offset:         56
        .size:           8
        .value_kind:     global_buffer
      - .offset:         64
        .size:           4
        .value_kind:     by_value
      - .offset:         68
        .size:           4
        .value_kind:     by_value
      - .offset:         72
        .size:           4
        .value_kind:     by_value
      - .offset:         76
        .size:           4
        .value_kind:     by_value
      - .offset:         80
        .size:           4
        .value_kind:     by_value
      - .offset:         84
        .size:           4
        .value_kind:     by_value
      - .offset:         88
        .size:           4
        .value_kind:     by_value
      - .offset:         92
        .size:           12
        .value_kind:     by_value
      - .offset:         104
        .size:           4
        .value_kind:     by_value
      - .offset:         108
        .size:           4
        .value_kind:     by_value
      - .offset:         112
        .size:           4
        .value_kind:     by_value
      - .offset:         116
        .size:           4
        .value_kind:     by_value
      - .offset:         120
        .size:           4
        .value_kind:     by_value
      - .offset:         124
        .size:           4
        .value_kind:     by_value
      - .offset:         128
        .size:           4
        .value_kind:     by_value
      - .offset:         132
        .size:           4
        .value_kind:     by_value
      - .offset:         136
        .size:           4
        .value_kind:     by_value
      - .offset:         140
        .size:           4
        .value_kind:     by_value
      - .offset:         144
        .size:           4
        .value_kind:     by_value
      - .offset:         152
        .size:           8
        .value_kind:     by_value
      - .offset:         160
        .size:           4
        .value_kind:     by_value
      - .offset:         164
        .size:           4
        .value_kind:     by_value
      - .offset:         168
        .size:           8
        .value_kind:     by_value
      - .offset:         176
        .size:           4
        .value_kind:     by_value
      - .offset:         180
        .size:           4
        .value_kind:     by_value
      - .offset:         184
        .size:           4
        .value_kind:     by_value
      - .offset:         188
        .size:           4
        .value_kind:     by_value
      - .offset:         192
        .size:           4
        .value_kind:     by_value
      - .offset:         200
        .size:           8
        .value_kind:     by_value
      - .offset:         208
        .size:           4
        .value_kind:     hidden_block_count_x
      - .offset:         212
        .size:           4
        .value_kind:     hidden_block_count_y
      - .offset:         216
        .size:           4
        .value_kind:     hidden_block_count_z
      - .offset:         220
        .size:           2
        .value_kind:     hidden_group_size_x
      - .offset:         222
        .size:           2
        .value_kind:     hidden_group_size_y
      - .offset:         224
        .size:           2
        .value_kind:     hidden_group_size_z
      - .offset:         226
        .size:           2
        .value_kind:     hidden_remainder_x
      - .offset:         228
        .size:           2
        .value_kind:     hidden_remainder_y
      - .offset:         230
        .size:           2
        .value_kind:     hidden_remainder_z
      - .offset:         248
        .size:           8
        .value_kind:     hidden_global_offset_x
      - .offset:         256
        .size:           8
        .value_kind:     hidden_global_offset_y
      - .offset:         264
        .size:           8
        .value_kind:     hidden_global_offset_z
      - .offset:         272
        .size:           2
        .value_kind:     hidden_grid_dims
    .group_segment_fixed_size: 43008
    .kernarg_segment_align: 8
    .kernarg_segment_size: 464
    .language:       OpenCL C
    .language_version:
      - 2
      - 0
    .max_flat_workgroup_size: 256
    .name:           _ZL15flash_attn_tileILi128ELi128ELi8ELi2ELb1EEvPKcS1_S1_S1_S1_PKiPfP15HIP_vector_typeIfLj2EEffffjfiS5_IjLj3EEiiiiiiiiiiiliiliiiiil
    .private_segment_fixed_size: 0
    .sgpr_count:     44
    .sgpr_spill_count: 0
    .symbol:         _ZL15flash_attn_tileILi128ELi128ELi8ELi2ELb1EEvPKcS1_S1_S1_S1_PKiPfP15HIP_vector_typeIfLj2EEffffjfiS5_IjLj3EEiiiiiiiiiiiliiliiiiil.kd
    .uniform_work_group_size: 1
    .uses_dynamic_stack: false
    .vgpr_count:     162
    .vgpr_spill_count: 0
    .wavefront_size: 32
    .workgroup_processor_mode: 1
  - .args:
      - .address_space:  global
        .offset:         0
        .size:           8
        .value_kind:     global_buffer
      - .address_space:  global
        .offset:         8
        .size:           8
        .value_kind:     global_buffer
      - .address_space:  global
        .offset:         16
        .size:           8
        .value_kind:     global_buffer
      - .address_space:  global
        .offset:         24
        .size:           8
        .value_kind:     global_buffer
      - .address_space:  global
        .offset:         32
        .size:           8
        .value_kind:     global_buffer
      - .address_space:  global
        .offset:         40
        .size:           8
        .value_kind:     global_buffer
      - .address_space:  global
        .offset:         48
        .size:           8
        .value_kind:     global_buffer
      - .address_space:  global
        .offset:         56
        .size:           8
        .value_kind:     global_buffer
      - .offset:         64
        .size:           4
        .value_kind:     by_value
      - .offset:         68
        .size:           4
        .value_kind:     by_value
      - .offset:         72
        .size:           4
        .value_kind:     by_value
      - .offset:         76
        .size:           4
        .value_kind:     by_value
      - .offset:         80
        .size:           4
        .value_kind:     by_value
      - .offset:         84
        .size:           4
        .value_kind:     by_value
      - .offset:         88
        .size:           4
        .value_kind:     by_value
      - .offset:         92
        .size:           12
        .value_kind:     by_value
      - .offset:         104
        .size:           4
        .value_kind:     by_value
      - .offset:         108
        .size:           4
        .value_kind:     by_value
      - .offset:         112
        .size:           4
        .value_kind:     by_value
      - .offset:         116
        .size:           4
        .value_kind:     by_value
      - .offset:         120
        .size:           4
        .value_kind:     by_value
      - .offset:         124
        .size:           4
        .value_kind:     by_value
      - .offset:         128
        .size:           4
        .value_kind:     by_value
      - .offset:         132
        .size:           4
        .value_kind:     by_value
      - .offset:         136
        .size:           4
        .value_kind:     by_value
      - .offset:         140
        .size:           4
        .value_kind:     by_value
      - .offset:         144
        .size:           4
        .value_kind:     by_value
      - .offset:         152
        .size:           8
        .value_kind:     by_value
      - .offset:         160
        .size:           4
        .value_kind:     by_value
      - .offset:         164
        .size:           4
        .value_kind:     by_value
      - .offset:         168
        .size:           8
        .value_kind:     by_value
      - .offset:         176
        .size:           4
        .value_kind:     by_value
      - .offset:         180
        .size:           4
        .value_kind:     by_value
      - .offset:         184
        .size:           4
        .value_kind:     by_value
      - .offset:         188
        .size:           4
        .value_kind:     by_value
      - .offset:         192
        .size:           4
        .value_kind:     by_value
      - .offset:         200
        .size:           8
        .value_kind:     by_value
      - .offset:         208
        .size:           4
        .value_kind:     hidden_block_count_x
      - .offset:         212
        .size:           4
        .value_kind:     hidden_block_count_y
      - .offset:         216
        .size:           4
        .value_kind:     hidden_block_count_z
      - .offset:         220
        .size:           2
        .value_kind:     hidden_group_size_x
      - .offset:         222
        .size:           2
        .value_kind:     hidden_group_size_y
      - .offset:         224
        .size:           2
        .value_kind:     hidden_group_size_z
      - .offset:         226
        .size:           2
        .value_kind:     hidden_remainder_x
      - .offset:         228
        .size:           2
        .value_kind:     hidden_remainder_y
      - .offset:         230
        .size:           2
        .value_kind:     hidden_remainder_z
      - .offset:         248
        .size:           8
        .value_kind:     hidden_global_offset_x
      - .offset:         256
        .size:           8
        .value_kind:     hidden_global_offset_y
      - .offset:         264
        .size:           8
        .value_kind:     hidden_global_offset_z
      - .offset:         272
        .size:           2
        .value_kind:     hidden_grid_dims
    .group_segment_fixed_size: 12288
    .kernarg_segment_align: 8
    .kernarg_segment_size: 464
    .language:       OpenCL C
    .language_version:
      - 2
      - 0
    .max_flat_workgroup_size: 128
    .name:           _ZL15flash_attn_tileILi128ELi128ELi4ELi2ELb1EEvPKcS1_S1_S1_S1_PKiPfP15HIP_vector_typeIfLj2EEffffjfiS5_IjLj3EEiiiiiiiiiiiliiliiiiil
    .private_segment_fixed_size: 0
    .sgpr_count:     44
    .sgpr_spill_count: 0
    .symbol:         _ZL15flash_attn_tileILi128ELi128ELi4ELi2ELb1EEvPKcS1_S1_S1_S1_PKiPfP15HIP_vector_typeIfLj2EEffffjfiS5_IjLj3EEiiiiiiiiiiiliiliiiiil.kd
    .uniform_work_group_size: 1
    .uses_dynamic_stack: false
    .vgpr_count:     191
    .vgpr_spill_count: 0
    .wavefront_size: 32
    .workgroup_processor_mode: 1
  - .args:
      - .address_space:  global
        .offset:         0
        .size:           8
        .value_kind:     global_buffer
      - .address_space:  global
        .offset:         8
        .size:           8
        .value_kind:     global_buffer
      - .address_space:  global
        .offset:         16
        .size:           8
        .value_kind:     global_buffer
      - .address_space:  global
        .offset:         24
        .size:           8
        .value_kind:     global_buffer
      - .address_space:  global
        .offset:         32
        .size:           8
        .value_kind:     global_buffer
      - .address_space:  global
        .offset:         40
        .size:           8
        .value_kind:     global_buffer
      - .address_space:  global
        .offset:         48
        .size:           8
        .value_kind:     global_buffer
      - .address_space:  global
        .offset:         56
        .size:           8
        .value_kind:     global_buffer
      - .offset:         64
        .size:           4
        .value_kind:     by_value
      - .offset:         68
        .size:           4
        .value_kind:     by_value
      - .offset:         72
        .size:           4
        .value_kind:     by_value
      - .offset:         76
        .size:           4
        .value_kind:     by_value
      - .offset:         80
        .size:           4
        .value_kind:     by_value
      - .offset:         84
        .size:           4
        .value_kind:     by_value
      - .offset:         88
        .size:           4
        .value_kind:     by_value
      - .offset:         92
        .size:           12
        .value_kind:     by_value
      - .offset:         104
        .size:           4
        .value_kind:     by_value
      - .offset:         108
        .size:           4
        .value_kind:     by_value
      - .offset:         112
        .size:           4
        .value_kind:     by_value
      - .offset:         116
        .size:           4
        .value_kind:     by_value
      - .offset:         120
        .size:           4
        .value_kind:     by_value
      - .offset:         124
        .size:           4
        .value_kind:     by_value
      - .offset:         128
        .size:           4
        .value_kind:     by_value
      - .offset:         132
        .size:           4
        .value_kind:     by_value
      - .offset:         136
        .size:           4
        .value_kind:     by_value
      - .offset:         140
        .size:           4
        .value_kind:     by_value
      - .offset:         144
        .size:           4
        .value_kind:     by_value
      - .offset:         152
        .size:           8
        .value_kind:     by_value
      - .offset:         160
        .size:           4
        .value_kind:     by_value
      - .offset:         164
        .size:           4
        .value_kind:     by_value
      - .offset:         168
        .size:           8
        .value_kind:     by_value
      - .offset:         176
        .size:           4
        .value_kind:     by_value
      - .offset:         180
        .size:           4
        .value_kind:     by_value
      - .offset:         184
        .size:           4
        .value_kind:     by_value
      - .offset:         188
        .size:           4
        .value_kind:     by_value
      - .offset:         192
        .size:           4
        .value_kind:     by_value
      - .offset:         200
        .size:           8
        .value_kind:     by_value
      - .offset:         208
        .size:           4
        .value_kind:     hidden_block_count_x
      - .offset:         212
        .size:           4
        .value_kind:     hidden_block_count_y
      - .offset:         216
        .size:           4
        .value_kind:     hidden_block_count_z
      - .offset:         220
        .size:           2
        .value_kind:     hidden_group_size_x
      - .offset:         222
        .size:           2
        .value_kind:     hidden_group_size_y
      - .offset:         224
        .size:           2
        .value_kind:     hidden_group_size_z
      - .offset:         226
        .size:           2
        .value_kind:     hidden_remainder_x
      - .offset:         228
        .size:           2
        .value_kind:     hidden_remainder_y
      - .offset:         230
        .size:           2
        .value_kind:     hidden_remainder_z
      - .offset:         248
        .size:           8
        .value_kind:     hidden_global_offset_x
      - .offset:         256
        .size:           8
        .value_kind:     hidden_global_offset_y
      - .offset:         264
        .size:           8
        .value_kind:     hidden_global_offset_z
      - .offset:         272
        .size:           2
        .value_kind:     hidden_grid_dims
    .group_segment_fixed_size: 10752
    .kernarg_segment_align: 8
    .kernarg_segment_size: 464
    .language:       OpenCL C
    .language_version:
      - 2
      - 0
    .max_flat_workgroup_size: 128
    .name:           _ZL15flash_attn_tileILi128ELi128ELi2ELi2ELb1EEvPKcS1_S1_S1_S1_PKiPfP15HIP_vector_typeIfLj2EEffffjfiS5_IjLj3EEiiiiiiiiiiiliiliiiiil
    .private_segment_fixed_size: 0
    .sgpr_count:     45
    .sgpr_spill_count: 0
    .symbol:         _ZL15flash_attn_tileILi128ELi128ELi2ELi2ELb1EEvPKcS1_S1_S1_S1_PKiPfP15HIP_vector_typeIfLj2EEffffjfiS5_IjLj3EEiiiiiiiiiiiliiliiiiil.kd
    .uniform_work_group_size: 1
    .uses_dynamic_stack: false
    .vgpr_count:     152
    .vgpr_spill_count: 0
    .wavefront_size: 32
    .workgroup_processor_mode: 1
  - .args:
      - .address_space:  global
        .offset:         0
        .size:           8
        .value_kind:     global_buffer
      - .address_space:  global
        .offset:         8
        .size:           8
        .value_kind:     global_buffer
      - .address_space:  global
        .offset:         16
        .size:           8
        .value_kind:     global_buffer
      - .address_space:  global
        .offset:         24
        .size:           8
        .value_kind:     global_buffer
      - .address_space:  global
        .offset:         32
        .size:           8
        .value_kind:     global_buffer
      - .address_space:  global
        .offset:         40
        .size:           8
        .value_kind:     global_buffer
      - .address_space:  global
        .offset:         48
        .size:           8
        .value_kind:     global_buffer
      - .address_space:  global
        .offset:         56
        .size:           8
        .value_kind:     global_buffer
      - .offset:         64
        .size:           4
        .value_kind:     by_value
      - .offset:         68
        .size:           4
        .value_kind:     by_value
      - .offset:         72
        .size:           4
        .value_kind:     by_value
      - .offset:         76
        .size:           4
        .value_kind:     by_value
      - .offset:         80
        .size:           4
        .value_kind:     by_value
      - .offset:         84
        .size:           4
        .value_kind:     by_value
      - .offset:         88
        .size:           4
        .value_kind:     by_value
      - .offset:         92
        .size:           12
        .value_kind:     by_value
      - .offset:         104
        .size:           4
        .value_kind:     by_value
      - .offset:         108
        .size:           4
        .value_kind:     by_value
      - .offset:         112
        .size:           4
        .value_kind:     by_value
      - .offset:         116
        .size:           4
        .value_kind:     by_value
      - .offset:         120
        .size:           4
        .value_kind:     by_value
      - .offset:         124
        .size:           4
        .value_kind:     by_value
      - .offset:         128
        .size:           4
        .value_kind:     by_value
      - .offset:         132
        .size:           4
        .value_kind:     by_value
      - .offset:         136
        .size:           4
        .value_kind:     by_value
      - .offset:         140
        .size:           4
        .value_kind:     by_value
      - .offset:         144
        .size:           4
        .value_kind:     by_value
      - .offset:         152
        .size:           8
        .value_kind:     by_value
      - .offset:         160
        .size:           4
        .value_kind:     by_value
      - .offset:         164
        .size:           4
        .value_kind:     by_value
      - .offset:         168
        .size:           8
        .value_kind:     by_value
      - .offset:         176
        .size:           4
        .value_kind:     by_value
      - .offset:         180
        .size:           4
        .value_kind:     by_value
      - .offset:         184
        .size:           4
        .value_kind:     by_value
      - .offset:         188
        .size:           4
        .value_kind:     by_value
      - .offset:         192
        .size:           4
        .value_kind:     by_value
      - .offset:         200
        .size:           8
        .value_kind:     by_value
      - .offset:         208
        .size:           4
        .value_kind:     hidden_block_count_x
      - .offset:         212
        .size:           4
        .value_kind:     hidden_block_count_y
      - .offset:         216
        .size:           4
        .value_kind:     hidden_block_count_z
      - .offset:         220
        .size:           2
        .value_kind:     hidden_group_size_x
      - .offset:         222
        .size:           2
        .value_kind:     hidden_group_size_y
      - .offset:         224
        .size:           2
        .value_kind:     hidden_group_size_z
      - .offset:         226
        .size:           2
        .value_kind:     hidden_remainder_x
      - .offset:         228
        .size:           2
        .value_kind:     hidden_remainder_y
      - .offset:         230
        .size:           2
        .value_kind:     hidden_remainder_z
      - .offset:         248
        .size:           8
        .value_kind:     hidden_global_offset_x
      - .offset:         256
        .size:           8
        .value_kind:     hidden_global_offset_y
      - .offset:         264
        .size:           8
        .value_kind:     hidden_global_offset_z
      - .offset:         272
        .size:           2
        .value_kind:     hidden_grid_dims
    .group_segment_fixed_size: 5248
    .kernarg_segment_align: 8
    .kernarg_segment_size: 464
    .language:       OpenCL C
    .language_version:
      - 2
      - 0
    .max_flat_workgroup_size: 64
    .name:           _ZL15flash_attn_tileILi128ELi128ELi1ELi2ELb1EEvPKcS1_S1_S1_S1_PKiPfP15HIP_vector_typeIfLj2EEffffjfiS5_IjLj3EEiiiiiiiiiiiliiliiiiil
    .private_segment_fixed_size: 0
    .sgpr_count:     45
    .sgpr_spill_count: 0
    .symbol:         _ZL15flash_attn_tileILi128ELi128ELi1ELi2ELb1EEvPKcS1_S1_S1_S1_PKiPfP15HIP_vector_typeIfLj2EEffffjfiS5_IjLj3EEiiiiiiiiiiiliiliiiiil.kd
    .uniform_work_group_size: 1
    .uses_dynamic_stack: false
    .vgpr_count:     109
    .vgpr_spill_count: 0
    .wavefront_size: 32
    .workgroup_processor_mode: 1
  - .args:
      - .address_space:  global
        .offset:         0
        .size:           8
        .value_kind:     global_buffer
      - .address_space:  global
        .offset:         8
        .size:           8
        .value_kind:     global_buffer
      - .address_space:  global
        .offset:         16
        .size:           8
        .value_kind:     global_buffer
      - .address_space:  global
        .offset:         24
        .size:           8
        .value_kind:     global_buffer
      - .address_space:  global
        .offset:         32
        .size:           8
        .value_kind:     global_buffer
      - .address_space:  global
        .offset:         40
        .size:           8
        .value_kind:     global_buffer
      - .address_space:  global
        .offset:         48
        .size:           8
        .value_kind:     global_buffer
      - .address_space:  global
        .offset:         56
        .size:           8
        .value_kind:     global_buffer
      - .offset:         64
        .size:           4
        .value_kind:     by_value
      - .offset:         68
        .size:           4
        .value_kind:     by_value
      - .offset:         72
        .size:           4
        .value_kind:     by_value
      - .offset:         76
        .size:           4
        .value_kind:     by_value
      - .offset:         80
        .size:           4
        .value_kind:     by_value
      - .offset:         84
        .size:           4
        .value_kind:     by_value
      - .offset:         88
        .size:           4
        .value_kind:     by_value
      - .offset:         92
        .size:           12
        .value_kind:     by_value
      - .offset:         104
        .size:           4
        .value_kind:     by_value
      - .offset:         108
        .size:           4
        .value_kind:     by_value
      - .offset:         112
        .size:           4
        .value_kind:     by_value
      - .offset:         116
        .size:           4
        .value_kind:     by_value
      - .offset:         120
        .size:           4
        .value_kind:     by_value
      - .offset:         124
        .size:           4
        .value_kind:     by_value
      - .offset:         128
        .size:           4
        .value_kind:     by_value
      - .offset:         132
        .size:           4
        .value_kind:     by_value
      - .offset:         136
        .size:           4
        .value_kind:     by_value
      - .offset:         140
        .size:           4
        .value_kind:     by_value
      - .offset:         144
        .size:           4
        .value_kind:     by_value
      - .offset:         152
        .size:           8
        .value_kind:     by_value
      - .offset:         160
        .size:           4
        .value_kind:     by_value
      - .offset:         164
        .size:           4
        .value_kind:     by_value
      - .offset:         168
        .size:           8
        .value_kind:     by_value
      - .offset:         176
        .size:           4
        .value_kind:     by_value
      - .offset:         180
        .size:           4
        .value_kind:     by_value
      - .offset:         184
        .size:           4
        .value_kind:     by_value
      - .offset:         188
        .size:           4
        .value_kind:     by_value
      - .offset:         192
        .size:           4
        .value_kind:     by_value
      - .offset:         200
        .size:           8
        .value_kind:     by_value
      - .offset:         208
        .size:           4
        .value_kind:     hidden_block_count_x
      - .offset:         212
        .size:           4
        .value_kind:     hidden_block_count_y
      - .offset:         216
        .size:           4
        .value_kind:     hidden_block_count_z
      - .offset:         220
        .size:           2
        .value_kind:     hidden_group_size_x
      - .offset:         222
        .size:           2
        .value_kind:     hidden_group_size_y
      - .offset:         224
        .size:           2
        .value_kind:     hidden_group_size_z
      - .offset:         226
        .size:           2
        .value_kind:     hidden_remainder_x
      - .offset:         228
        .size:           2
        .value_kind:     hidden_remainder_y
      - .offset:         230
        .size:           2
        .value_kind:     hidden_remainder_z
      - .offset:         248
        .size:           8
        .value_kind:     hidden_global_offset_x
      - .offset:         256
        .size:           8
        .value_kind:     hidden_global_offset_y
      - .offset:         264
        .size:           8
        .value_kind:     hidden_global_offset_z
      - .offset:         272
        .size:           2
        .value_kind:     hidden_grid_dims
    .group_segment_fixed_size: 33792
    .kernarg_segment_align: 8
    .kernarg_segment_size: 464
    .language:       OpenCL C
    .language_version:
      - 2
      - 0
    .max_flat_workgroup_size: 256
    .name:           _ZL15flash_attn_tileILi128ELi128ELi64ELi1ELb1EEvPKcS1_S1_S1_S1_PKiPfP15HIP_vector_typeIfLj2EEffffjfiS5_IjLj3EEiiiiiiiiiiiliiliiiiil
    .private_segment_fixed_size: 32
    .sgpr_count:     50
    .sgpr_spill_count: 0
    .symbol:         _ZL15flash_attn_tileILi128ELi128ELi64ELi1ELb1EEvPKcS1_S1_S1_S1_PKiPfP15HIP_vector_typeIfLj2EEffffjfiS5_IjLj3EEiiiiiiiiiiiliiliiiiil.kd
    .uniform_work_group_size: 1
    .uses_dynamic_stack: false
    .vgpr_count:     179
    .vgpr_spill_count: 0
    .wavefront_size: 32
    .workgroup_processor_mode: 1
  - .args:
      - .address_space:  global
        .offset:         0
        .size:           8
        .value_kind:     global_buffer
      - .address_space:  global
        .offset:         8
        .size:           8
        .value_kind:     global_buffer
      - .address_space:  global
        .offset:         16
        .size:           8
        .value_kind:     global_buffer
      - .address_space:  global
        .offset:         24
        .size:           8
        .value_kind:     global_buffer
      - .address_space:  global
        .offset:         32
        .size:           8
        .value_kind:     global_buffer
      - .address_space:  global
        .offset:         40
        .size:           8
        .value_kind:     global_buffer
      - .address_space:  global
        .offset:         48
        .size:           8
        .value_kind:     global_buffer
      - .address_space:  global
        .offset:         56
        .size:           8
        .value_kind:     global_buffer
      - .offset:         64
        .size:           4
        .value_kind:     by_value
      - .offset:         68
        .size:           4
        .value_kind:     by_value
      - .offset:         72
        .size:           4
        .value_kind:     by_value
      - .offset:         76
        .size:           4
        .value_kind:     by_value
      - .offset:         80
        .size:           4
        .value_kind:     by_value
      - .offset:         84
        .size:           4
        .value_kind:     by_value
      - .offset:         88
        .size:           4
        .value_kind:     by_value
      - .offset:         92
        .size:           12
        .value_kind:     by_value
      - .offset:         104
        .size:           4
        .value_kind:     by_value
      - .offset:         108
        .size:           4
        .value_kind:     by_value
      - .offset:         112
        .size:           4
        .value_kind:     by_value
      - .offset:         116
        .size:           4
        .value_kind:     by_value
      - .offset:         120
        .size:           4
        .value_kind:     by_value
      - .offset:         124
        .size:           4
        .value_kind:     by_value
      - .offset:         128
        .size:           4
        .value_kind:     by_value
      - .offset:         132
        .size:           4
        .value_kind:     by_value
      - .offset:         136
        .size:           4
        .value_kind:     by_value
      - .offset:         140
        .size:           4
        .value_kind:     by_value
      - .offset:         144
        .size:           4
        .value_kind:     by_value
      - .offset:         152
        .size:           8
        .value_kind:     by_value
      - .offset:         160
        .size:           4
        .value_kind:     by_value
      - .offset:         164
        .size:           4
        .value_kind:     by_value
      - .offset:         168
        .size:           8
        .value_kind:     by_value
      - .offset:         176
        .size:           4
        .value_kind:     by_value
      - .offset:         180
        .size:           4
        .value_kind:     by_value
      - .offset:         184
        .size:           4
        .value_kind:     by_value
      - .offset:         188
        .size:           4
        .value_kind:     by_value
      - .offset:         192
        .size:           4
        .value_kind:     by_value
      - .offset:         200
        .size:           8
        .value_kind:     by_value
      - .offset:         208
        .size:           4
        .value_kind:     hidden_block_count_x
      - .offset:         212
        .size:           4
        .value_kind:     hidden_block_count_y
      - .offset:         216
        .size:           4
        .value_kind:     hidden_block_count_z
      - .offset:         220
        .size:           2
        .value_kind:     hidden_group_size_x
      - .offset:         222
        .size:           2
        .value_kind:     hidden_group_size_y
      - .offset:         224
        .size:           2
        .value_kind:     hidden_group_size_z
      - .offset:         226
        .size:           2
        .value_kind:     hidden_remainder_x
      - .offset:         228
        .size:           2
        .value_kind:     hidden_remainder_y
      - .offset:         230
        .size:           2
        .value_kind:     hidden_remainder_z
      - .offset:         248
        .size:           8
        .value_kind:     hidden_global_offset_x
      - .offset:         256
        .size:           8
        .value_kind:     hidden_global_offset_y
      - .offset:         264
        .size:           8
        .value_kind:     hidden_global_offset_z
      - .offset:         272
        .size:           2
        .value_kind:     hidden_grid_dims
    .group_segment_fixed_size: 34816
    .kernarg_segment_align: 8
    .kernarg_segment_size: 464
    .language:       OpenCL C
    .language_version:
      - 2
      - 0
    .max_flat_workgroup_size: 256
    .name:           _ZL15flash_attn_tileILi128ELi128ELi32ELi1ELb1EEvPKcS1_S1_S1_S1_PKiPfP15HIP_vector_typeIfLj2EEffffjfiS5_IjLj3EEiiiiiiiiiiiliiliiiiil
    .private_segment_fixed_size: 32
    .sgpr_count:     50
    .sgpr_spill_count: 0
    .symbol:         _ZL15flash_attn_tileILi128ELi128ELi32ELi1ELb1EEvPKcS1_S1_S1_S1_PKiPfP15HIP_vector_typeIfLj2EEffffjfiS5_IjLj3EEiiiiiiiiiiiliiliiiiil.kd
    .uniform_work_group_size: 1
    .uses_dynamic_stack: false
    .vgpr_count:     185
    .vgpr_spill_count: 0
    .wavefront_size: 32
    .workgroup_processor_mode: 1
  - .args:
      - .address_space:  global
        .offset:         0
        .size:           8
        .value_kind:     global_buffer
      - .address_space:  global
        .offset:         8
        .size:           8
        .value_kind:     global_buffer
      - .address_space:  global
        .offset:         16
        .size:           8
        .value_kind:     global_buffer
      - .address_space:  global
        .offset:         24
        .size:           8
        .value_kind:     global_buffer
      - .address_space:  global
        .offset:         32
        .size:           8
        .value_kind:     global_buffer
      - .address_space:  global
        .offset:         40
        .size:           8
        .value_kind:     global_buffer
      - .address_space:  global
        .offset:         48
        .size:           8
        .value_kind:     global_buffer
      - .address_space:  global
        .offset:         56
        .size:           8
        .value_kind:     global_buffer
      - .offset:         64
        .size:           4
        .value_kind:     by_value
      - .offset:         68
        .size:           4
        .value_kind:     by_value
      - .offset:         72
        .size:           4
        .value_kind:     by_value
      - .offset:         76
        .size:           4
        .value_kind:     by_value
      - .offset:         80
        .size:           4
        .value_kind:     by_value
      - .offset:         84
        .size:           4
        .value_kind:     by_value
      - .offset:         88
        .size:           4
        .value_kind:     by_value
      - .offset:         92
        .size:           12
        .value_kind:     by_value
      - .offset:         104
        .size:           4
        .value_kind:     by_value
      - .offset:         108
        .size:           4
        .value_kind:     by_value
      - .offset:         112
        .size:           4
        .value_kind:     by_value
      - .offset:         116
        .size:           4
        .value_kind:     by_value
      - .offset:         120
        .size:           4
        .value_kind:     by_value
      - .offset:         124
        .size:           4
        .value_kind:     by_value
      - .offset:         128
        .size:           4
        .value_kind:     by_value
      - .offset:         132
        .size:           4
        .value_kind:     by_value
      - .offset:         136
        .size:           4
        .value_kind:     by_value
      - .offset:         140
        .size:           4
        .value_kind:     by_value
      - .offset:         144
        .size:           4
        .value_kind:     by_value
      - .offset:         152
        .size:           8
        .value_kind:     by_value
      - .offset:         160
        .size:           4
        .value_kind:     by_value
      - .offset:         164
        .size:           4
        .value_kind:     by_value
      - .offset:         168
        .size:           8
        .value_kind:     by_value
      - .offset:         176
        .size:           4
        .value_kind:     by_value
      - .offset:         180
        .size:           4
        .value_kind:     by_value
      - .offset:         184
        .size:           4
        .value_kind:     by_value
      - .offset:         188
        .size:           4
        .value_kind:     by_value
      - .offset:         192
        .size:           4
        .value_kind:     by_value
      - .offset:         200
        .size:           8
        .value_kind:     by_value
      - .offset:         208
        .size:           4
        .value_kind:     hidden_block_count_x
      - .offset:         212
        .size:           4
        .value_kind:     hidden_block_count_y
      - .offset:         216
        .size:           4
        .value_kind:     hidden_block_count_z
      - .offset:         220
        .size:           2
        .value_kind:     hidden_group_size_x
      - .offset:         222
        .size:           2
        .value_kind:     hidden_group_size_y
      - .offset:         224
        .size:           2
        .value_kind:     hidden_group_size_z
      - .offset:         226
        .size:           2
        .value_kind:     hidden_remainder_x
      - .offset:         228
        .size:           2
        .value_kind:     hidden_remainder_y
      - .offset:         230
        .size:           2
        .value_kind:     hidden_remainder_z
      - .offset:         248
        .size:           8
        .value_kind:     hidden_global_offset_x
      - .offset:         256
        .size:           8
        .value_kind:     hidden_global_offset_y
      - .offset:         264
        .size:           8
        .value_kind:     hidden_global_offset_z
      - .offset:         272
        .size:           2
        .value_kind:     hidden_grid_dims
    .group_segment_fixed_size: 43008
    .kernarg_segment_align: 8
    .kernarg_segment_size: 464
    .language:       OpenCL C
    .language_version:
      - 2
      - 0
    .max_flat_workgroup_size: 256
    .name:           _ZL15flash_attn_tileILi128ELi128ELi16ELi1ELb1EEvPKcS1_S1_S1_S1_PKiPfP15HIP_vector_typeIfLj2EEffffjfiS5_IjLj3EEiiiiiiiiiiiliiliiiiil
    .private_segment_fixed_size: 144
    .sgpr_count:     50
    .sgpr_spill_count: 0
    .symbol:         _ZL15flash_attn_tileILi128ELi128ELi16ELi1ELb1EEvPKcS1_S1_S1_S1_PKiPfP15HIP_vector_typeIfLj2EEffffjfiS5_IjLj3EEiiiiiiiiiiiliiliiiiil.kd
    .uniform_work_group_size: 1
    .uses_dynamic_stack: false
    .vgpr_count:     256
    .vgpr_spill_count: 30
    .wavefront_size: 32
    .workgroup_processor_mode: 1
  - .args:
      - .address_space:  global
        .offset:         0
        .size:           8
        .value_kind:     global_buffer
      - .address_space:  global
        .offset:         8
        .size:           8
        .value_kind:     global_buffer
      - .address_space:  global
        .offset:         16
        .size:           8
        .value_kind:     global_buffer
      - .address_space:  global
        .offset:         24
        .size:           8
        .value_kind:     global_buffer
      - .address_space:  global
        .offset:         32
        .size:           8
        .value_kind:     global_buffer
      - .address_space:  global
        .offset:         40
        .size:           8
        .value_kind:     global_buffer
      - .address_space:  global
        .offset:         48
        .size:           8
        .value_kind:     global_buffer
      - .address_space:  global
        .offset:         56
        .size:           8
        .value_kind:     global_buffer
      - .offset:         64
        .size:           4
        .value_kind:     by_value
      - .offset:         68
        .size:           4
        .value_kind:     by_value
      - .offset:         72
        .size:           4
        .value_kind:     by_value
      - .offset:         76
        .size:           4
        .value_kind:     by_value
      - .offset:         80
        .size:           4
        .value_kind:     by_value
      - .offset:         84
        .size:           4
        .value_kind:     by_value
      - .offset:         88
        .size:           4
        .value_kind:     by_value
      - .offset:         92
        .size:           12
        .value_kind:     by_value
      - .offset:         104
        .size:           4
        .value_kind:     by_value
      - .offset:         108
        .size:           4
        .value_kind:     by_value
      - .offset:         112
        .size:           4
        .value_kind:     by_value
      - .offset:         116
        .size:           4
        .value_kind:     by_value
      - .offset:         120
        .size:           4
        .value_kind:     by_value
      - .offset:         124
        .size:           4
        .value_kind:     by_value
      - .offset:         128
        .size:           4
        .value_kind:     by_value
      - .offset:         132
        .size:           4
        .value_kind:     by_value
      - .offset:         136
        .size:           4
        .value_kind:     by_value
      - .offset:         140
        .size:           4
        .value_kind:     by_value
      - .offset:         144
        .size:           4
        .value_kind:     by_value
      - .offset:         152
        .size:           8
        .value_kind:     by_value
      - .offset:         160
        .size:           4
        .value_kind:     by_value
      - .offset:         164
        .size:           4
        .value_kind:     by_value
      - .offset:         168
        .size:           8
        .value_kind:     by_value
      - .offset:         176
        .size:           4
        .value_kind:     by_value
      - .offset:         180
        .size:           4
        .value_kind:     by_value
      - .offset:         184
        .size:           4
        .value_kind:     by_value
      - .offset:         188
        .size:           4
        .value_kind:     by_value
      - .offset:         192
        .size:           4
        .value_kind:     by_value
      - .offset:         200
        .size:           8
        .value_kind:     by_value
      - .offset:         208
        .size:           4
        .value_kind:     hidden_block_count_x
      - .offset:         212
        .size:           4
        .value_kind:     hidden_block_count_y
      - .offset:         216
        .size:           4
        .value_kind:     hidden_block_count_z
      - .offset:         220
        .size:           2
        .value_kind:     hidden_group_size_x
      - .offset:         222
        .size:           2
        .value_kind:     hidden_group_size_y
      - .offset:         224
        .size:           2
        .value_kind:     hidden_group_size_z
      - .offset:         226
        .size:           2
        .value_kind:     hidden_remainder_x
      - .offset:         228
        .size:           2
        .value_kind:     hidden_remainder_y
      - .offset:         230
        .size:           2
        .value_kind:     hidden_remainder_z
      - .offset:         248
        .size:           8
        .value_kind:     hidden_global_offset_x
      - .offset:         256
        .size:           8
        .value_kind:     hidden_global_offset_y
      - .offset:         264
        .size:           8
        .value_kind:     hidden_global_offset_z
      - .offset:         272
        .size:           2
        .value_kind:     hidden_grid_dims
    .group_segment_fixed_size: 12288
    .kernarg_segment_align: 8
    .kernarg_segment_size: 464
    .language:       OpenCL C
    .language_version:
      - 2
      - 0
    .max_flat_workgroup_size: 128
    .name:           _ZL15flash_attn_tileILi128ELi128ELi8ELi1ELb1EEvPKcS1_S1_S1_S1_PKiPfP15HIP_vector_typeIfLj2EEffffjfiS5_IjLj3EEiiiiiiiiiiiliiliiiiil
    .private_segment_fixed_size: 32
    .sgpr_count:     50
    .sgpr_spill_count: 0
    .symbol:         _ZL15flash_attn_tileILi128ELi128ELi8ELi1ELb1EEvPKcS1_S1_S1_S1_PKiPfP15HIP_vector_typeIfLj2EEffffjfiS5_IjLj3EEiiiiiiiiiiiliiliiiiil.kd
    .uniform_work_group_size: 1
    .uses_dynamic_stack: false
    .vgpr_count:     192
    .vgpr_spill_count: 0
    .wavefront_size: 32
    .workgroup_processor_mode: 1
  - .args:
      - .address_space:  global
        .offset:         0
        .size:           8
        .value_kind:     global_buffer
      - .address_space:  global
        .offset:         8
        .size:           8
        .value_kind:     global_buffer
      - .address_space:  global
        .offset:         16
        .size:           8
        .value_kind:     global_buffer
      - .address_space:  global
        .offset:         24
        .size:           8
        .value_kind:     global_buffer
      - .address_space:  global
        .offset:         32
        .size:           8
        .value_kind:     global_buffer
      - .address_space:  global
        .offset:         40
        .size:           8
        .value_kind:     global_buffer
      - .address_space:  global
        .offset:         48
        .size:           8
        .value_kind:     global_buffer
      - .address_space:  global
        .offset:         56
        .size:           8
        .value_kind:     global_buffer
      - .offset:         64
        .size:           4
        .value_kind:     by_value
      - .offset:         68
        .size:           4
        .value_kind:     by_value
      - .offset:         72
        .size:           4
        .value_kind:     by_value
      - .offset:         76
        .size:           4
        .value_kind:     by_value
      - .offset:         80
        .size:           4
        .value_kind:     by_value
      - .offset:         84
        .size:           4
        .value_kind:     by_value
      - .offset:         88
        .size:           4
        .value_kind:     by_value
      - .offset:         92
        .size:           12
        .value_kind:     by_value
      - .offset:         104
        .size:           4
        .value_kind:     by_value
      - .offset:         108
        .size:           4
        .value_kind:     by_value
      - .offset:         112
        .size:           4
        .value_kind:     by_value
      - .offset:         116
        .size:           4
        .value_kind:     by_value
      - .offset:         120
        .size:           4
        .value_kind:     by_value
      - .offset:         124
        .size:           4
        .value_kind:     by_value
      - .offset:         128
        .size:           4
        .value_kind:     by_value
      - .offset:         132
        .size:           4
        .value_kind:     by_value
      - .offset:         136
        .size:           4
        .value_kind:     by_value
      - .offset:         140
        .size:           4
        .value_kind:     by_value
      - .offset:         144
        .size:           4
        .value_kind:     by_value
      - .offset:         152
        .size:           8
        .value_kind:     by_value
      - .offset:         160
        .size:           4
        .value_kind:     by_value
      - .offset:         164
        .size:           4
        .value_kind:     by_value
      - .offset:         168
        .size:           8
        .value_kind:     by_value
      - .offset:         176
        .size:           4
        .value_kind:     by_value
      - .offset:         180
        .size:           4
        .value_kind:     by_value
      - .offset:         184
        .size:           4
        .value_kind:     by_value
      - .offset:         188
        .size:           4
        .value_kind:     by_value
      - .offset:         192
        .size:           4
        .value_kind:     by_value
      - .offset:         200
        .size:           8
        .value_kind:     by_value
      - .offset:         208
        .size:           4
        .value_kind:     hidden_block_count_x
      - .offset:         212
        .size:           4
        .value_kind:     hidden_block_count_y
      - .offset:         216
        .size:           4
        .value_kind:     hidden_block_count_z
      - .offset:         220
        .size:           2
        .value_kind:     hidden_group_size_x
      - .offset:         222
        .size:           2
        .value_kind:     hidden_group_size_y
      - .offset:         224
        .size:           2
        .value_kind:     hidden_group_size_z
      - .offset:         226
        .size:           2
        .value_kind:     hidden_remainder_x
      - .offset:         228
        .size:           2
        .value_kind:     hidden_remainder_y
      - .offset:         230
        .size:           2
        .value_kind:     hidden_remainder_z
      - .offset:         248
        .size:           8
        .value_kind:     hidden_global_offset_x
      - .offset:         256
        .size:           8
        .value_kind:     hidden_global_offset_y
      - .offset:         264
        .size:           8
        .value_kind:     hidden_global_offset_z
      - .offset:         272
        .size:           2
        .value_kind:     hidden_grid_dims
    .group_segment_fixed_size: 10752
    .kernarg_segment_align: 8
    .kernarg_segment_size: 464
    .language:       OpenCL C
    .language_version:
      - 2
      - 0
    .max_flat_workgroup_size: 128
    .name:           _ZL15flash_attn_tileILi128ELi128ELi4ELi1ELb1EEvPKcS1_S1_S1_S1_PKiPfP15HIP_vector_typeIfLj2EEffffjfiS5_IjLj3EEiiiiiiiiiiiliiliiiiil
    .private_segment_fixed_size: 32
    .sgpr_count:     50
    .sgpr_spill_count: 0
    .symbol:         _ZL15flash_attn_tileILi128ELi128ELi4ELi1ELb1EEvPKcS1_S1_S1_S1_PKiPfP15HIP_vector_typeIfLj2EEffffjfiS5_IjLj3EEiiiiiiiiiiiliiliiiiil.kd
    .uniform_work_group_size: 1
    .uses_dynamic_stack: false
    .vgpr_count:     154
    .vgpr_spill_count: 0
    .wavefront_size: 32
    .workgroup_processor_mode: 1
  - .args:
      - .address_space:  global
        .offset:         0
        .size:           8
        .value_kind:     global_buffer
      - .address_space:  global
        .offset:         8
        .size:           8
        .value_kind:     global_buffer
      - .address_space:  global
        .offset:         16
        .size:           8
        .value_kind:     global_buffer
      - .address_space:  global
        .offset:         24
        .size:           8
        .value_kind:     global_buffer
      - .address_space:  global
        .offset:         32
        .size:           8
        .value_kind:     global_buffer
      - .address_space:  global
        .offset:         40
        .size:           8
        .value_kind:     global_buffer
      - .address_space:  global
        .offset:         48
        .size:           8
        .value_kind:     global_buffer
      - .address_space:  global
        .offset:         56
        .size:           8
        .value_kind:     global_buffer
      - .offset:         64
        .size:           4
        .value_kind:     by_value
      - .offset:         68
        .size:           4
        .value_kind:     by_value
      - .offset:         72
        .size:           4
        .value_kind:     by_value
      - .offset:         76
        .size:           4
        .value_kind:     by_value
      - .offset:         80
        .size:           4
        .value_kind:     by_value
      - .offset:         84
        .size:           4
        .value_kind:     by_value
      - .offset:         88
        .size:           4
        .value_kind:     by_value
      - .offset:         92
        .size:           12
        .value_kind:     by_value
      - .offset:         104
        .size:           4
        .value_kind:     by_value
      - .offset:         108
        .size:           4
        .value_kind:     by_value
      - .offset:         112
        .size:           4
        .value_kind:     by_value
      - .offset:         116
        .size:           4
        .value_kind:     by_value
      - .offset:         120
        .size:           4
        .value_kind:     by_value
      - .offset:         124
        .size:           4
        .value_kind:     by_value
      - .offset:         128
        .size:           4
        .value_kind:     by_value
      - .offset:         132
        .size:           4
        .value_kind:     by_value
      - .offset:         136
        .size:           4
        .value_kind:     by_value
      - .offset:         140
        .size:           4
        .value_kind:     by_value
      - .offset:         144
        .size:           4
        .value_kind:     by_value
      - .offset:         152
        .size:           8
        .value_kind:     by_value
      - .offset:         160
        .size:           4
        .value_kind:     by_value
      - .offset:         164
        .size:           4
        .value_kind:     by_value
      - .offset:         168
        .size:           8
        .value_kind:     by_value
      - .offset:         176
        .size:           4
        .value_kind:     by_value
      - .offset:         180
        .size:           4
        .value_kind:     by_value
      - .offset:         184
        .size:           4
        .value_kind:     by_value
      - .offset:         188
        .size:           4
        .value_kind:     by_value
      - .offset:         192
        .size:           4
        .value_kind:     by_value
      - .offset:         200
        .size:           8
        .value_kind:     by_value
      - .offset:         208
        .size:           4
        .value_kind:     hidden_block_count_x
      - .offset:         212
        .size:           4
        .value_kind:     hidden_block_count_y
      - .offset:         216
        .size:           4
        .value_kind:     hidden_block_count_z
      - .offset:         220
        .size:           2
        .value_kind:     hidden_group_size_x
      - .offset:         222
        .size:           2
        .value_kind:     hidden_group_size_y
      - .offset:         224
        .size:           2
        .value_kind:     hidden_group_size_z
      - .offset:         226
        .size:           2
        .value_kind:     hidden_remainder_x
      - .offset:         228
        .size:           2
        .value_kind:     hidden_remainder_y
      - .offset:         230
        .size:           2
        .value_kind:     hidden_remainder_z
      - .offset:         248
        .size:           8
        .value_kind:     hidden_global_offset_x
      - .offset:         256
        .size:           8
        .value_kind:     hidden_global_offset_y
      - .offset:         264
        .size:           8
        .value_kind:     hidden_global_offset_z
      - .offset:         272
        .size:           2
        .value_kind:     hidden_grid_dims
    .group_segment_fixed_size: 5248
    .kernarg_segment_align: 8
    .kernarg_segment_size: 464
    .language:       OpenCL C
    .language_version:
      - 2
      - 0
    .max_flat_workgroup_size: 64
    .name:           _ZL15flash_attn_tileILi128ELi128ELi2ELi1ELb1EEvPKcS1_S1_S1_S1_PKiPfP15HIP_vector_typeIfLj2EEffffjfiS5_IjLj3EEiiiiiiiiiiiliiliiiiil
    .private_segment_fixed_size: 32
    .sgpr_count:     50
    .sgpr_spill_count: 0
    .symbol:         _ZL15flash_attn_tileILi128ELi128ELi2ELi1ELb1EEvPKcS1_S1_S1_S1_PKiPfP15HIP_vector_typeIfLj2EEffffjfiS5_IjLj3EEiiiiiiiiiiiliiliiiiil.kd
    .uniform_work_group_size: 1
    .uses_dynamic_stack: false
    .vgpr_count:     110
    .vgpr_spill_count: 0
    .wavefront_size: 32
    .workgroup_processor_mode: 1
amdhsa.target:   amdgcn-amd-amdhsa--gfx1201
amdhsa.version:
  - 1
  - 2
...

	.end_amdgpu_metadata
